;; amdgpu-corpus repo=ROCm/rocSPARSE kind=compiled arch=gfx1100 opt=O3
	.text
	.amdgcn_target "amdgcn-amd-amdhsa--gfx1100"
	.amdhsa_code_object_version 6
	.section	.text._ZN9rocsparseL22csrmvn_adaptive_kernelIiiffffEEvbT_PKS1_PjPKT0_NS_24const_host_device_scalarIT4_EES3_S7_PKT1_PKT2_SA_PT3_21rocsparse_index_base_b,"axG",@progbits,_ZN9rocsparseL22csrmvn_adaptive_kernelIiiffffEEvbT_PKS1_PjPKT0_NS_24const_host_device_scalarIT4_EES3_S7_PKT1_PKT2_SA_PT3_21rocsparse_index_base_b,comdat
	.globl	_ZN9rocsparseL22csrmvn_adaptive_kernelIiiffffEEvbT_PKS1_PjPKT0_NS_24const_host_device_scalarIT4_EES3_S7_PKT1_PKT2_SA_PT3_21rocsparse_index_base_b ; -- Begin function _ZN9rocsparseL22csrmvn_adaptive_kernelIiiffffEEvbT_PKS1_PjPKT0_NS_24const_host_device_scalarIT4_EES3_S7_PKT1_PKT2_SA_PT3_21rocsparse_index_base_b
	.p2align	8
	.type	_ZN9rocsparseL22csrmvn_adaptive_kernelIiiffffEEvbT_PKS1_PjPKT0_NS_24const_host_device_scalarIT4_EES3_S7_PKT1_PKT2_SA_PT3_21rocsparse_index_base_b,@function
_ZN9rocsparseL22csrmvn_adaptive_kernelIiiffffEEvbT_PKS1_PjPKT0_NS_24const_host_device_scalarIT4_EES3_S7_PKT1_PKT2_SA_PT3_21rocsparse_index_base_b: ; @_ZN9rocsparseL22csrmvn_adaptive_kernelIiiffffEEvbT_PKS1_PjPKT0_NS_24const_host_device_scalarIT4_EES3_S7_PKT1_PKT2_SA_PT3_21rocsparse_index_base_b
; %bb.0:
	s_clause 0x2
	s_load_b64 s[30:31], s[0:1], 0x58
	s_load_b64 s[28:29], s[0:1], 0x20
	;; [unrolled: 1-line block ×3, first 2 shown]
	s_mov_b32 s36, s15
	s_waitcnt lgkmcnt(0)
	s_bitcmp1_b32 s31, 0
	s_cselect_b32 s2, -1, 0
	s_delay_alu instid0(SALU_CYCLE_1)
	s_and_b32 vcc_lo, exec_lo, s2
	s_xor_b32 s2, s2, -1
	s_cbranch_vccnz .LBB0_2
; %bb.1:
	s_load_b32 s28, s[28:29], 0x0
.LBB0_2:
	s_and_not1_b32 vcc_lo, exec_lo, s2
	s_cbranch_vccnz .LBB0_4
; %bb.3:
	s_load_b32 s20, s[20:21], 0x0
.LBB0_4:
	s_waitcnt lgkmcnt(0)
	v_cmp_neq_f32_e64 s2, s28, 0
	v_cmp_neq_f32_e64 s3, s20, 1.0
	s_delay_alu instid0(VALU_DEP_1) | instskip(NEXT) | instid1(SALU_CYCLE_1)
	s_or_b32 s2, s2, s3
	s_and_not1_b32 vcc_lo, exec_lo, s2
	s_cbranch_vccnz .LBB0_116
; %bb.5:
	s_clause 0x2
	s_load_b64 s[2:3], s[0:1], 0x8
	s_load_b64 s[4:5], s[0:1], 0x18
	;; [unrolled: 1-line block ×3, first 2 shown]
	s_ashr_i32 s37, s36, 31
	s_delay_alu instid0(SALU_CYCLE_1)
	s_lshl_b64 s[38:39], s[36:37], 2
	s_waitcnt lgkmcnt(0)
	s_add_u32 s2, s2, s38
	s_addc_u32 s3, s3, s39
	s_load_b64 s[24:25], s[2:3], 0x0
	s_load_b256 s[12:19], s[0:1], 0x28
	s_mov_b32 s3, -1
	s_waitcnt lgkmcnt(0)
	s_sub_i32 s2, s25, s24
	s_add_u32 s4, s4, s38
	s_addc_u32 s5, s5, s39
	s_ashr_i32 s7, s24, 31
	s_mov_b32 s6, s24
	s_delay_alu instid0(SALU_CYCLE_1) | instskip(NEXT) | instid1(SALU_CYCLE_1)
	s_lshl_b64 s[34:35], s[6:7], 2
	s_add_u32 s26, s12, s34
	s_addc_u32 s27, s13, s35
	s_load_b32 s11, s[4:5], 0x0
	s_load_b32 s21, s[26:27], 0x0
	s_cmp_lt_i32 s2, 2
	s_cbranch_scc0 .LBB0_72
; %bb.6:
	s_cmp_lg_u32 s2, 1
	s_cselect_b32 s2, -1, 0
	s_waitcnt lgkmcnt(0)
	s_cmp_lg_u32 s11, 0
	s_cselect_b32 s3, -1, 0
	s_delay_alu instid0(SALU_CYCLE_1) | instskip(NEXT) | instid1(SALU_CYCLE_1)
	s_or_b32 s2, s2, s3
	s_and_b32 vcc_lo, exec_lo, s2
	s_mov_b32 s2, -1
	s_cbranch_vccnz .LBB0_35
; %bb.7:
	s_cmp_le_i32 s25, s24
	s_cbranch_scc1 .LBB0_34
; %bb.8:
	v_subrev_nc_u32_e32 v6, s30, v0
	v_dual_mov_b32 v8, 0 :: v_dual_lshlrev_b32 v7, 2, v0
	v_cmp_gt_u32_e64 s2, 0x80, v0
	v_cmp_gt_u32_e64 s3, 64, v0
	;; [unrolled: 1-line block ×7, first 2 shown]
	v_cmp_eq_u32_e64 s9, 0, v0
	v_cmp_neq_f32_e64 s31, s20, 0
	s_add_u32 s29, s12, 4
	s_addc_u32 s33, s13, 0
	s_mov_b32 s37, s21
	s_mov_b32 s40, s24
	s_branch .LBB0_11
.LBB0_9:                                ;   in Loop: Header=BB0_11 Depth=1
	s_add_u32 s42, s22, s42
	s_addc_u32 s43, s23, s43
	s_waitcnt lgkmcnt(0)
	global_store_b32 v8, v1, s[42:43]
.LBB0_10:                               ;   in Loop: Header=BB0_11 Depth=1
	s_or_b32 exec_lo, exec_lo, s10
	s_add_i32 s40, s40, 1
	s_delay_alu instid0(SALU_CYCLE_1)
	s_cmp_ge_i32 s40, s25
	s_cbranch_scc1 .LBB0_34
.LBB0_11:                               ; =>This Loop Header: Depth=1
                                        ;     Child Loop BB0_13 Depth 2
	s_ashr_i32 s41, s40, 31
	s_mov_b32 s10, s37
	s_lshl_b64 s[42:43], s[40:41], 2
	v_add_nc_u32_e32 v1, s10, v6
	s_add_u32 s44, s29, s42
	s_addc_u32 s45, s33, s43
	v_mov_b32_e32 v9, 0
	s_load_b32 s37, s[44:45], 0x0
	s_mov_b32 s41, exec_lo
	s_waitcnt lgkmcnt(0)
	s_sub_i32 s44, s37, s30
	s_delay_alu instid0(SALU_CYCLE_1)
	v_cmpx_gt_i32_e64 s44, v1
	s_cbranch_execz .LBB0_15
; %bb.12:                               ;   in Loop: Header=BB0_11 Depth=1
	v_ashrrev_i32_e32 v2, 31, v1
	v_mov_b32_e32 v9, 0
	s_mov_b32 s45, 0
	s_delay_alu instid0(VALU_DEP_2) | instskip(NEXT) | instid1(VALU_DEP_1)
	v_lshlrev_b64 v[4:5], 2, v[1:2]
	v_add_co_u32 v2, vcc_lo, s16, v4
	s_delay_alu instid0(VALU_DEP_2)
	v_add_co_ci_u32_e32 v3, vcc_lo, s17, v5, vcc_lo
	v_add_co_u32 v4, vcc_lo, s14, v4
	v_add_co_ci_u32_e32 v5, vcc_lo, s15, v5, vcc_lo
	.p2align	6
.LBB0_13:                               ;   Parent Loop BB0_11 Depth=1
                                        ; =>  This Inner Loop Header: Depth=2
	global_load_b32 v10, v[4:5], off
	global_load_b32 v12, v[2:3], off
	v_add_nc_u32_e32 v1, 0x100, v1
	s_delay_alu instid0(VALU_DEP_1) | instskip(NEXT) | instid1(VALU_DEP_1)
	v_cmp_le_i32_e64 s10, s44, v1
	s_or_b32 s45, s10, s45
	s_waitcnt vmcnt(1)
	v_subrev_nc_u32_e32 v10, s30, v10
	s_delay_alu instid0(VALU_DEP_1) | instskip(NEXT) | instid1(VALU_DEP_1)
	v_ashrrev_i32_e32 v11, 31, v10
	v_lshlrev_b64 v[10:11], 2, v[10:11]
	s_delay_alu instid0(VALU_DEP_1) | instskip(NEXT) | instid1(VALU_DEP_2)
	v_add_co_u32 v10, vcc_lo, s18, v10
	v_add_co_ci_u32_e32 v11, vcc_lo, s19, v11, vcc_lo
	v_add_co_u32 v2, vcc_lo, 0x400, v2
	v_add_co_ci_u32_e32 v3, vcc_lo, 0, v3, vcc_lo
	global_load_b32 v10, v[10:11], off
	s_waitcnt vmcnt(1)
	v_mul_f32_e32 v11, s28, v12
	v_add_co_u32 v4, vcc_lo, 0x400, v4
	v_add_co_ci_u32_e32 v5, vcc_lo, 0, v5, vcc_lo
	s_waitcnt vmcnt(0)
	s_delay_alu instid0(VALU_DEP_3)
	v_fmac_f32_e32 v9, v11, v10
	s_and_not1_b32 exec_lo, exec_lo, s45
	s_cbranch_execnz .LBB0_13
; %bb.14:                               ;   in Loop: Header=BB0_11 Depth=1
	s_or_b32 exec_lo, exec_lo, s45
.LBB0_15:                               ;   in Loop: Header=BB0_11 Depth=1
	s_delay_alu instid0(SALU_CYCLE_1)
	s_or_b32 exec_lo, exec_lo, s41
	ds_store_b32 v7, v9
	s_waitcnt lgkmcnt(0)
	s_waitcnt_vscnt null, 0x0
	s_barrier
	buffer_gl0_inv
	s_and_saveexec_b32 s10, s2
	s_cbranch_execz .LBB0_17
; %bb.16:                               ;   in Loop: Header=BB0_11 Depth=1
	ds_load_2addr_stride64_b32 v[1:2], v7 offset1:2
	s_waitcnt lgkmcnt(0)
	v_add_f32_e32 v1, v1, v2
	ds_store_b32 v7, v1
.LBB0_17:                               ;   in Loop: Header=BB0_11 Depth=1
	s_or_b32 exec_lo, exec_lo, s10
	s_waitcnt lgkmcnt(0)
	s_barrier
	buffer_gl0_inv
	s_and_saveexec_b32 s10, s3
	s_cbranch_execz .LBB0_19
; %bb.18:                               ;   in Loop: Header=BB0_11 Depth=1
	ds_load_2addr_stride64_b32 v[1:2], v7 offset1:1
	s_waitcnt lgkmcnt(0)
	v_add_f32_e32 v1, v1, v2
	ds_store_b32 v7, v1
.LBB0_19:                               ;   in Loop: Header=BB0_11 Depth=1
	s_or_b32 exec_lo, exec_lo, s10
	s_waitcnt lgkmcnt(0)
	s_barrier
	buffer_gl0_inv
	s_and_saveexec_b32 s10, s4
	s_cbranch_execz .LBB0_21
; %bb.20:                               ;   in Loop: Header=BB0_11 Depth=1
	ds_load_2addr_b32 v[1:2], v7 offset1:32
	s_waitcnt lgkmcnt(0)
	v_add_f32_e32 v1, v1, v2
	ds_store_b32 v7, v1
.LBB0_21:                               ;   in Loop: Header=BB0_11 Depth=1
	s_or_b32 exec_lo, exec_lo, s10
	s_waitcnt lgkmcnt(0)
	s_barrier
	buffer_gl0_inv
	s_and_saveexec_b32 s10, s5
	s_cbranch_execz .LBB0_23
; %bb.22:                               ;   in Loop: Header=BB0_11 Depth=1
	ds_load_2addr_b32 v[1:2], v7 offset1:16
	s_waitcnt lgkmcnt(0)
	v_add_f32_e32 v1, v1, v2
	ds_store_b32 v7, v1
.LBB0_23:                               ;   in Loop: Header=BB0_11 Depth=1
	;; [unrolled: 12-line block ×5, first 2 shown]
	s_or_b32 exec_lo, exec_lo, s10
	s_waitcnt lgkmcnt(0)
	s_barrier
	buffer_gl0_inv
	s_and_saveexec_b32 s10, s9
	s_cbranch_execz .LBB0_31
; %bb.30:                               ;   in Loop: Header=BB0_11 Depth=1
	ds_load_b64 v[1:2], v8
	s_waitcnt lgkmcnt(0)
	v_add_f32_e32 v1, v1, v2
	ds_store_b32 v8, v1
.LBB0_31:                               ;   in Loop: Header=BB0_11 Depth=1
	s_or_b32 exec_lo, exec_lo, s10
	s_waitcnt lgkmcnt(0)
	s_barrier
	buffer_gl0_inv
	s_and_saveexec_b32 s10, s9
	s_cbranch_execz .LBB0_10
; %bb.32:                               ;   in Loop: Header=BB0_11 Depth=1
	ds_load_b32 v1, v8
	s_and_not1_b32 vcc_lo, exec_lo, s31
	s_cbranch_vccnz .LBB0_9
; %bb.33:                               ;   in Loop: Header=BB0_11 Depth=1
	s_add_u32 s44, s22, s42
	s_addc_u32 s45, s23, s43
	global_load_b32 v2, v8, s[44:45]
	s_waitcnt vmcnt(0) lgkmcnt(0)
	v_fmac_f32_e32 v1, s20, v2
	s_branch .LBB0_9
.LBB0_34:
	s_mov_b32 s2, 0
.LBB0_35:
	s_delay_alu instid0(SALU_CYCLE_1)
	s_and_not1_b32 vcc_lo, exec_lo, s2
	s_cbranch_vccnz .LBB0_71
; %bb.36:
	s_load_b64 s[6:7], s[0:1], 0x10
	s_sub_i32 s8, s36, s11
	v_or_b32_e32 v1, s11, v0
	v_mov_b32_e32 v6, 0
	s_mov_b32 s2, exec_lo
	s_waitcnt lgkmcnt(0)
	s_add_u32 s4, s6, s38
	s_addc_u32 s5, s7, s39
	s_load_b32 s10, s[4:5], 0x0
	v_cmpx_eq_u32_e32 0, v1
	s_cbranch_execz .LBB0_40
; %bb.37:
	s_add_u32 s36, s22, s34
	s_addc_u32 s37, s23, s35
	s_mov_b32 s29, exec_lo
	s_load_b32 s3, s[36:37], 0x0
	v_mbcnt_lo_u32_b32 v2, s29, 0
	v_add_f32_e64 v1, s20, -1.0
	s_mov_b32 s31, exec_lo
	s_waitcnt vmcnt(0) expcnt(0) lgkmcnt(0)
	s_waitcnt_vscnt null, 0x0
	v_cmpx_eq_u32_e32 0, v2
	s_cbranch_execz .LBB0_39
; %bb.38:
	s_ashr_i32 s9, s8, 31
	s_delay_alu instid0(SALU_CYCLE_1) | instskip(NEXT) | instid1(SALU_CYCLE_1)
	s_lshl_b64 s[36:37], s[8:9], 2
	s_add_u32 s36, s6, s36
	s_addc_u32 s37, s7, s37
	s_bcnt1_i32_b32 s9, s29
	s_delay_alu instid0(SALU_CYCLE_1) | instskip(NEXT) | instid1(SALU_CYCLE_1)
	s_and_b32 s9, s9, 1
	v_dual_mov_b32 v2, 0 :: v_dual_mov_b32 v3, s9
	global_atomic_xor_b32 v2, v3, s[36:37]
.LBB0_39:
	s_or_b32 exec_lo, exec_lo, s31
	v_mul_f32_e32 v6, s3, v1
.LBB0_40:
	s_or_b32 exec_lo, exec_lo, s2
	s_load_b32 s2, s[26:27], 0x4
	s_mul_i32 s3, s11, 0xc00
	s_sub_i32 s9, s21, s30
	s_delay_alu instid0(SALU_CYCLE_1)
	s_add_i32 s9, s9, s3
	s_mov_b32 s3, exec_lo
	v_add_nc_u32_e32 v1, s9, v0
	s_waitcnt lgkmcnt(0)
	s_sub_i32 s2, s2, s30
	s_delay_alu instid0(VALU_DEP_1) | instid1(SALU_CYCLE_1)
	v_cmpx_gt_i32_e64 s2, v1
	s_cbranch_execz .LBB0_44
; %bb.41:
	v_ashrrev_i32_e32 v2, 31, v1
	s_addk_i32 s9, 0xc00
	s_mov_b32 s29, 0
	s_min_i32 s9, s9, s2
	s_delay_alu instid0(VALU_DEP_1) | instskip(NEXT) | instid1(VALU_DEP_1)
	v_lshlrev_b64 v[4:5], 2, v[1:2]
	v_add_co_u32 v2, vcc_lo, s16, v4
	s_delay_alu instid0(VALU_DEP_2)
	v_add_co_ci_u32_e32 v3, vcc_lo, s17, v5, vcc_lo
	v_add_co_u32 v4, vcc_lo, s14, v4
	v_add_co_ci_u32_e32 v5, vcc_lo, s15, v5, vcc_lo
	.p2align	6
.LBB0_42:                               ; =>This Inner Loop Header: Depth=1
	global_load_b32 v7, v[4:5], off
	global_load_b32 v9, v[2:3], off
	s_waitcnt vmcnt(1)
	v_subrev_nc_u32_e32 v7, s30, v7
	s_delay_alu instid0(VALU_DEP_1) | instskip(NEXT) | instid1(VALU_DEP_1)
	v_ashrrev_i32_e32 v8, 31, v7
	v_lshlrev_b64 v[7:8], 2, v[7:8]
	s_delay_alu instid0(VALU_DEP_1) | instskip(NEXT) | instid1(VALU_DEP_2)
	v_add_co_u32 v7, vcc_lo, s18, v7
	v_add_co_ci_u32_e32 v8, vcc_lo, s19, v8, vcc_lo
	v_add_co_u32 v2, vcc_lo, 0x400, v2
	v_add_co_ci_u32_e32 v3, vcc_lo, 0, v3, vcc_lo
	global_load_b32 v7, v[7:8], off
	s_waitcnt vmcnt(1)
	v_mul_f32_e32 v8, s28, v9
	v_add_nc_u32_e32 v1, 0x100, v1
	v_add_co_u32 v4, vcc_lo, 0x400, v4
	v_add_co_ci_u32_e32 v5, vcc_lo, 0, v5, vcc_lo
	s_waitcnt vmcnt(0)
	v_fmac_f32_e32 v6, v8, v7
	v_cmp_le_i32_e64 s2, s9, v1
	s_delay_alu instid0(VALU_DEP_1) | instskip(NEXT) | instid1(SALU_CYCLE_1)
	s_or_b32 s29, s2, s29
	s_and_not1_b32 exec_lo, exec_lo, s29
	s_cbranch_execnz .LBB0_42
; %bb.43:
	s_or_b32 exec_lo, exec_lo, s29
.LBB0_44:
	s_delay_alu instid0(SALU_CYCLE_1)
	s_or_b32 exec_lo, exec_lo, s3
	v_lshlrev_b32_e32 v1, 2, v0
	s_mov_b32 s2, exec_lo
	ds_store_b32 v1, v6
	s_waitcnt lgkmcnt(0)
	s_waitcnt_vscnt null, 0x0
	s_barrier
	buffer_gl0_inv
	v_cmpx_gt_u32_e32 0x80, v0
	s_cbranch_execz .LBB0_46
; %bb.45:
	ds_load_2addr_stride64_b32 v[2:3], v1 offset1:2
	s_waitcnt lgkmcnt(0)
	v_add_f32_e32 v2, v2, v3
	ds_store_b32 v1, v2
.LBB0_46:
	s_or_b32 exec_lo, exec_lo, s2
	s_delay_alu instid0(SALU_CYCLE_1)
	s_mov_b32 s2, exec_lo
	s_waitcnt lgkmcnt(0)
	s_barrier
	buffer_gl0_inv
	v_cmpx_gt_u32_e32 64, v0
	s_cbranch_execz .LBB0_48
; %bb.47:
	ds_load_2addr_stride64_b32 v[2:3], v1 offset1:1
	s_waitcnt lgkmcnt(0)
	v_add_f32_e32 v2, v2, v3
	ds_store_b32 v1, v2
.LBB0_48:
	s_or_b32 exec_lo, exec_lo, s2
	s_delay_alu instid0(SALU_CYCLE_1)
	s_mov_b32 s2, exec_lo
	s_waitcnt lgkmcnt(0)
	s_barrier
	buffer_gl0_inv
	v_cmpx_gt_u32_e32 32, v0
	s_cbranch_execz .LBB0_50
; %bb.49:
	ds_load_2addr_b32 v[2:3], v1 offset1:32
	s_waitcnt lgkmcnt(0)
	v_add_f32_e32 v2, v2, v3
	ds_store_b32 v1, v2
.LBB0_50:
	s_or_b32 exec_lo, exec_lo, s2
	s_delay_alu instid0(SALU_CYCLE_1)
	s_mov_b32 s2, exec_lo
	s_waitcnt lgkmcnt(0)
	s_barrier
	buffer_gl0_inv
	v_cmpx_gt_u32_e32 16, v0
	s_cbranch_execz .LBB0_52
; %bb.51:
	ds_load_2addr_b32 v[2:3], v1 offset1:16
	s_waitcnt lgkmcnt(0)
	v_add_f32_e32 v2, v2, v3
	ds_store_b32 v1, v2
.LBB0_52:
	;; [unrolled: 14-line block ×5, first 2 shown]
	s_or_b32 exec_lo, exec_lo, s2
	v_cmp_eq_u32_e32 vcc_lo, 0, v0
	s_waitcnt lgkmcnt(0)
	s_barrier
	buffer_gl0_inv
	s_and_saveexec_b32 s2, vcc_lo
	s_cbranch_execz .LBB0_60
; %bb.59:
	v_mov_b32_e32 v3, 0
	ds_load_b64 v[1:2], v3
	s_waitcnt lgkmcnt(0)
	v_add_f32_e32 v1, v1, v2
	ds_store_b32 v3, v1
.LBB0_60:
	s_or_b32 exec_lo, exec_lo, s2
	s_waitcnt lgkmcnt(0)
	s_barrier
	buffer_gl0_inv
	s_and_saveexec_b32 s29, vcc_lo
	s_cbranch_execz .LBB0_70
; %bb.61:
	s_cmp_eq_u32 s11, 0
	s_cbranch_scc1 .LBB0_67
; %bb.62:
	s_ashr_i32 s9, s8, 31
	v_mov_b32_e32 v1, 0
	s_lshl_b64 s[2:3], s[8:9], 2
	s_delay_alu instid0(SALU_CYCLE_1)
	s_add_u32 s2, s6, s2
	s_addc_u32 s3, s7, s3
	s_branch .LBB0_64
.LBB0_63:                               ;   in Loop: Header=BB0_64 Depth=1
	s_or_b32 exec_lo, exec_lo, s6
	s_waitcnt vmcnt(0)
	v_readfirstlane_b32 s6, v2
	s_delay_alu instid0(VALU_DEP_1)
	s_cmp_eq_u32 s6, s10
	s_cbranch_scc0 .LBB0_66
.LBB0_64:                               ; =>This Inner Loop Header: Depth=1
	v_mbcnt_lo_u32_b32 v2, exec_lo, 0
	s_delay_alu instid0(VALU_DEP_1)
	v_cmp_eq_u32_e32 vcc_lo, 0, v2
                                        ; implicit-def: $vgpr2
	s_and_saveexec_b32 s6, vcc_lo
	s_cbranch_execz .LBB0_63
; %bb.65:                               ;   in Loop: Header=BB0_64 Depth=1
	global_load_b32 v2, v1, s[2:3] glc
	s_branch .LBB0_63
.LBB0_66:
	v_mov_b32_e32 v1, 0
	global_load_b32 v2, v1, s[4:5]
	s_waitcnt vmcnt(0)
	v_xor_b32_e32 v2, 1, v2
	global_store_b32 v1, v2, s[4:5]
.LBB0_67:
	s_mov_b32 s4, exec_lo
	s_delay_alu instid0(SALU_CYCLE_1) | instskip(NEXT) | instid1(VALU_DEP_1)
	v_mbcnt_lo_u32_b32 v1, s4, 0
	v_cmp_eq_u32_e32 vcc_lo, 0, v1
	s_and_b32 s2, exec_lo, vcc_lo
	s_delay_alu instid0(SALU_CYCLE_1)
	s_mov_b32 exec_lo, s2
	s_cbranch_execz .LBB0_70
; %bb.68:
	s_add_u32 s2, s22, s34
	s_addc_u32 s3, s23, s35
	s_bcnt1_i32_b32 s4, s4
	s_delay_alu instid0(SALU_CYCLE_1)
	v_cvt_f32_ubyte0_e32 v4, s4
	v_mov_b32_e32 v3, 0
	s_mov_b32 s4, 0
	global_load_b32 v2, v3, s[2:3]
	ds_load_b32 v1, v3
	s_waitcnt lgkmcnt(0)
	v_mul_f32_e32 v4, v1, v4
.LBB0_69:                               ; =>This Inner Loop Header: Depth=1
	s_waitcnt vmcnt(0)
	s_delay_alu instid0(VALU_DEP_1)
	v_add_f32_e32 v1, v2, v4
	global_atomic_cmpswap_b32 v1, v3, v[1:2], s[2:3] glc
	s_waitcnt vmcnt(0)
	v_cmp_eq_u32_e32 vcc_lo, v1, v2
	v_mov_b32_e32 v2, v1
	s_or_b32 s4, vcc_lo, s4
	s_delay_alu instid0(SALU_CYCLE_1)
	s_and_not1_b32 exec_lo, exec_lo, s4
	s_cbranch_execnz .LBB0_69
.LBB0_70:
	s_or_b32 exec_lo, exec_lo, s29
.LBB0_71:
	s_mov_b32 s3, 0
.LBB0_72:
	s_delay_alu instid0(SALU_CYCLE_1)
	s_and_not1_b32 vcc_lo, exec_lo, s3
	s_cbranch_vccnz .LBB0_116
; %bb.73:
	s_load_b32 s0, s[0:1], 0x4
	v_subrev_nc_u32_e32 v1, s30, v0
	s_waitcnt lgkmcnt(0)
	s_delay_alu instid0(VALU_DEP_1) | instskip(NEXT) | instid1(VALU_DEP_1)
	v_add_nc_u32_e32 v1, s21, v1
	v_add_nc_u32_e32 v2, 0x300, v1
	s_delay_alu instid0(VALU_DEP_1) | instskip(SKIP_1) | instid1(SALU_CYCLE_1)
	v_cmp_le_i32_e32 vcc_lo, s0, v2
	s_and_saveexec_b32 s0, vcc_lo
	s_xor_b32 s0, exec_lo, s0
	s_cbranch_execz .LBB0_78
; %bb.74:
	s_ashr_i32 s3, s25, 31
	s_mov_b32 s2, s25
	s_delay_alu instid0(SALU_CYCLE_1) | instskip(NEXT) | instid1(SALU_CYCLE_1)
	s_lshl_b64 s[2:3], s[2:3], 2
	s_add_u32 s2, s12, s2
	s_addc_u32 s3, s13, s3
	s_load_b32 s1, s[2:3], 0x0
	s_mov_b32 s2, exec_lo
	s_waitcnt lgkmcnt(0)
	s_sub_i32 s1, s1, s30
	s_delay_alu instid0(SALU_CYCLE_1)
	v_cmpx_gt_i32_e64 s1, v1
	s_cbranch_execz .LBB0_77
; %bb.75:
	v_lshlrev_b32_e32 v3, 2, v0
	s_mov_b32 s3, 0
	s_set_inst_prefetch_distance 0x1
	.p2align	6
.LBB0_76:                               ; =>This Inner Loop Header: Depth=1
	v_ashrrev_i32_e32 v2, 31, v1
	s_delay_alu instid0(VALU_DEP_1) | instskip(SKIP_1) | instid1(VALU_DEP_2)
	v_lshlrev_b64 v[4:5], 2, v[1:2]
	v_add_nc_u32_e32 v1, 0x100, v1
	v_add_co_u32 v6, vcc_lo, s14, v4
	s_delay_alu instid0(VALU_DEP_3)
	v_add_co_ci_u32_e32 v7, vcc_lo, s15, v5, vcc_lo
	v_add_co_u32 v4, vcc_lo, s16, v4
	v_add_co_ci_u32_e32 v5, vcc_lo, s17, v5, vcc_lo
	global_load_b32 v2, v[6:7], off
	s_waitcnt vmcnt(0)
	v_subrev_nc_u32_e32 v6, s30, v2
	global_load_b32 v2, v[4:5], off
	v_ashrrev_i32_e32 v7, 31, v6
	s_delay_alu instid0(VALU_DEP_1) | instskip(NEXT) | instid1(VALU_DEP_1)
	v_lshlrev_b64 v[6:7], 2, v[6:7]
	v_add_co_u32 v4, vcc_lo, s18, v6
	s_delay_alu instid0(VALU_DEP_2)
	v_add_co_ci_u32_e32 v5, vcc_lo, s19, v7, vcc_lo
	v_cmp_le_i32_e32 vcc_lo, s1, v1
	global_load_b32 v4, v[4:5], off
	s_or_b32 s3, vcc_lo, s3
	s_waitcnt vmcnt(1)
	v_mul_f32_e32 v2, s28, v2
	s_waitcnt vmcnt(0)
	s_delay_alu instid0(VALU_DEP_1)
	v_mul_f32_e32 v2, v2, v4
	ds_store_b32 v3, v2
	v_add_nc_u32_e32 v3, 0x400, v3
	s_and_not1_b32 exec_lo, exec_lo, s3
	s_cbranch_execnz .LBB0_76
.LBB0_77:
	s_set_inst_prefetch_distance 0x2
	s_or_b32 exec_lo, exec_lo, s2
                                        ; implicit-def: $vgpr1
.LBB0_78:
	s_or_saveexec_b32 s0, s0
	v_lshlrev_b32_e32 v6, 2, v0
	s_xor_b32 exec_lo, exec_lo, s0
	s_cbranch_execz .LBB0_80
; %bb.79:
	v_ashrrev_i32_e32 v2, 31, v1
	s_delay_alu instid0(VALU_DEP_1) | instskip(NEXT) | instid1(VALU_DEP_1)
	v_lshlrev_b64 v[1:2], 2, v[1:2]
	v_add_co_u32 v3, vcc_lo, s14, v1
	s_delay_alu instid0(VALU_DEP_2)
	v_add_co_ci_u32_e32 v4, vcc_lo, s15, v2, vcc_lo
	v_add_co_u32 v1, vcc_lo, s16, v1
	v_add_co_ci_u32_e32 v2, vcc_lo, s17, v2, vcc_lo
	s_clause 0x3
	global_load_b32 v5, v[3:4], off
	global_load_b32 v7, v[3:4], off offset:1024
	global_load_b32 v8, v[3:4], off offset:2048
	;; [unrolled: 1-line block ×3, first 2 shown]
	s_waitcnt vmcnt(3)
	v_subrev_nc_u32_e32 v3, s30, v5
	s_waitcnt vmcnt(2)
	v_subrev_nc_u32_e32 v7, s30, v7
	;; [unrolled: 2-line block ×4, first 2 shown]
	s_clause 0x3
	global_load_b32 v5, v[1:2], off
	global_load_b32 v13, v[1:2], off offset:1024
	global_load_b32 v14, v[1:2], off offset:2048
	;; [unrolled: 1-line block ×3, first 2 shown]
	v_ashrrev_i32_e32 v4, 31, v3
	v_ashrrev_i32_e32 v8, 31, v7
	;; [unrolled: 1-line block ×4, first 2 shown]
	s_delay_alu instid0(VALU_DEP_4) | instskip(NEXT) | instid1(VALU_DEP_4)
	v_lshlrev_b64 v[3:4], 2, v[3:4]
	v_lshlrev_b64 v[1:2], 2, v[7:8]
	s_delay_alu instid0(VALU_DEP_4) | instskip(NEXT) | instid1(VALU_DEP_4)
	v_lshlrev_b64 v[7:8], 2, v[9:10]
	v_lshlrev_b64 v[9:10], 2, v[11:12]
	s_delay_alu instid0(VALU_DEP_4)
	v_add_co_u32 v3, vcc_lo, s18, v3
	v_add_co_ci_u32_e32 v4, vcc_lo, s19, v4, vcc_lo
	v_add_co_u32 v1, vcc_lo, s18, v1
	v_add_co_ci_u32_e32 v2, vcc_lo, s19, v2, vcc_lo
	;; [unrolled: 2-line block ×4, first 2 shown]
	s_clause 0x3
	global_load_b32 v3, v[3:4], off
	global_load_b32 v1, v[1:2], off
	;; [unrolled: 1-line block ×4, first 2 shown]
	s_waitcnt vmcnt(5)
	v_dual_mul_f32 v5, s28, v5 :: v_dual_mul_f32 v8, s28, v14
	v_mul_f32_e32 v7, s28, v13
	s_waitcnt vmcnt(4)
	v_mul_f32_e32 v9, s28, v15
	s_waitcnt vmcnt(1)
	v_dual_mul_f32 v3, v5, v3 :: v_dual_mul_f32 v2, v8, v2
	s_waitcnt vmcnt(0)
	s_delay_alu instid0(VALU_DEP_2)
	v_dual_mul_f32 v1, v7, v1 :: v_dual_mul_f32 v4, v9, v4
	ds_store_2addr_stride64_b32 v6, v3, v1 offset1:4
	ds_store_2addr_stride64_b32 v6, v2, v4 offset0:8 offset1:12
.LBB0_80:
	s_or_b32 exec_lo, exec_lo, s0
	s_cmp_lt_i32 s11, 2
	s_mov_b32 s0, -1
	s_waitcnt lgkmcnt(0)
	s_waitcnt_vscnt null, 0x0
	s_barrier
	buffer_gl0_inv
	s_cbranch_scc0 .LBB0_91
; %bb.81:
	v_add_nc_u32_e32 v1, s24, v0
	s_mov_b32 s1, exec_lo
	s_delay_alu instid0(VALU_DEP_1)
	v_cmpx_gt_i32_e64 s25, v1
	s_cbranch_execz .LBB0_90
; %bb.82:
	v_cmp_neq_f32_e64 s2, s20, 0
	s_lshl_b32 s0, s21, 2
	s_mov_b32 s3, 0
	s_sub_i32 s4, 0, s0
	s_branch .LBB0_84
.LBB0_83:                               ;   in Loop: Header=BB0_84 Depth=1
	v_add_nc_u32_e32 v1, 0x100, v1
	v_add_co_u32 v2, s0, s22, v2
	s_delay_alu instid0(VALU_DEP_1) | instskip(NEXT) | instid1(VALU_DEP_3)
	v_add_co_ci_u32_e64 v3, s0, s23, v3, s0
	v_cmp_le_i32_e32 vcc_lo, s25, v1
	global_store_b32 v[2:3], v7, off
	s_or_b32 s3, vcc_lo, s3
	s_delay_alu instid0(SALU_CYCLE_1)
	s_and_not1_b32 exec_lo, exec_lo, s3
	s_cbranch_execz .LBB0_90
.LBB0_84:                               ; =>This Loop Header: Depth=1
                                        ;     Child Loop BB0_86 Depth 2
	v_ashrrev_i32_e32 v2, 31, v1
	v_mov_b32_e32 v7, 0
	s_mov_b32 s0, exec_lo
	s_delay_alu instid0(VALU_DEP_2) | instskip(NEXT) | instid1(VALU_DEP_1)
	v_lshlrev_b64 v[2:3], 2, v[1:2]
	v_add_co_u32 v4, vcc_lo, s12, v2
	s_delay_alu instid0(VALU_DEP_2)
	v_add_co_ci_u32_e32 v5, vcc_lo, s13, v3, vcc_lo
	global_load_b64 v[4:5], v[4:5], off
	s_waitcnt vmcnt(0)
	v_cmpx_lt_i32_e64 v4, v5
	s_cbranch_execz .LBB0_88
; %bb.85:                               ;   in Loop: Header=BB0_84 Depth=1
	v_subrev_nc_u32_e32 v5, s21, v5
	v_subrev_nc_u32_e32 v8, s21, v4
	v_lshl_add_u32 v4, v4, 2, s4
	v_mov_b32_e32 v7, 0
	s_mov_b32 s5, 0
.LBB0_86:                               ;   Parent Loop BB0_84 Depth=1
                                        ; =>  This Inner Loop Header: Depth=2
	ds_load_b32 v9, v4
	v_add_nc_u32_e32 v8, 1, v8
	s_waitcnt lgkmcnt(0)
	v_dual_add_f32 v7, v7, v9 :: v_dual_add_nc_u32 v4, 4, v4
	s_delay_alu instid0(VALU_DEP_2) | instskip(SKIP_1) | instid1(SALU_CYCLE_1)
	v_cmp_ge_i32_e32 vcc_lo, v8, v5
	s_or_b32 s5, vcc_lo, s5
	s_and_not1_b32 exec_lo, exec_lo, s5
	s_cbranch_execnz .LBB0_86
; %bb.87:                               ;   in Loop: Header=BB0_84 Depth=1
	s_or_b32 exec_lo, exec_lo, s5
.LBB0_88:                               ;   in Loop: Header=BB0_84 Depth=1
	s_delay_alu instid0(SALU_CYCLE_1) | instskip(NEXT) | instid1(SALU_CYCLE_1)
	s_or_b32 exec_lo, exec_lo, s0
	s_and_b32 vcc_lo, exec_lo, s2
	s_cbranch_vccz .LBB0_83
; %bb.89:                               ;   in Loop: Header=BB0_84 Depth=1
	v_add_co_u32 v4, vcc_lo, s22, v2
	v_add_co_ci_u32_e32 v5, vcc_lo, s23, v3, vcc_lo
	global_load_b32 v4, v[4:5], off
	s_waitcnt vmcnt(0)
	v_fmac_f32_e32 v7, s20, v4
	s_branch .LBB0_83
.LBB0_90:
	s_or_b32 exec_lo, exec_lo, s1
	s_mov_b32 s0, 0
.LBB0_91:
	s_delay_alu instid0(SALU_CYCLE_1)
	s_and_not1_b32 vcc_lo, exec_lo, s0
	s_cbranch_vccnz .LBB0_116
; %bb.92:
	s_clz_i32_u32 s0, s11
	s_mov_b32 s1, exec_lo
	s_xor_b32 s0, s0, 31
	v_mov_b32_e32 v2, 0
	v_lshrrev_b32_e32 v3, s0, v0
	s_add_i32 s0, s11, -1
	s_delay_alu instid0(SALU_CYCLE_1) | instskip(NEXT) | instid1(VALU_DEP_2)
	v_and_b32_e32 v0, s0, v0
	v_add_nc_u32_e32 v1, s24, v3
	s_delay_alu instid0(VALU_DEP_1)
	v_cmp_le_i32_e32 vcc_lo, s25, v1
	v_cmpx_gt_i32_e64 s25, v1
	s_cbranch_execz .LBB0_98
; %bb.93:
	v_lshlrev_b32_e32 v2, 2, v3
	v_subrev_nc_u32_e32 v4, s21, v0
	s_mov_b32 s2, exec_lo
	global_load_b64 v[2:3], v2, s[26:27]
	s_waitcnt vmcnt(0)
	v_subrev_nc_u32_e32 v3, s21, v3
	v_add_nc_u32_e32 v4, v2, v4
	v_mov_b32_e32 v2, 0
	s_delay_alu instid0(VALU_DEP_2)
	v_cmpx_lt_i32_e64 v4, v3
	s_cbranch_execz .LBB0_97
; %bb.94:
	v_dual_mov_b32 v2, 0 :: v_dual_lshlrev_b32 v5, 2, v4
	s_lshl_b32 s4, s11, 2
	s_mov_b32 s3, 0
.LBB0_95:                               ; =>This Inner Loop Header: Depth=1
	ds_load_b32 v7, v5
	v_add_nc_u32_e32 v4, s11, v4
	v_add_nc_u32_e32 v5, s4, v5
	s_delay_alu instid0(VALU_DEP_2) | instskip(NEXT) | instid1(VALU_DEP_1)
	v_cmp_ge_i32_e64 s0, v4, v3
	s_or_b32 s3, s0, s3
	s_waitcnt lgkmcnt(0)
	v_add_f32_e32 v2, v2, v7
	s_and_not1_b32 exec_lo, exec_lo, s3
	s_cbranch_execnz .LBB0_95
; %bb.96:
	s_or_b32 exec_lo, exec_lo, s3
.LBB0_97:
	s_delay_alu instid0(SALU_CYCLE_1)
	s_or_b32 exec_lo, exec_lo, s2
.LBB0_98:
	s_delay_alu instid0(SALU_CYCLE_1)
	s_or_b32 exec_lo, exec_lo, s1
	s_cmpk_lt_i32 s11, 0x81
	s_waitcnt_vscnt null, 0x0
	s_barrier
	buffer_gl0_inv
	ds_store_b32 v6, v2
	s_waitcnt lgkmcnt(0)
	s_barrier
	buffer_gl0_inv
	s_cbranch_scc1 .LBB0_100
; %bb.99:
	ds_load_b32 v3, v6 offset:512
	s_waitcnt lgkmcnt(0)
	s_barrier
	buffer_gl0_inv
	v_add_f32_e32 v2, v2, v3
	ds_store_b32 v6, v2
.LBB0_100:
	s_cmpk_lt_i32 s11, 0x41
	s_waitcnt lgkmcnt(0)
	s_barrier
	buffer_gl0_inv
	s_cbranch_scc1 .LBB0_102
; %bb.101:
	ds_load_b32 v3, v6 offset:256
	s_waitcnt lgkmcnt(0)
	s_barrier
	buffer_gl0_inv
	v_add_f32_e32 v2, v2, v3
	ds_store_b32 v6, v2
.LBB0_102:
	s_cmp_lt_i32 s11, 33
	s_waitcnt lgkmcnt(0)
	s_barrier
	buffer_gl0_inv
	s_cbranch_scc1 .LBB0_104
; %bb.103:
	ds_load_b32 v3, v6 offset:128
	s_waitcnt lgkmcnt(0)
	s_barrier
	buffer_gl0_inv
	v_add_f32_e32 v2, v2, v3
	ds_store_b32 v6, v2
.LBB0_104:
	s_cmp_lt_i32 s11, 17
	;; [unrolled: 13-line block ×4, first 2 shown]
	s_waitcnt lgkmcnt(0)
	s_barrier
	buffer_gl0_inv
	s_cbranch_scc1 .LBB0_110
; %bb.109:
	ds_load_b32 v3, v6 offset:16
	s_waitcnt lgkmcnt(0)
	s_barrier
	buffer_gl0_inv
	v_add_f32_e32 v2, v2, v3
	ds_store_b32 v6, v2
.LBB0_110:
	s_cmp_eq_u32 s11, 2
	s_waitcnt lgkmcnt(0)
	s_barrier
	buffer_gl0_inv
	s_cbranch_scc1 .LBB0_112
; %bb.111:
	ds_load_b32 v3, v6 offset:8
	s_waitcnt lgkmcnt(0)
	s_barrier
	buffer_gl0_inv
	v_add_f32_e32 v2, v2, v3
	ds_store_b32 v6, v2
.LBB0_112:
	s_waitcnt lgkmcnt(0)
	s_barrier
	buffer_gl0_inv
	ds_load_b32 v3, v6 offset:4
	v_cmp_eq_u32_e64 s0, 0, v0
	s_xor_b32 s1, vcc_lo, -1
	s_waitcnt lgkmcnt(0)
	s_barrier
	buffer_gl0_inv
	s_and_b32 s0, s0, s1
	v_add_f32_e32 v3, v2, v3
	ds_store_b32 v6, v3
	s_and_saveexec_b32 s1, s0
	s_cbranch_execz .LBB0_116
; %bb.113:
	v_ashrrev_i32_e32 v2, 31, v1
	v_cmp_eq_f32_e64 s0, s20, 0
	s_delay_alu instid0(VALU_DEP_2) | instskip(NEXT) | instid1(VALU_DEP_2)
	v_lshlrev_b64 v[0:1], 2, v[1:2]
	s_and_b32 vcc_lo, exec_lo, s0
	s_cbranch_vccnz .LBB0_115
; %bb.114:
	s_delay_alu instid0(VALU_DEP_1) | instskip(NEXT) | instid1(VALU_DEP_2)
	v_add_co_u32 v4, vcc_lo, s22, v0
	v_add_co_ci_u32_e32 v5, vcc_lo, s23, v1, vcc_lo
	global_load_b32 v2, v[4:5], off
	s_waitcnt vmcnt(0)
	v_fmac_f32_e32 v3, s20, v2
.LBB0_115:
	s_delay_alu instid0(VALU_DEP_1) | instskip(NEXT) | instid1(VALU_DEP_2)
	v_add_co_u32 v0, vcc_lo, s22, v0
	v_add_co_ci_u32_e32 v1, vcc_lo, s23, v1, vcc_lo
	global_store_b32 v[0:1], v3, off
.LBB0_116:
	s_nop 0
	s_sendmsg sendmsg(MSG_DEALLOC_VGPRS)
	s_endpgm
	.section	.rodata,"a",@progbits
	.p2align	6, 0x0
	.amdhsa_kernel _ZN9rocsparseL22csrmvn_adaptive_kernelIiiffffEEvbT_PKS1_PjPKT0_NS_24const_host_device_scalarIT4_EES3_S7_PKT1_PKT2_SA_PT3_21rocsparse_index_base_b
		.amdhsa_group_segment_fixed_size 4096
		.amdhsa_private_segment_fixed_size 0
		.amdhsa_kernarg_size 96
		.amdhsa_user_sgpr_count 15
		.amdhsa_user_sgpr_dispatch_ptr 0
		.amdhsa_user_sgpr_queue_ptr 0
		.amdhsa_user_sgpr_kernarg_segment_ptr 1
		.amdhsa_user_sgpr_dispatch_id 0
		.amdhsa_user_sgpr_private_segment_size 0
		.amdhsa_wavefront_size32 1
		.amdhsa_uses_dynamic_stack 0
		.amdhsa_enable_private_segment 0
		.amdhsa_system_sgpr_workgroup_id_x 1
		.amdhsa_system_sgpr_workgroup_id_y 0
		.amdhsa_system_sgpr_workgroup_id_z 0
		.amdhsa_system_sgpr_workgroup_info 0
		.amdhsa_system_vgpr_workitem_id 0
		.amdhsa_next_free_vgpr 16
		.amdhsa_next_free_sgpr 46
		.amdhsa_reserve_vcc 1
		.amdhsa_float_round_mode_32 0
		.amdhsa_float_round_mode_16_64 0
		.amdhsa_float_denorm_mode_32 3
		.amdhsa_float_denorm_mode_16_64 3
		.amdhsa_dx10_clamp 1
		.amdhsa_ieee_mode 1
		.amdhsa_fp16_overflow 0
		.amdhsa_workgroup_processor_mode 1
		.amdhsa_memory_ordered 1
		.amdhsa_forward_progress 0
		.amdhsa_shared_vgpr_count 0
		.amdhsa_exception_fp_ieee_invalid_op 0
		.amdhsa_exception_fp_denorm_src 0
		.amdhsa_exception_fp_ieee_div_zero 0
		.amdhsa_exception_fp_ieee_overflow 0
		.amdhsa_exception_fp_ieee_underflow 0
		.amdhsa_exception_fp_ieee_inexact 0
		.amdhsa_exception_int_div_zero 0
	.end_amdhsa_kernel
	.section	.text._ZN9rocsparseL22csrmvn_adaptive_kernelIiiffffEEvbT_PKS1_PjPKT0_NS_24const_host_device_scalarIT4_EES3_S7_PKT1_PKT2_SA_PT3_21rocsparse_index_base_b,"axG",@progbits,_ZN9rocsparseL22csrmvn_adaptive_kernelIiiffffEEvbT_PKS1_PjPKT0_NS_24const_host_device_scalarIT4_EES3_S7_PKT1_PKT2_SA_PT3_21rocsparse_index_base_b,comdat
.Lfunc_end0:
	.size	_ZN9rocsparseL22csrmvn_adaptive_kernelIiiffffEEvbT_PKS1_PjPKT0_NS_24const_host_device_scalarIT4_EES3_S7_PKT1_PKT2_SA_PT3_21rocsparse_index_base_b, .Lfunc_end0-_ZN9rocsparseL22csrmvn_adaptive_kernelIiiffffEEvbT_PKS1_PjPKT0_NS_24const_host_device_scalarIT4_EES3_S7_PKT1_PKT2_SA_PT3_21rocsparse_index_base_b
                                        ; -- End function
	.section	.AMDGPU.csdata,"",@progbits
; Kernel info:
; codeLenInByte = 4312
; NumSgprs: 48
; NumVgprs: 16
; ScratchSize: 0
; MemoryBound: 0
; FloatMode: 240
; IeeeMode: 1
; LDSByteSize: 4096 bytes/workgroup (compile time only)
; SGPRBlocks: 5
; VGPRBlocks: 1
; NumSGPRsForWavesPerEU: 48
; NumVGPRsForWavesPerEU: 16
; Occupancy: 16
; WaveLimiterHint : 1
; COMPUTE_PGM_RSRC2:SCRATCH_EN: 0
; COMPUTE_PGM_RSRC2:USER_SGPR: 15
; COMPUTE_PGM_RSRC2:TRAP_HANDLER: 0
; COMPUTE_PGM_RSRC2:TGID_X_EN: 1
; COMPUTE_PGM_RSRC2:TGID_Y_EN: 0
; COMPUTE_PGM_RSRC2:TGID_Z_EN: 0
; COMPUTE_PGM_RSRC2:TIDIG_COMP_CNT: 0
	.section	.text._ZN9rocsparseL22partial_scale_y_kernelIiffEEvT_S1_S1_NS_24const_host_device_scalarIT1_EEPT0_b,"axG",@progbits,_ZN9rocsparseL22partial_scale_y_kernelIiffEEvT_S1_S1_NS_24const_host_device_scalarIT1_EEPT0_b,comdat
	.globl	_ZN9rocsparseL22partial_scale_y_kernelIiffEEvT_S1_S1_NS_24const_host_device_scalarIT1_EEPT0_b ; -- Begin function _ZN9rocsparseL22partial_scale_y_kernelIiffEEvT_S1_S1_NS_24const_host_device_scalarIT1_EEPT0_b
	.p2align	8
	.type	_ZN9rocsparseL22partial_scale_y_kernelIiffEEvT_S1_S1_NS_24const_host_device_scalarIT1_EEPT0_b,@function
_ZN9rocsparseL22partial_scale_y_kernelIiffEEvT_S1_S1_NS_24const_host_device_scalarIT1_EEPT0_b: ; @_ZN9rocsparseL22partial_scale_y_kernelIiffEEvT_S1_S1_NS_24const_host_device_scalarIT1_EEPT0_b
; %bb.0:
	s_clause 0x1
	s_load_b32 s4, s[0:1], 0x20
	s_load_b64 s[2:3], s[0:1], 0x10
	s_waitcnt lgkmcnt(0)
	s_bitcmp1_b32 s4, 0
	s_cselect_b32 s4, -1, 0
	s_delay_alu instid0(SALU_CYCLE_1)
	s_and_b32 vcc_lo, exec_lo, s4
	s_cbranch_vccnz .LBB1_2
; %bb.1:
	s_load_b32 s2, s[2:3], 0x0
.LBB1_2:
	s_waitcnt lgkmcnt(0)
	v_cmp_eq_f32_e64 s3, s2, 1.0
	s_delay_alu instid0(VALU_DEP_1)
	s_and_b32 vcc_lo, exec_lo, s3
	s_cbranch_vccnz .LBB1_12
; %bb.3:
	s_load_b128 s[4:7], s[0:1], 0x0
	v_lshl_or_b32 v0, s15, 8, v0
	s_waitcnt lgkmcnt(0)
	s_add_i32 s3, s5, s4
	s_delay_alu instid0(SALU_CYCLE_1)
	s_sub_i32 s3, s3, s6
	s_delay_alu instid0(VALU_DEP_1) | instid1(SALU_CYCLE_1)
	v_cmp_gt_i32_e32 vcc_lo, s3, v0
	s_and_saveexec_b32 s3, vcc_lo
	s_cbranch_execz .LBB1_12
; %bb.4:
	s_load_b64 s[0:1], s[0:1], 0x18
	v_cmp_neq_f32_e64 s3, s2, 0
	s_mov_b32 s4, exec_lo
	v_cmpx_le_i32_e64 s5, v0
	s_xor_b32 s4, exec_lo, s4
	s_cbranch_execz .LBB1_8
; %bb.5:
	v_subrev_nc_u32_e32 v0, s5, v0
	s_delay_alu instid0(VALU_DEP_1) | instskip(NEXT) | instid1(VALU_DEP_1)
	v_add_nc_u32_e32 v0, s6, v0
	v_ashrrev_i32_e32 v1, 31, v0
	s_delay_alu instid0(VALU_DEP_1) | instskip(SKIP_1) | instid1(VALU_DEP_1)
	v_lshlrev_b64 v[1:2], 2, v[0:1]
	s_waitcnt lgkmcnt(0)
	v_add_co_u32 v1, vcc_lo, s0, v1
	s_delay_alu instid0(VALU_DEP_2)
	v_add_co_ci_u32_e32 v2, vcc_lo, s1, v2, vcc_lo
	s_and_b32 vcc_lo, exec_lo, s3
	s_cbranch_vccz .LBB1_13
; %bb.6:
	global_load_b32 v0, v[1:2], off
	s_waitcnt vmcnt(0)
	v_mul_f32_e32 v0, s2, v0
	global_store_b32 v[1:2], v0, off
                                        ; implicit-def: $vgpr0
	s_cbranch_execnz .LBB1_8
.LBB1_7:
	v_mov_b32_e32 v0, 0
	global_store_b32 v[1:2], v0, off
                                        ; implicit-def: $vgpr0
.LBB1_8:
	s_and_not1_saveexec_b32 s4, s4
	s_cbranch_execz .LBB1_12
; %bb.9:
	v_ashrrev_i32_e32 v1, 31, v0
	s_delay_alu instid0(VALU_DEP_1) | instskip(SKIP_1) | instid1(VALU_DEP_1)
	v_lshlrev_b64 v[0:1], 2, v[0:1]
	s_waitcnt lgkmcnt(0)
	v_add_co_u32 v0, vcc_lo, s0, v0
	s_delay_alu instid0(VALU_DEP_2)
	v_add_co_ci_u32_e32 v1, vcc_lo, s1, v1, vcc_lo
	s_and_b32 vcc_lo, exec_lo, s3
	s_cbranch_vccz .LBB1_14
; %bb.10:
	global_load_b32 v2, v[0:1], off
	s_waitcnt vmcnt(0)
	v_mul_f32_e32 v2, s2, v2
	global_store_b32 v[0:1], v2, off
	s_cbranch_execnz .LBB1_12
.LBB1_11:
	v_mov_b32_e32 v2, 0
	global_store_b32 v[0:1], v2, off
.LBB1_12:
	s_nop 0
	s_sendmsg sendmsg(MSG_DEALLOC_VGPRS)
	s_endpgm
.LBB1_13:
                                        ; implicit-def: $vgpr0
	s_branch .LBB1_7
.LBB1_14:
	s_branch .LBB1_11
	.section	.rodata,"a",@progbits
	.p2align	6, 0x0
	.amdhsa_kernel _ZN9rocsparseL22partial_scale_y_kernelIiffEEvT_S1_S1_NS_24const_host_device_scalarIT1_EEPT0_b
		.amdhsa_group_segment_fixed_size 0
		.amdhsa_private_segment_fixed_size 0
		.amdhsa_kernarg_size 36
		.amdhsa_user_sgpr_count 15
		.amdhsa_user_sgpr_dispatch_ptr 0
		.amdhsa_user_sgpr_queue_ptr 0
		.amdhsa_user_sgpr_kernarg_segment_ptr 1
		.amdhsa_user_sgpr_dispatch_id 0
		.amdhsa_user_sgpr_private_segment_size 0
		.amdhsa_wavefront_size32 1
		.amdhsa_uses_dynamic_stack 0
		.amdhsa_enable_private_segment 0
		.amdhsa_system_sgpr_workgroup_id_x 1
		.amdhsa_system_sgpr_workgroup_id_y 0
		.amdhsa_system_sgpr_workgroup_id_z 0
		.amdhsa_system_sgpr_workgroup_info 0
		.amdhsa_system_vgpr_workitem_id 0
		.amdhsa_next_free_vgpr 3
		.amdhsa_next_free_sgpr 16
		.amdhsa_reserve_vcc 1
		.amdhsa_float_round_mode_32 0
		.amdhsa_float_round_mode_16_64 0
		.amdhsa_float_denorm_mode_32 3
		.amdhsa_float_denorm_mode_16_64 3
		.amdhsa_dx10_clamp 1
		.amdhsa_ieee_mode 1
		.amdhsa_fp16_overflow 0
		.amdhsa_workgroup_processor_mode 1
		.amdhsa_memory_ordered 1
		.amdhsa_forward_progress 0
		.amdhsa_shared_vgpr_count 0
		.amdhsa_exception_fp_ieee_invalid_op 0
		.amdhsa_exception_fp_denorm_src 0
		.amdhsa_exception_fp_ieee_div_zero 0
		.amdhsa_exception_fp_ieee_overflow 0
		.amdhsa_exception_fp_ieee_underflow 0
		.amdhsa_exception_fp_ieee_inexact 0
		.amdhsa_exception_int_div_zero 0
	.end_amdhsa_kernel
	.section	.text._ZN9rocsparseL22partial_scale_y_kernelIiffEEvT_S1_S1_NS_24const_host_device_scalarIT1_EEPT0_b,"axG",@progbits,_ZN9rocsparseL22partial_scale_y_kernelIiffEEvT_S1_S1_NS_24const_host_device_scalarIT1_EEPT0_b,comdat
.Lfunc_end1:
	.size	_ZN9rocsparseL22partial_scale_y_kernelIiffEEvT_S1_S1_NS_24const_host_device_scalarIT1_EEPT0_b, .Lfunc_end1-_ZN9rocsparseL22partial_scale_y_kernelIiffEEvT_S1_S1_NS_24const_host_device_scalarIT1_EEPT0_b
                                        ; -- End function
	.section	.AMDGPU.csdata,"",@progbits
; Kernel info:
; codeLenInByte = 368
; NumSgprs: 18
; NumVgprs: 3
; ScratchSize: 0
; MemoryBound: 0
; FloatMode: 240
; IeeeMode: 1
; LDSByteSize: 0 bytes/workgroup (compile time only)
; SGPRBlocks: 2
; VGPRBlocks: 0
; NumSGPRsForWavesPerEU: 18
; NumVGPRsForWavesPerEU: 3
; Occupancy: 16
; WaveLimiterHint : 0
; COMPUTE_PGM_RSRC2:SCRATCH_EN: 0
; COMPUTE_PGM_RSRC2:USER_SGPR: 15
; COMPUTE_PGM_RSRC2:TRAP_HANDLER: 0
; COMPUTE_PGM_RSRC2:TGID_X_EN: 1
; COMPUTE_PGM_RSRC2:TGID_Y_EN: 0
; COMPUTE_PGM_RSRC2:TGID_Z_EN: 0
; COMPUTE_PGM_RSRC2:TIDIG_COMP_CNT: 0
	.section	.text._ZN9rocsparseL27csrmvn_symm_adaptive_kernelIiiffffEEvbT_S1_PKS1_NS_24const_host_device_scalarIT4_EES3_PKT0_PKT1_PKT2_S6_PT3_21rocsparse_index_base_b,"axG",@progbits,_ZN9rocsparseL27csrmvn_symm_adaptive_kernelIiiffffEEvbT_S1_PKS1_NS_24const_host_device_scalarIT4_EES3_PKT0_PKT1_PKT2_S6_PT3_21rocsparse_index_base_b,comdat
	.globl	_ZN9rocsparseL27csrmvn_symm_adaptive_kernelIiiffffEEvbT_S1_PKS1_NS_24const_host_device_scalarIT4_EES3_PKT0_PKT1_PKT2_S6_PT3_21rocsparse_index_base_b ; -- Begin function _ZN9rocsparseL27csrmvn_symm_adaptive_kernelIiiffffEEvbT_S1_PKS1_NS_24const_host_device_scalarIT4_EES3_PKT0_PKT1_PKT2_S6_PT3_21rocsparse_index_base_b
	.p2align	8
	.type	_ZN9rocsparseL27csrmvn_symm_adaptive_kernelIiiffffEEvbT_S1_PKS1_NS_24const_host_device_scalarIT4_EES3_PKT0_PKT1_PKT2_S6_PT3_21rocsparse_index_base_b,@function
_ZN9rocsparseL27csrmvn_symm_adaptive_kernelIiiffffEEvbT_S1_PKS1_NS_24const_host_device_scalarIT4_EES3_PKT0_PKT1_PKT2_S6_PT3_21rocsparse_index_base_b: ; @_ZN9rocsparseL27csrmvn_symm_adaptive_kernelIiiffffEEvbT_S1_PKS1_NS_24const_host_device_scalarIT4_EES3_PKT0_PKT1_PKT2_S6_PT3_21rocsparse_index_base_b
; %bb.0:
	s_clause 0x2
	s_load_b64 s[20:21], s[0:1], 0x50
	s_load_b64 s[22:23], s[0:1], 0x18
	;; [unrolled: 1-line block ×3, first 2 shown]
	s_mov_b32 s2, s15
	s_waitcnt lgkmcnt(0)
	s_bitcmp1_b32 s21, 0
	s_cselect_b32 s3, -1, 0
	s_delay_alu instid0(SALU_CYCLE_1)
	s_and_b32 vcc_lo, exec_lo, s3
	s_xor_b32 s3, s3, -1
	s_cbranch_vccnz .LBB2_2
; %bb.1:
	s_load_b32 s22, s[22:23], 0x0
.LBB2_2:
	s_and_not1_b32 vcc_lo, exec_lo, s3
	s_cbranch_vccnz .LBB2_4
; %bb.3:
	s_load_b32 s4, s[4:5], 0x0
.LBB2_4:
	s_waitcnt lgkmcnt(0)
	v_cmp_neq_f32_e64 s3, s22, 0
	v_cmp_neq_f32_e64 s4, s4, 1.0
	s_delay_alu instid0(VALU_DEP_1) | instskip(NEXT) | instid1(SALU_CYCLE_1)
	s_or_b32 s3, s3, s4
	s_and_not1_b32 vcc_lo, exec_lo, s3
	s_cbranch_vccnz .LBB2_177
; %bb.5:
	s_load_b64 s[4:5], s[0:1], 0x10
	s_ashr_i32 s3, s2, 31
	v_lshlrev_b32_e32 v9, 2, v0
	v_mov_b32_e32 v1, 0
	s_lshl_b64 s[2:3], s[2:3], 2
	ds_store_2addr_stride64_b32 v9, v1, v1 offset1:4
	ds_store_2addr_stride64_b32 v9, v1, v1 offset0:8 offset1:12
	s_waitcnt lgkmcnt(0)
	s_barrier
	buffer_gl0_inv
	v_subrev_nc_u32_e32 v8, s20, v0
	s_add_u32 s2, s4, s2
	s_addc_u32 s3, s5, s3
	s_load_b64 s[18:19], s[2:3], 0x0
	s_clause 0x1
	s_load_b256 s[8:15], s[0:1], 0x20
	s_load_b64 s[16:17], s[0:1], 0x48
	s_mov_b32 s2, -1
	s_waitcnt lgkmcnt(0)
	s_sub_i32 s21, s19, s18
	s_delay_alu instid0(SALU_CYCLE_1)
	s_cmp_gt_i32 s21, 2
	s_cbranch_scc1 .LBB2_40
; %bb.6:
	s_cmp_gt_i32 s19, s18
	s_cbranch_scc1 .LBB2_8
; %bb.7:
	s_ashr_i32 s3, s18, 31
	s_mov_b32 s2, s18
	s_delay_alu instid0(SALU_CYCLE_1) | instskip(NEXT) | instid1(SALU_CYCLE_1)
	s_lshl_b64 s[2:3], s[2:3], 2
	s_add_u32 s2, s8, s2
	s_addc_u32 s3, s9, s3
	s_load_b32 s23, s[2:3], 0x0
	s_cbranch_execz .LBB2_9
	s_branch .LBB2_29
.LBB2_8:
                                        ; implicit-def: $sgpr23
	s_and_not1_b32 vcc_lo, exec_lo, s2
	s_cbranch_vccnz .LBB2_29
.LBB2_9:
	s_ashr_i32 s3, s18, 31
	s_mov_b32 s2, s18
	v_cmp_gt_u32_e32 vcc_lo, 0x100, v0
	s_lshl_b64 s[2:3], s[2:3], 2
	v_cmp_gt_u32_e64 s4, 4, v0
	s_add_u32 s2, s8, s2
	s_addc_u32 s3, s9, s3
	v_cmp_eq_u32_e64 s5, 0, v0
	s_waitcnt lgkmcnt(0)
	s_load_b32 s23, s[2:3], 0x0
	v_cmp_gt_u32_e64 s2, 64, v0
	v_cmp_gt_u32_e64 s3, 16, v0
	v_mov_b32_e32 v6, 0
	s_add_u32 s28, s8, 4
	s_addc_u32 s29, s9, 0
	s_mov_b32 s24, s18
	s_waitcnt lgkmcnt(0)
	s_mov_b32 s30, s23
	s_branch .LBB2_11
.LBB2_10:                               ;   in Loop: Header=BB2_11 Depth=1
	s_or_b32 exec_lo, exec_lo, s7
	s_add_i32 s24, s24, 1
	s_delay_alu instid0(SALU_CYCLE_1)
	s_cmp_ge_i32 s24, s19
	s_cbranch_scc1 .LBB2_29
.LBB2_11:                               ; =>This Loop Header: Depth=1
                                        ;     Child Loop BB2_13 Depth 2
                                        ;     Child Loop BB2_28 Depth 2
	s_ashr_i32 s25, s24, 31
	v_mov_b32_e32 v7, 0
	s_lshl_b64 s[26:27], s[24:25], 2
	s_mov_b32 s25, s30
	s_add_u32 s6, s28, s26
	s_addc_u32 s7, s29, s27
	v_add_nc_u32_e32 v1, s25, v8
	s_load_b32 s30, s[6:7], 0x0
	s_mov_b32 s25, exec_lo
	s_waitcnt lgkmcnt(0)
	s_sub_i32 s31, s30, s20
	s_delay_alu instid0(SALU_CYCLE_1)
	v_cmpx_gt_i32_e64 s31, v1
	s_cbranch_execz .LBB2_15
; %bb.12:                               ;   in Loop: Header=BB2_11 Depth=1
	v_ashrrev_i32_e32 v2, 31, v1
	v_mov_b32_e32 v7, 0
	s_mov_b32 s33, 0
	s_delay_alu instid0(VALU_DEP_2) | instskip(NEXT) | instid1(VALU_DEP_1)
	v_lshlrev_b64 v[4:5], 2, v[1:2]
	v_add_co_u32 v2, s6, s10, v4
	s_delay_alu instid0(VALU_DEP_1) | instskip(SKIP_1) | instid1(VALU_DEP_1)
	v_add_co_ci_u32_e64 v3, s6, s11, v5, s6
	v_add_co_u32 v4, s6, s12, v4
	v_add_co_ci_u32_e64 v5, s6, s13, v5, s6
	.p2align	6
.LBB2_13:                               ;   Parent Loop BB2_11 Depth=1
                                        ; =>  This Inner Loop Header: Depth=2
	global_load_b32 v10, v[2:3], off
	v_add_nc_u32_e32 v1, 0x100, v1
	s_delay_alu instid0(VALU_DEP_1) | instskip(NEXT) | instid1(VALU_DEP_1)
	v_cmp_le_i32_e64 s7, s31, v1
	s_or_b32 s33, s7, s33
	s_waitcnt vmcnt(0)
	v_subrev_nc_u32_e32 v10, s20, v10
	s_delay_alu instid0(VALU_DEP_1) | instskip(NEXT) | instid1(VALU_DEP_1)
	v_ashrrev_i32_e32 v11, 31, v10
	v_lshlrev_b64 v[10:11], 2, v[10:11]
	s_delay_alu instid0(VALU_DEP_1) | instskip(NEXT) | instid1(VALU_DEP_1)
	v_add_co_u32 v10, s6, s14, v10
	v_add_co_ci_u32_e64 v11, s6, s15, v11, s6
	v_add_co_u32 v2, s6, 0x400, v2
	global_load_b32 v12, v[4:5], off
	global_load_b32 v10, v[10:11], off
	v_add_co_ci_u32_e64 v3, s6, 0, v3, s6
	v_add_co_u32 v4, s6, 0x400, v4
	s_delay_alu instid0(VALU_DEP_1)
	v_add_co_ci_u32_e64 v5, s6, 0, v5, s6
	s_waitcnt vmcnt(0)
	v_fmac_f32_e32 v7, v12, v10
	s_and_not1_b32 exec_lo, exec_lo, s33
	s_cbranch_execnz .LBB2_13
; %bb.14:                               ;   in Loop: Header=BB2_11 Depth=1
	s_or_b32 exec_lo, exec_lo, s33
.LBB2_15:                               ;   in Loop: Header=BB2_11 Depth=1
	s_delay_alu instid0(SALU_CYCLE_1)
	s_or_b32 exec_lo, exec_lo, s25
	ds_store_b32 v9, v7
	s_waitcnt lgkmcnt(0)
	s_barrier
	buffer_gl0_inv
	s_and_saveexec_b32 s6, vcc_lo
	s_cbranch_execz .LBB2_17
; %bb.16:                               ;   in Loop: Header=BB2_11 Depth=1
	ds_load_2addr_stride64_b32 v[1:2], v9 offset1:4
	ds_load_2addr_stride64_b32 v[3:4], v9 offset0:8 offset1:12
	s_waitcnt lgkmcnt(0)
	v_add_f32_e32 v2, v2, v3
	s_delay_alu instid0(VALU_DEP_1) | instskip(NEXT) | instid1(VALU_DEP_1)
	v_add_f32_e32 v2, v2, v4
	v_add_f32_e32 v1, v1, v2
	ds_store_b32 v9, v1
.LBB2_17:                               ;   in Loop: Header=BB2_11 Depth=1
	s_or_b32 exec_lo, exec_lo, s6
	s_waitcnt lgkmcnt(0)
	s_barrier
	buffer_gl0_inv
	s_and_saveexec_b32 s6, s2
	s_cbranch_execz .LBB2_19
; %bb.18:                               ;   in Loop: Header=BB2_11 Depth=1
	ds_load_2addr_stride64_b32 v[1:2], v9 offset1:1
	ds_load_2addr_stride64_b32 v[3:4], v9 offset0:2 offset1:3
	s_waitcnt lgkmcnt(0)
	v_add_f32_e32 v2, v2, v3
	s_delay_alu instid0(VALU_DEP_1) | instskip(NEXT) | instid1(VALU_DEP_1)
	v_add_f32_e32 v2, v2, v4
	v_add_f32_e32 v1, v1, v2
	ds_store_b32 v9, v1
.LBB2_19:                               ;   in Loop: Header=BB2_11 Depth=1
	s_or_b32 exec_lo, exec_lo, s6
	s_waitcnt lgkmcnt(0)
	s_barrier
	buffer_gl0_inv
	s_and_saveexec_b32 s6, s3
	s_cbranch_execz .LBB2_21
; %bb.20:                               ;   in Loop: Header=BB2_11 Depth=1
	ds_load_2addr_b32 v[1:2], v9 offset1:16
	ds_load_2addr_b32 v[3:4], v9 offset0:32 offset1:48
	s_waitcnt lgkmcnt(0)
	v_add_f32_e32 v2, v2, v3
	s_delay_alu instid0(VALU_DEP_1) | instskip(NEXT) | instid1(VALU_DEP_1)
	v_add_f32_e32 v2, v2, v4
	v_add_f32_e32 v1, v1, v2
	ds_store_b32 v9, v1
.LBB2_21:                               ;   in Loop: Header=BB2_11 Depth=1
	s_or_b32 exec_lo, exec_lo, s6
	s_waitcnt lgkmcnt(0)
	s_barrier
	buffer_gl0_inv
	s_and_saveexec_b32 s6, s4
	s_cbranch_execz .LBB2_23
; %bb.22:                               ;   in Loop: Header=BB2_11 Depth=1
	ds_load_2addr_b32 v[1:2], v9 offset1:4
	ds_load_2addr_b32 v[3:4], v9 offset0:8 offset1:12
	s_waitcnt lgkmcnt(0)
	v_add_f32_e32 v2, v2, v3
	s_delay_alu instid0(VALU_DEP_1) | instskip(NEXT) | instid1(VALU_DEP_1)
	v_add_f32_e32 v2, v2, v4
	v_add_f32_e32 v1, v1, v2
	ds_store_b32 v9, v1
.LBB2_23:                               ;   in Loop: Header=BB2_11 Depth=1
	s_or_b32 exec_lo, exec_lo, s6
	s_waitcnt lgkmcnt(0)
	s_barrier
	buffer_gl0_inv
	s_and_saveexec_b32 s6, s5
	s_cbranch_execz .LBB2_25
; %bb.24:                               ;   in Loop: Header=BB2_11 Depth=1
	ds_load_2addr_b32 v[1:2], v6 offset0:1 offset1:2
	ds_load_b32 v3, v6 offset:12
	ds_load_b32 v4, v9
	s_waitcnt lgkmcnt(2)
	v_add_f32_e32 v1, v1, v2
	s_waitcnt lgkmcnt(1)
	s_delay_alu instid0(VALU_DEP_1) | instskip(SKIP_1) | instid1(VALU_DEP_1)
	v_add_f32_e32 v1, v1, v3
	s_waitcnt lgkmcnt(0)
	v_add_f32_e32 v1, v4, v1
	ds_store_b32 v9, v1
.LBB2_25:                               ;   in Loop: Header=BB2_11 Depth=1
	s_or_b32 exec_lo, exec_lo, s6
	s_waitcnt lgkmcnt(0)
	s_barrier
	buffer_gl0_inv
	s_and_saveexec_b32 s7, s5
	s_cbranch_execz .LBB2_10
; %bb.26:                               ;   in Loop: Header=BB2_11 Depth=1
	s_mov_b32 s25, exec_lo
	s_delay_alu instid0(SALU_CYCLE_1) | instskip(NEXT) | instid1(VALU_DEP_1)
	v_mbcnt_lo_u32_b32 v1, s25, 0
	v_cmp_eq_u32_e64 s6, 0, v1
	s_delay_alu instid0(VALU_DEP_1) | instskip(NEXT) | instid1(SALU_CYCLE_1)
	s_and_b32 s6, exec_lo, s6
	s_mov_b32 exec_lo, s6
	s_cbranch_execz .LBB2_10
; %bb.27:                               ;   in Loop: Header=BB2_11 Depth=1
	s_add_u32 s26, s16, s26
	s_addc_u32 s27, s17, s27
	s_bcnt1_i32_b32 s6, s25
	global_load_b32 v2, v6, s[26:27]
	ds_load_b32 v1, v6
	v_cvt_f32_ubyte0_e32 v3, s6
	s_mov_b32 s25, 0
	s_waitcnt lgkmcnt(0)
	v_mul_f32_e32 v1, s22, v1
	s_delay_alu instid0(VALU_DEP_1)
	v_mul_f32_e32 v3, v1, v3
.LBB2_28:                               ;   Parent Loop BB2_11 Depth=1
                                        ; =>  This Inner Loop Header: Depth=2
	s_waitcnt vmcnt(0)
	s_delay_alu instid0(VALU_DEP_1) | instskip(SKIP_4) | instid1(VALU_DEP_2)
	v_add_f32_e32 v1, v2, v3
	global_atomic_cmpswap_b32 v1, v6, v[1:2], s[26:27] glc
	s_waitcnt vmcnt(0)
	v_cmp_eq_u32_e64 s6, v1, v2
	v_mov_b32_e32 v2, v1
	s_or_b32 s25, s6, s25
	s_delay_alu instid0(SALU_CYCLE_1)
	s_and_not1_b32 exec_lo, exec_lo, s25
	s_cbranch_execnz .LBB2_28
	s_branch .LBB2_10
.LBB2_29:
	s_ashr_i32 s3, s19, 31
	s_mov_b32 s2, s19
	s_waitcnt lgkmcnt(0)
	v_add_nc_u32_e32 v1, s23, v8
	s_lshl_b64 s[2:3], s[2:3], 2
	s_mov_b32 s4, exec_lo
	s_add_u32 s2, s8, s2
	s_addc_u32 s3, s9, s3
	s_load_b32 s2, s[2:3], 0x0
	s_waitcnt lgkmcnt(0)
	s_sub_i32 s3, s2, s20
	s_delay_alu instid0(SALU_CYCLE_1)
	v_cmpx_gt_i32_e64 s3, v1
	s_cbranch_execz .LBB2_39
; %bb.30:
	s_add_i32 s5, s19, -1
	s_mov_b32 s7, 0
	s_cmp_gt_i32 s5, s18
	s_cselect_b32 s2, -1, 0
	s_add_i32 s6, s19, -2
	s_delay_alu instid0(SALU_CYCLE_1) | instskip(SKIP_1) | instid1(SALU_CYCLE_1)
	s_cmp_lg_u32 s6, s18
	s_cselect_b32 s6, -1, 0
	s_and_b32 s6, s2, s6
	s_branch .LBB2_32
.LBB2_31:                               ;   in Loop: Header=BB2_32 Depth=1
	s_or_b32 exec_lo, exec_lo, s2
	v_add_nc_u32_e32 v1, 0x100, v1
	s_delay_alu instid0(VALU_DEP_1) | instskip(SKIP_1) | instid1(SALU_CYCLE_1)
	v_cmp_le_i32_e32 vcc_lo, s3, v1
	s_or_b32 s7, vcc_lo, s7
	s_and_not1_b32 exec_lo, exec_lo, s7
	s_cbranch_execz .LBB2_39
.LBB2_32:                               ; =>This Loop Header: Depth=1
                                        ;     Child Loop BB2_34 Depth 2
                                        ;     Child Loop BB2_38 Depth 2
	v_dual_mov_b32 v6, s18 :: v_dual_mov_b32 v3, s5
	s_and_not1_b32 vcc_lo, exec_lo, s6
	s_cbranch_vccnz .LBB2_36
; %bb.33:                               ;   in Loop: Header=BB2_32 Depth=1
	v_dual_mov_b32 v6, s18 :: v_dual_mov_b32 v3, s5
	s_mov_b32 s23, 0
	.p2align	6
.LBB2_34:                               ;   Parent Loop BB2_32 Depth=1
                                        ; =>  This Inner Loop Header: Depth=2
	s_delay_alu instid0(VALU_DEP_1) | instskip(NEXT) | instid1(VALU_DEP_1)
	v_add_nc_u32_e32 v2, v3, v6
	v_lshrrev_b32_e32 v4, 31, v2
	s_delay_alu instid0(VALU_DEP_1) | instskip(NEXT) | instid1(VALU_DEP_1)
	v_add_nc_u32_e32 v2, v2, v4
	v_ashrrev_i32_e32 v4, 1, v2
	s_delay_alu instid0(VALU_DEP_1) | instskip(NEXT) | instid1(VALU_DEP_1)
	v_ashrrev_i32_e32 v5, 31, v4
	v_lshlrev_b64 v[10:11], 2, v[4:5]
	s_delay_alu instid0(VALU_DEP_1) | instskip(NEXT) | instid1(VALU_DEP_2)
	v_add_co_u32 v10, vcc_lo, s8, v10
	v_add_co_ci_u32_e32 v11, vcc_lo, s9, v11, vcc_lo
	global_load_b32 v2, v[10:11], off
	s_waitcnt vmcnt(0)
	v_subrev_nc_u32_e32 v2, s20, v2
	s_delay_alu instid0(VALU_DEP_1) | instskip(SKIP_1) | instid1(VALU_DEP_1)
	v_cmp_gt_i32_e32 vcc_lo, v2, v1
	v_dual_cndmask_b32 v3, v3, v4 :: v_dual_cndmask_b32 v6, v4, v6
	v_add_nc_u32_e32 v2, -1, v3
	s_delay_alu instid0(VALU_DEP_2) | instskip(NEXT) | instid1(VALU_DEP_2)
	v_cmp_ge_i32_e32 vcc_lo, v6, v3
	v_cmp_eq_u32_e64 s2, v6, v2
	s_delay_alu instid0(VALU_DEP_1) | instskip(NEXT) | instid1(SALU_CYCLE_1)
	s_or_b32 s2, vcc_lo, s2
	s_and_b32 s2, exec_lo, s2
	s_delay_alu instid0(SALU_CYCLE_1) | instskip(NEXT) | instid1(SALU_CYCLE_1)
	s_or_b32 s23, s2, s23
	s_and_not1_b32 exec_lo, exec_lo, s23
	s_cbranch_execnz .LBB2_34
; %bb.35:                               ;   in Loop: Header=BB2_32 Depth=1
	s_or_b32 exec_lo, exec_lo, s23
.LBB2_36:                               ;   in Loop: Header=BB2_32 Depth=1
	s_delay_alu instid0(VALU_DEP_1) | instskip(SKIP_2) | instid1(VALU_DEP_2)
	v_ashrrev_i32_e32 v4, 31, v3
	v_ashrrev_i32_e32 v2, 31, v1
	s_mov_b32 s2, exec_lo
	v_lshlrev_b64 v[4:5], 2, v[3:4]
	s_delay_alu instid0(VALU_DEP_1) | instskip(NEXT) | instid1(VALU_DEP_2)
	v_add_co_u32 v10, vcc_lo, s8, v4
	v_add_co_ci_u32_e32 v11, vcc_lo, s9, v5, vcc_lo
	v_lshlrev_b64 v[4:5], 2, v[1:2]
	global_load_b32 v2, v[10:11], off
	v_add_co_u32 v10, vcc_lo, s10, v4
	v_add_co_ci_u32_e32 v11, vcc_lo, s11, v5, vcc_lo
	global_load_b32 v7, v[10:11], off
	s_waitcnt vmcnt(1)
	v_subrev_nc_u32_e32 v2, s20, v2
	s_delay_alu instid0(VALU_DEP_1) | instskip(SKIP_3) | instid1(VALU_DEP_1)
	v_cmp_gt_i32_e32 vcc_lo, v2, v1
	s_waitcnt vmcnt(0)
	v_subrev_nc_u32_e32 v2, s20, v7
	v_cndmask_b32_e32 v6, v3, v6, vcc_lo
	v_cmpx_ne_u32_e64 v2, v6
	s_cbranch_execz .LBB2_31
; %bb.37:                               ;   in Loop: Header=BB2_32 Depth=1
	v_ashrrev_i32_e32 v7, 31, v6
	v_ashrrev_i32_e32 v3, 31, v2
	v_add_co_u32 v4, vcc_lo, s12, v4
	v_add_co_ci_u32_e32 v5, vcc_lo, s13, v5, vcc_lo
	s_delay_alu instid0(VALU_DEP_4) | instskip(NEXT) | instid1(VALU_DEP_4)
	v_lshlrev_b64 v[6:7], 2, v[6:7]
	v_lshlrev_b64 v[2:3], 2, v[2:3]
	s_mov_b32 s23, 0
	global_load_b32 v10, v[4:5], off
	v_add_co_u32 v4, vcc_lo, s14, v6
	v_add_co_ci_u32_e32 v5, vcc_lo, s15, v7, vcc_lo
	v_add_co_u32 v2, vcc_lo, s16, v2
	v_add_co_ci_u32_e32 v3, vcc_lo, s17, v3, vcc_lo
	global_load_b32 v4, v[4:5], off
	global_load_b32 v5, v[2:3], off
	s_waitcnt vmcnt(2)
	v_mul_f32_e32 v6, s22, v10
	s_waitcnt vmcnt(1)
	s_delay_alu instid0(VALU_DEP_1)
	v_mul_f32_e32 v6, v6, v4
.LBB2_38:                               ;   Parent Loop BB2_32 Depth=1
                                        ; =>  This Inner Loop Header: Depth=2
	s_waitcnt vmcnt(0)
	s_delay_alu instid0(VALU_DEP_1)
	v_add_f32_e32 v4, v5, v6
	global_atomic_cmpswap_b32 v4, v[2:3], v[4:5], off glc
	s_waitcnt vmcnt(0)
	v_cmp_eq_u32_e32 vcc_lo, v4, v5
	v_mov_b32_e32 v5, v4
	s_or_b32 s23, vcc_lo, s23
	s_delay_alu instid0(SALU_CYCLE_1)
	s_and_not1_b32 exec_lo, exec_lo, s23
	s_cbranch_execnz .LBB2_38
	s_branch .LBB2_31
.LBB2_39:
	s_or_b32 exec_lo, exec_lo, s4
	s_mov_b32 s2, 0
.LBB2_40:
	s_delay_alu instid0(SALU_CYCLE_1)
	s_and_b32 vcc_lo, exec_lo, s2
	s_cbranch_vccz .LBB2_177
; %bb.41:
	s_ashr_i32 s3, s18, 31
	s_mov_b32 s2, s18
	s_sub_i32 s7, 0, s21
	s_lshl_b64 s[2:3], s[2:3], 2
	v_cvt_f32_u32_e32 v1, s21
	s_add_u32 s2, s8, s2
	s_addc_u32 s3, s9, s3
	s_load_b32 s23, s[2:3], 0x0
	s_delay_alu instid0(VALU_DEP_1)
	v_rcp_iflag_f32_e32 v1, v1
	s_clause 0x1
	s_load_b64 s[4:5], s[0:1], 0x4
	s_load_b32 s1, s[0:1], 0x64
	s_waitcnt lgkmcnt(0)
	s_waitcnt_depctr 0xfff
	v_dual_mul_f32 v2, 0x4f7ffffe, v1 :: v_dual_add_nc_u32 v1, s23, v8
	s_delay_alu instid0(VALU_DEP_1) | instskip(NEXT) | instid1(VALU_DEP_2)
	v_cvt_u32_f32_e32 v2, v2
	v_add_nc_u32_e32 v10, 0x300, v1
	s_delay_alu instid0(VALU_DEP_2) | instskip(NEXT) | instid1(VALU_DEP_2)
	v_readfirstlane_b32 s6, v2
	v_cmp_le_i32_e32 vcc_lo, s4, v10
	s_delay_alu instid0(VALU_DEP_2) | instskip(NEXT) | instid1(SALU_CYCLE_1)
	s_mul_i32 s7, s7, s6
	s_mul_hi_u32 s4, s6, s7
	s_and_saveexec_b32 s0, vcc_lo
	s_delay_alu instid0(SALU_CYCLE_1)
	s_xor_b32 s7, exec_lo, s0
	s_cbranch_execz .LBB2_46
; %bb.42:
	s_ashr_i32 s25, s19, 31
	s_mov_b32 s24, s19
	s_delay_alu instid0(SALU_CYCLE_1) | instskip(NEXT) | instid1(SALU_CYCLE_1)
	s_lshl_b64 s[24:25], s[24:25], 2
	s_add_u32 s24, s8, s24
	s_addc_u32 s25, s9, s25
	s_load_b32 s0, s[24:25], 0x0
	s_mov_b32 s25, exec_lo
	s_waitcnt lgkmcnt(0)
	s_sub_i32 s24, s0, s23
	s_delay_alu instid0(SALU_CYCLE_1)
	v_cmpx_gt_i32_e64 s24, v0
	s_cbranch_execz .LBB2_45
; %bb.43:
	v_dual_mov_b32 v2, v0 :: v_dual_mov_b32 v3, v9
	s_sub_i32 s26, s23, s20
	s_mov_b32 s27, 0
	.p2align	6
.LBB2_44:                               ; =>This Inner Loop Header: Depth=1
	s_delay_alu instid0(VALU_DEP_1) | instskip(SKIP_1) | instid1(VALU_DEP_2)
	v_add_nc_u32_e32 v4, s26, v2
	v_add_nc_u32_e32 v2, 0x100, v2
	v_ashrrev_i32_e32 v5, 31, v4
	s_delay_alu instid0(VALU_DEP_1) | instskip(NEXT) | instid1(VALU_DEP_1)
	v_lshlrev_b64 v[4:5], 2, v[4:5]
	v_add_co_u32 v4, s0, s12, v4
	s_delay_alu instid0(VALU_DEP_1)
	v_add_co_ci_u32_e64 v5, s0, s13, v5, s0
	v_cmp_le_i32_e64 s0, s24, v2
	global_load_b32 v4, v[4:5], off
	s_or_b32 s27, s0, s27
	s_waitcnt vmcnt(0)
	v_mul_f32_e32 v4, s22, v4
	ds_store_b32 v3, v4
	v_add_nc_u32_e32 v3, 0x400, v3
	s_and_not1_b32 exec_lo, exec_lo, s27
	s_cbranch_execnz .LBB2_44
.LBB2_45:
	s_or_b32 exec_lo, exec_lo, s25
.LBB2_46:
	s_or_saveexec_b32 s7, s7
	v_ashrrev_i32_e32 v2, 31, v1
	s_and_b32 s1, s1, 0xffff
	s_add_i32 s6, s6, s4
	s_xor_b32 exec_lo, exec_lo, s7
	s_cbranch_execz .LBB2_48
; %bb.47:
	v_lshlrev_b64 v[3:4], 2, v[1:2]
	s_delay_alu instid0(VALU_DEP_1) | instskip(NEXT) | instid1(VALU_DEP_1)
	v_add_co_u32 v3, s0, s12, v3
	v_add_co_ci_u32_e64 v4, s0, s13, v4, s0
	s_clause 0x3
	global_load_b32 v5, v[3:4], off
	global_load_b32 v6, v[3:4], off offset:1024
	global_load_b32 v7, v[3:4], off offset:2048
	;; [unrolled: 1-line block ×3, first 2 shown]
	s_waitcnt vmcnt(2)
	v_dual_mul_f32 v4, s22, v5 :: v_dual_mul_f32 v5, s22, v6
	s_waitcnt vmcnt(1)
	v_mul_f32_e32 v6, s22, v7
	s_waitcnt vmcnt(0)
	v_mul_f32_e32 v3, s22, v3
	ds_store_2addr_stride64_b32 v9, v4, v5 offset1:4
	ds_store_2addr_stride64_b32 v9, v6, v3 offset0:8 offset1:12
.LBB2_48:
	s_or_b32 exec_lo, exec_lo, s7
	s_mul_hi_u32 s4, s1, s6
	s_mov_b32 s6, exec_lo
	v_cmpx_gt_i32_e64 s5, v0
	s_cbranch_execz .LBB2_51
; %bb.49:
	v_lshl_add_u32 v3, v0, 2, 0x1000
	v_dual_mov_b32 v4, 0 :: v_dual_mov_b32 v5, v0
	s_mov_b32 s7, 0
.LBB2_50:                               ; =>This Inner Loop Header: Depth=1
	s_delay_alu instid0(VALU_DEP_1) | instskip(SKIP_3) | instid1(VALU_DEP_1)
	v_add_nc_u32_e32 v5, 0x100, v5
	ds_store_b32 v3, v4
	v_add_nc_u32_e32 v3, 0x400, v3
	v_cmp_le_i32_e64 s0, s5, v5
	s_or_b32 s7, s0, s7
	s_delay_alu instid0(SALU_CYCLE_1)
	s_and_not1_b32 exec_lo, exec_lo, s7
	s_cbranch_execnz .LBB2_50
.LBB2_51:
	s_or_b32 exec_lo, exec_lo, s6
	s_sub_i32 s0, s19, s5
	s_cmp_ge_i32 s19, s5
	s_waitcnt lgkmcnt(0)
	s_cselect_b32 s12, s0, 0
	s_barrier
	buffer_gl0_inv
	s_and_saveexec_b32 s0, vcc_lo
	s_delay_alu instid0(SALU_CYCLE_1)
	s_xor_b32 s6, exec_lo, s0
	s_cbranch_execz .LBB2_70
; %bb.52:
	s_ashr_i32 s25, s19, 31
	s_mov_b32 s24, s19
	s_mov_b32 s13, exec_lo
	s_lshl_b64 s[24:25], s[24:25], 2
	s_delay_alu instid0(SALU_CYCLE_1) | instskip(SKIP_4) | instid1(SALU_CYCLE_1)
	s_add_u32 s24, s8, s24
	s_addc_u32 s25, s9, s25
	s_load_b32 s0, s[24:25], 0x0
	s_waitcnt lgkmcnt(0)
	s_sub_i32 s7, s0, s23
	v_cmpx_gt_i32_e64 s7, v0
	s_cbranch_execz .LBB2_69
; %bb.53:
	s_add_i32 s22, s19, -1
	s_mov_b32 s26, 0
	s_cmp_gt_i32 s22, s18
	s_mov_b32 s27, 0
	s_cselect_b32 s24, -1, 0
	s_add_i32 s25, s19, -2
	s_delay_alu instid0(SALU_CYCLE_1) | instskip(SKIP_1) | instid1(SALU_CYCLE_1)
	s_cmp_lg_u32 s25, s18
	s_cselect_b32 s25, -1, 0
	s_and_b32 s24, s24, s25
	s_sub_i32 s25, s0, s20
	s_branch .LBB2_56
.LBB2_54:                               ;   in Loop: Header=BB2_56 Depth=1
	s_or_b32 exec_lo, exec_lo, s0
.LBB2_55:                               ;   in Loop: Header=BB2_56 Depth=1
	s_delay_alu instid0(SALU_CYCLE_1) | instskip(SKIP_2) | instid1(VALU_DEP_1)
	s_or_b32 exec_lo, exec_lo, s28
	v_ashrrev_i32_e32 v3, 31, v2
	s_addk_i32 s27, 0x100
	v_lshlrev_b64 v[2:3], 2, v[2:3]
	s_delay_alu instid0(VALU_DEP_1) | instskip(NEXT) | instid1(VALU_DEP_2)
	v_add_co_u32 v2, vcc_lo, s14, v2
	v_add_co_ci_u32_e32 v3, vcc_lo, s15, v3, vcc_lo
	global_load_b32 v2, v[2:3], off
	v_add_nc_u32_e32 v3, s27, v0
	s_delay_alu instid0(VALU_DEP_1)
	v_cmp_le_i32_e32 vcc_lo, s7, v3
	s_or_b32 s26, vcc_lo, s26
	s_waitcnt vmcnt(0) lgkmcnt(0)
	v_mul_f32_e32 v2, v2, v8
	ds_store_b32 v7, v2
	s_and_not1_b32 exec_lo, exec_lo, s26
	s_cbranch_execz .LBB2_69
.LBB2_56:                               ; =>This Loop Header: Depth=1
                                        ;     Child Loop BB2_58 Depth 2
                                        ;     Child Loop BB2_65 Depth 2
	v_add_nc_u32_e32 v3, s27, v1
	v_mov_b32_e32 v7, s18
	v_mov_b32_e32 v5, s22
	s_and_not1_b32 vcc_lo, exec_lo, s24
	s_cbranch_vccnz .LBB2_60
; %bb.57:                               ;   in Loop: Header=BB2_56 Depth=1
	v_mov_b32_e32 v7, s18
	v_mov_b32_e32 v5, s22
	s_mov_b32 s28, 0
	.p2align	6
.LBB2_58:                               ;   Parent Loop BB2_56 Depth=1
                                        ; =>  This Inner Loop Header: Depth=2
	s_delay_alu instid0(VALU_DEP_1) | instskip(NEXT) | instid1(VALU_DEP_1)
	v_add_nc_u32_e32 v2, v5, v7
	v_lshrrev_b32_e32 v4, 31, v2
	s_delay_alu instid0(VALU_DEP_1) | instskip(NEXT) | instid1(VALU_DEP_1)
	v_add_nc_u32_e32 v2, v2, v4
	v_ashrrev_i32_e32 v10, 1, v2
	s_delay_alu instid0(VALU_DEP_1) | instskip(NEXT) | instid1(VALU_DEP_1)
	v_ashrrev_i32_e32 v11, 31, v10
	v_lshlrev_b64 v[11:12], 2, v[10:11]
	s_delay_alu instid0(VALU_DEP_1) | instskip(NEXT) | instid1(VALU_DEP_2)
	v_add_co_u32 v11, vcc_lo, s8, v11
	v_add_co_ci_u32_e32 v12, vcc_lo, s9, v12, vcc_lo
	global_load_b32 v2, v[11:12], off
	s_waitcnt vmcnt(0)
	v_subrev_nc_u32_e32 v2, s20, v2
	s_delay_alu instid0(VALU_DEP_1) | instskip(SKIP_1) | instid1(VALU_DEP_1)
	v_cmp_gt_i32_e32 vcc_lo, v2, v3
	v_cndmask_b32_e32 v5, v5, v10, vcc_lo
	v_dual_cndmask_b32 v7, v10, v7 :: v_dual_add_nc_u32 v2, -1, v5
	s_delay_alu instid0(VALU_DEP_1) | instskip(NEXT) | instid1(VALU_DEP_2)
	v_cmp_ge_i32_e32 vcc_lo, v7, v5
	v_cmp_eq_u32_e64 s0, v7, v2
	s_delay_alu instid0(VALU_DEP_1) | instskip(NEXT) | instid1(SALU_CYCLE_1)
	s_or_b32 s0, vcc_lo, s0
	s_and_b32 s0, exec_lo, s0
	s_delay_alu instid0(SALU_CYCLE_1) | instskip(NEXT) | instid1(SALU_CYCLE_1)
	s_or_b32 s28, s0, s28
	s_and_not1_b32 exec_lo, exec_lo, s28
	s_cbranch_execnz .LBB2_58
; %bb.59:                               ;   in Loop: Header=BB2_56 Depth=1
	s_or_b32 exec_lo, exec_lo, s28
.LBB2_60:                               ;   in Loop: Header=BB2_56 Depth=1
	s_delay_alu instid0(VALU_DEP_1) | instskip(SKIP_2) | instid1(VALU_DEP_3)
	v_ashrrev_i32_e32 v6, 31, v5
	v_ashrrev_i32_e32 v4, 31, v3
	v_cmp_le_i32_e64 s0, s25, v3
                                        ; implicit-def: $vgpr8
	v_lshlrev_b64 v[10:11], 2, v[5:6]
	s_delay_alu instid0(VALU_DEP_3) | instskip(NEXT) | instid1(VALU_DEP_2)
	v_lshlrev_b64 v[12:13], 2, v[3:4]
	v_add_co_u32 v10, vcc_lo, s8, v10
	s_delay_alu instid0(VALU_DEP_3) | instskip(NEXT) | instid1(VALU_DEP_3)
	v_add_co_ci_u32_e32 v11, vcc_lo, s9, v11, vcc_lo
	v_add_co_u32 v12, vcc_lo, s10, v12
	s_delay_alu instid0(VALU_DEP_4)
	v_add_co_ci_u32_e32 v13, vcc_lo, s11, v13, vcc_lo
	global_load_b32 v2, v[10:11], off
	global_load_b32 v4, v[12:13], off
	s_waitcnt vmcnt(1)
	v_subrev_nc_u32_e32 v6, s20, v2
	s_waitcnt vmcnt(0)
	v_subrev_nc_u32_e32 v2, s20, v4
	s_delay_alu instid0(VALU_DEP_2) | instskip(SKIP_2) | instid1(VALU_DEP_2)
	v_cmp_gt_i32_e32 vcc_lo, v6, v3
	v_cndmask_b32_e32 v4, v5, v7, vcc_lo
	v_lshl_add_u32 v7, s27, 2, v9
	v_cmp_eq_u32_e32 vcc_lo, v2, v4
	s_or_b32 s0, vcc_lo, s0
	s_delay_alu instid0(SALU_CYCLE_1) | instskip(NEXT) | instid1(SALU_CYCLE_1)
	s_and_saveexec_b32 s28, s0
	s_xor_b32 s0, exec_lo, s28
	s_cbranch_execz .LBB2_62
; %bb.61:                               ;   in Loop: Header=BB2_56 Depth=1
	ds_load_b32 v8, v7
                                        ; implicit-def: $vgpr4
.LBB2_62:                               ;   in Loop: Header=BB2_56 Depth=1
	s_and_not1_saveexec_b32 s28, s0
	s_cbranch_execz .LBB2_55
; %bb.63:                               ;   in Loop: Header=BB2_56 Depth=1
	v_ashrrev_i32_e32 v5, 31, v4
	s_waitcnt lgkmcnt(0)
	ds_load_b32 v8, v7
	v_cmp_le_i32_e64 s0, s19, v2
	v_lshlrev_b64 v[3:4], 2, v[4:5]
	s_delay_alu instid0(VALU_DEP_1) | instskip(NEXT) | instid1(VALU_DEP_2)
	v_add_co_u32 v3, vcc_lo, s14, v3
	v_add_co_ci_u32_e32 v4, vcc_lo, s15, v4, vcc_lo
	v_cmp_gt_i32_e32 vcc_lo, s12, v2
	global_load_b32 v3, v[3:4], off
	s_or_b32 s0, vcc_lo, s0
	s_waitcnt vmcnt(0) lgkmcnt(0)
	v_mul_f32_e32 v10, v8, v3
	s_and_saveexec_b32 s29, s0
	s_delay_alu instid0(SALU_CYCLE_1)
	s_xor_b32 s0, exec_lo, s29
	s_cbranch_execz .LBB2_67
; %bb.64:                               ;   in Loop: Header=BB2_56 Depth=1
	v_ashrrev_i32_e32 v3, 31, v2
	s_mov_b32 s29, 0
	s_delay_alu instid0(VALU_DEP_1) | instskip(NEXT) | instid1(VALU_DEP_1)
	v_lshlrev_b64 v[3:4], 2, v[2:3]
	v_add_co_u32 v3, vcc_lo, s16, v3
	s_delay_alu instid0(VALU_DEP_2)
	v_add_co_ci_u32_e32 v4, vcc_lo, s17, v4, vcc_lo
	global_load_b32 v6, v[3:4], off
.LBB2_65:                               ;   Parent Loop BB2_56 Depth=1
                                        ; =>  This Inner Loop Header: Depth=2
	s_waitcnt vmcnt(0)
	v_add_f32_e32 v5, v6, v10
	global_atomic_cmpswap_b32 v5, v[3:4], v[5:6], off glc
	s_waitcnt vmcnt(0)
	v_cmp_eq_u32_e32 vcc_lo, v5, v6
	v_mov_b32_e32 v6, v5
	s_or_b32 s29, vcc_lo, s29
	s_delay_alu instid0(SALU_CYCLE_1)
	s_and_not1_b32 exec_lo, exec_lo, s29
	s_cbranch_execnz .LBB2_65
; %bb.66:                               ;   in Loop: Header=BB2_56 Depth=1
	s_or_b32 exec_lo, exec_lo, s29
                                        ; implicit-def: $vgpr10
.LBB2_67:                               ;   in Loop: Header=BB2_56 Depth=1
	s_and_not1_saveexec_b32 s0, s0
	s_cbranch_execz .LBB2_54
; %bb.68:                               ;   in Loop: Header=BB2_56 Depth=1
	v_subrev_nc_u32_e32 v3, s12, v2
	s_delay_alu instid0(VALU_DEP_1)
	v_lshl_add_u32 v3, v3, 2, 0x1000
	ds_add_f32 v3, v10
	s_branch .LBB2_54
.LBB2_69:
	s_or_b32 exec_lo, exec_lo, s13
                                        ; implicit-def: $vgpr10
                                        ; implicit-def: $vgpr1
.LBB2_70:
	s_and_not1_saveexec_b32 s13, s6
	s_cbranch_execz .LBB2_136
; %bb.71:
	s_add_i32 s22, s19, -1
	v_mov_b32_e32 v6, s18
	s_cmp_le_i32 s22, s18
	v_mov_b32_e32 v4, s22
	s_cselect_b32 s0, -1, 0
	s_add_i32 s6, s19, -2
	s_delay_alu instid0(SALU_CYCLE_1) | instskip(SKIP_1) | instid1(SALU_CYCLE_1)
	s_cmp_eq_u32 s6, s18
	s_cselect_b32 s6, -1, 0
	s_or_b32 s6, s0, s6
	s_delay_alu instid0(SALU_CYCLE_1)
	s_and_b32 vcc_lo, exec_lo, s6
	s_cbranch_vccnz .LBB2_75
; %bb.72:
	v_mov_b32_e32 v6, s18
	v_mov_b32_e32 v4, s22
	s_mov_b32 s7, 0
	.p2align	6
.LBB2_73:                               ; =>This Inner Loop Header: Depth=1
	s_delay_alu instid0(VALU_DEP_1) | instskip(NEXT) | instid1(VALU_DEP_1)
	v_add_nc_u32_e32 v3, v4, v6
	v_lshrrev_b32_e32 v5, 31, v3
	s_delay_alu instid0(VALU_DEP_1) | instskip(NEXT) | instid1(VALU_DEP_1)
	v_add_nc_u32_e32 v3, v3, v5
	v_ashrrev_i32_e32 v7, 1, v3
	s_delay_alu instid0(VALU_DEP_1) | instskip(NEXT) | instid1(VALU_DEP_1)
	v_ashrrev_i32_e32 v8, 31, v7
	v_lshlrev_b64 v[11:12], 2, v[7:8]
	s_delay_alu instid0(VALU_DEP_1) | instskip(NEXT) | instid1(VALU_DEP_2)
	v_add_co_u32 v11, vcc_lo, s8, v11
	v_add_co_ci_u32_e32 v12, vcc_lo, s9, v12, vcc_lo
	global_load_b32 v3, v[11:12], off
	s_waitcnt vmcnt(0)
	v_subrev_nc_u32_e32 v3, s20, v3
	s_delay_alu instid0(VALU_DEP_1) | instskip(SKIP_1) | instid1(VALU_DEP_1)
	v_cmp_gt_i32_e32 vcc_lo, v3, v1
	v_cndmask_b32_e32 v4, v4, v7, vcc_lo
	v_dual_cndmask_b32 v6, v7, v6 :: v_dual_add_nc_u32 v3, -1, v4
	s_delay_alu instid0(VALU_DEP_1) | instskip(NEXT) | instid1(VALU_DEP_2)
	v_cmp_ge_i32_e32 vcc_lo, v6, v4
	v_cmp_eq_u32_e64 s0, v6, v3
	s_delay_alu instid0(VALU_DEP_1) | instskip(NEXT) | instid1(SALU_CYCLE_1)
	s_or_b32 s0, vcc_lo, s0
	s_and_b32 s0, exec_lo, s0
	s_delay_alu instid0(SALU_CYCLE_1) | instskip(NEXT) | instid1(SALU_CYCLE_1)
	s_or_b32 s7, s0, s7
	s_and_not1_b32 exec_lo, exec_lo, s7
	s_cbranch_execnz .LBB2_73
; %bb.74:
	s_or_b32 exec_lo, exec_lo, s7
.LBB2_75:
	v_ashrrev_i32_e32 v5, 31, v4
	v_lshlrev_b64 v[2:3], 2, v[1:2]
	s_xor_b32 s24, s6, -1
	s_ashr_i32 s7, s19, 31
	s_mov_b32 s6, s19
	v_lshlrev_b64 v[7:8], 2, v[4:5]
	s_lshl_b64 s[6:7], s[6:7], 2
                                        ; implicit-def: $vgpr12
	s_mov_b32 s0, exec_lo
	s_add_u32 s6, s8, s6
	s_addc_u32 s7, s9, s7
	s_delay_alu instid0(VALU_DEP_1)
	v_add_co_u32 v7, vcc_lo, s8, v7
	v_add_co_ci_u32_e32 v8, vcc_lo, s9, v8, vcc_lo
	v_add_co_u32 v2, vcc_lo, s10, v2
	v_add_co_ci_u32_e32 v3, vcc_lo, s11, v3, vcc_lo
	global_load_b32 v5, v[7:8], off
	global_load_b32 v7, v[2:3], off
	s_waitcnt vmcnt(1)
	v_subrev_nc_u32_e32 v5, s20, v5
	s_delay_alu instid0(VALU_DEP_1) | instskip(SKIP_3) | instid1(VALU_DEP_1)
	v_cmp_gt_i32_e32 vcc_lo, v5, v1
	v_cndmask_b32_e32 v5, v4, v6, vcc_lo
	s_waitcnt vmcnt(0)
	v_subrev_nc_u32_e32 v4, s20, v7
	v_cmpx_ne_u32_e64 v4, v5
	s_xor_b32 s10, exec_lo, s0
	s_cbranch_execz .LBB2_85
; %bb.76:
	s_load_b32 s0, s[6:7], 0x0
	ds_load_b32 v12, v9
	s_mov_b32 s11, exec_lo
	s_waitcnt lgkmcnt(0)
	s_sub_i32 s0, s0, s20
	s_delay_alu instid0(SALU_CYCLE_1)
	v_cmpx_gt_i32_e64 s0, v1
	s_cbranch_execz .LBB2_84
; %bb.77:
	v_ashrrev_i32_e32 v6, 31, v5
	v_cmp_le_i32_e64 s0, s19, v4
	s_delay_alu instid0(VALU_DEP_2) | instskip(NEXT) | instid1(VALU_DEP_1)
	v_lshlrev_b64 v[5:6], 2, v[5:6]
	v_add_co_u32 v5, vcc_lo, s14, v5
	s_delay_alu instid0(VALU_DEP_2)
	v_add_co_ci_u32_e32 v6, vcc_lo, s15, v6, vcc_lo
	v_cmp_gt_i32_e32 vcc_lo, s12, v4
	global_load_b32 v5, v[5:6], off
	s_or_b32 s0, vcc_lo, s0
	s_waitcnt vmcnt(0)
	v_mul_f32_e32 v11, v12, v5
	s_and_saveexec_b32 s25, s0
	s_delay_alu instid0(SALU_CYCLE_1)
	s_xor_b32 s0, exec_lo, s25
	s_cbranch_execz .LBB2_81
; %bb.78:
	v_ashrrev_i32_e32 v5, 31, v4
	s_mov_b32 s25, 0
	s_delay_alu instid0(VALU_DEP_1) | instskip(NEXT) | instid1(VALU_DEP_1)
	v_lshlrev_b64 v[5:6], 2, v[4:5]
	v_add_co_u32 v5, vcc_lo, s16, v5
	s_delay_alu instid0(VALU_DEP_2)
	v_add_co_ci_u32_e32 v6, vcc_lo, s17, v6, vcc_lo
	global_load_b32 v8, v[5:6], off
.LBB2_79:                               ; =>This Inner Loop Header: Depth=1
	s_waitcnt vmcnt(0)
	v_add_f32_e32 v7, v8, v11
	global_atomic_cmpswap_b32 v7, v[5:6], v[7:8], off glc
	s_waitcnt vmcnt(0)
	v_cmp_eq_u32_e32 vcc_lo, v7, v8
	v_mov_b32_e32 v8, v7
	s_or_b32 s25, vcc_lo, s25
	s_delay_alu instid0(SALU_CYCLE_1)
	s_and_not1_b32 exec_lo, exec_lo, s25
	s_cbranch_execnz .LBB2_79
; %bb.80:
	s_or_b32 exec_lo, exec_lo, s25
                                        ; implicit-def: $vgpr11
.LBB2_81:
	s_and_not1_saveexec_b32 s0, s0
	s_cbranch_execz .LBB2_83
; %bb.82:
	v_subrev_nc_u32_e32 v5, s12, v4
	s_delay_alu instid0(VALU_DEP_1)
	v_lshl_add_u32 v5, v5, 2, 0x1000
	ds_add_f32 v5, v11
.LBB2_83:
	s_or_b32 exec_lo, exec_lo, s0
.LBB2_84:
	s_delay_alu instid0(SALU_CYCLE_1)
	s_or_b32 exec_lo, exec_lo, s11
.LBB2_85:
	s_and_not1_saveexec_b32 s0, s10
	s_cbranch_execz .LBB2_87
; %bb.86:
	ds_load_b32 v12, v9
.LBB2_87:
	s_or_b32 exec_lo, exec_lo, s0
	v_ashrrev_i32_e32 v5, 31, v4
	v_cndmask_b32_e64 v11, 0, 1, s24
	v_mov_b32_e32 v7, s18
	s_delay_alu instid0(VALU_DEP_3) | instskip(NEXT) | instid1(VALU_DEP_1)
	v_lshlrev_b64 v[4:5], 2, v[4:5]
	v_add_co_u32 v4, vcc_lo, s14, v4
	s_delay_alu instid0(VALU_DEP_2)
	v_add_co_ci_u32_e32 v5, vcc_lo, s15, v5, vcc_lo
	s_and_not1_b32 vcc_lo, exec_lo, s24
	global_load_b32 v4, v[4:5], off
	s_waitcnt vmcnt(0) lgkmcnt(0)
	v_dual_mul_f32 v5, v4, v12 :: v_dual_add_nc_u32 v6, 0x100, v1
	v_mov_b32_e32 v4, s22
	ds_store_b32 v9, v5
	s_cbranch_vccnz .LBB2_91
; %bb.88:
	v_dual_mov_b32 v7, s18 :: v_dual_mov_b32 v4, s22
	s_mov_b32 s10, 0
	.p2align	6
.LBB2_89:                               ; =>This Inner Loop Header: Depth=1
	s_delay_alu instid0(VALU_DEP_1) | instskip(NEXT) | instid1(VALU_DEP_1)
	v_add_nc_u32_e32 v5, v4, v7
	v_lshrrev_b32_e32 v8, 31, v5
	s_delay_alu instid0(VALU_DEP_1) | instskip(NEXT) | instid1(VALU_DEP_1)
	v_add_nc_u32_e32 v5, v5, v8
	v_ashrrev_i32_e32 v12, 1, v5
	s_delay_alu instid0(VALU_DEP_1) | instskip(NEXT) | instid1(VALU_DEP_1)
	v_ashrrev_i32_e32 v13, 31, v12
	v_lshlrev_b64 v[13:14], 2, v[12:13]
	s_delay_alu instid0(VALU_DEP_1) | instskip(NEXT) | instid1(VALU_DEP_2)
	v_add_co_u32 v13, vcc_lo, s8, v13
	v_add_co_ci_u32_e32 v14, vcc_lo, s9, v14, vcc_lo
	global_load_b32 v5, v[13:14], off
	s_waitcnt vmcnt(0)
	v_subrev_nc_u32_e32 v5, s20, v5
	s_delay_alu instid0(VALU_DEP_1) | instskip(SKIP_2) | instid1(VALU_DEP_2)
	v_cmp_gt_i32_e32 vcc_lo, v5, v6
	v_cndmask_b32_e32 v4, v4, v12, vcc_lo
	v_cndmask_b32_e32 v7, v12, v7, vcc_lo
	v_add_nc_u32_e32 v5, -1, v4
	s_delay_alu instid0(VALU_DEP_2) | instskip(NEXT) | instid1(VALU_DEP_2)
	v_cmp_ge_i32_e32 vcc_lo, v7, v4
	v_cmp_eq_u32_e64 s0, v7, v5
	s_delay_alu instid0(VALU_DEP_1) | instskip(NEXT) | instid1(SALU_CYCLE_1)
	s_or_b32 s0, vcc_lo, s0
	s_and_b32 s0, exec_lo, s0
	s_delay_alu instid0(SALU_CYCLE_1) | instskip(NEXT) | instid1(SALU_CYCLE_1)
	s_or_b32 s10, s0, s10
	s_and_not1_b32 exec_lo, exec_lo, s10
	s_cbranch_execnz .LBB2_89
; %bb.90:
	s_or_b32 exec_lo, exec_lo, s10
.LBB2_91:
	v_ashrrev_i32_e32 v5, 31, v4
	s_mov_b32 s0, exec_lo
	s_delay_alu instid0(VALU_DEP_1) | instskip(NEXT) | instid1(VALU_DEP_1)
	v_lshlrev_b64 v[12:13], 2, v[4:5]
	v_add_co_u32 v12, vcc_lo, s8, v12
	s_delay_alu instid0(VALU_DEP_2) | instskip(SKIP_4) | instid1(VALU_DEP_1)
	v_add_co_ci_u32_e32 v13, vcc_lo, s9, v13, vcc_lo
	global_load_b32 v5, v[12:13], off
	global_load_b32 v8, v[2:3], off offset:1024
                                        ; implicit-def: $vgpr12
	s_waitcnt vmcnt(1)
	v_subrev_nc_u32_e32 v5, s20, v5
	v_cmp_gt_i32_e32 vcc_lo, v5, v6
	v_cndmask_b32_e32 v5, v4, v7, vcc_lo
	s_waitcnt vmcnt(0)
	v_subrev_nc_u32_e32 v4, s20, v8
	s_delay_alu instid0(VALU_DEP_1)
	v_cmpx_ne_u32_e64 v4, v5
	s_xor_b32 s10, exec_lo, s0
	s_cbranch_execz .LBB2_101
; %bb.92:
	s_load_b32 s0, s[6:7], 0x0
	ds_load_b32 v12, v9 offset:1024
	s_mov_b32 s11, exec_lo
	s_waitcnt lgkmcnt(0)
	s_sub_i32 s0, s0, s20
	s_delay_alu instid0(SALU_CYCLE_1)
	v_cmpx_gt_i32_e64 s0, v6
	s_cbranch_execz .LBB2_100
; %bb.93:
	v_ashrrev_i32_e32 v6, 31, v5
	v_cmp_le_i32_e64 s0, s19, v4
	s_delay_alu instid0(VALU_DEP_2) | instskip(NEXT) | instid1(VALU_DEP_1)
	v_lshlrev_b64 v[5:6], 2, v[5:6]
	v_add_co_u32 v5, vcc_lo, s14, v5
	s_delay_alu instid0(VALU_DEP_2)
	v_add_co_ci_u32_e32 v6, vcc_lo, s15, v6, vcc_lo
	v_cmp_gt_i32_e32 vcc_lo, s12, v4
	global_load_b32 v5, v[5:6], off
	s_or_b32 s0, vcc_lo, s0
	s_waitcnt vmcnt(0)
	v_mul_f32_e32 v13, v12, v5
	s_and_saveexec_b32 s24, s0
	s_delay_alu instid0(SALU_CYCLE_1)
	s_xor_b32 s0, exec_lo, s24
	s_cbranch_execz .LBB2_97
; %bb.94:
	v_ashrrev_i32_e32 v5, 31, v4
	s_mov_b32 s24, 0
	s_delay_alu instid0(VALU_DEP_1) | instskip(NEXT) | instid1(VALU_DEP_1)
	v_lshlrev_b64 v[5:6], 2, v[4:5]
	v_add_co_u32 v5, vcc_lo, s16, v5
	s_delay_alu instid0(VALU_DEP_2)
	v_add_co_ci_u32_e32 v6, vcc_lo, s17, v6, vcc_lo
	global_load_b32 v8, v[5:6], off
.LBB2_95:                               ; =>This Inner Loop Header: Depth=1
	s_waitcnt vmcnt(0)
	v_add_f32_e32 v7, v8, v13
	global_atomic_cmpswap_b32 v7, v[5:6], v[7:8], off glc
	s_waitcnt vmcnt(0)
	v_cmp_eq_u32_e32 vcc_lo, v7, v8
	v_mov_b32_e32 v8, v7
	s_or_b32 s24, vcc_lo, s24
	s_delay_alu instid0(SALU_CYCLE_1)
	s_and_not1_b32 exec_lo, exec_lo, s24
	s_cbranch_execnz .LBB2_95
; %bb.96:
	s_or_b32 exec_lo, exec_lo, s24
                                        ; implicit-def: $vgpr13
.LBB2_97:
	s_and_not1_saveexec_b32 s0, s0
	s_cbranch_execz .LBB2_99
; %bb.98:
	v_subrev_nc_u32_e32 v5, s12, v4
	s_delay_alu instid0(VALU_DEP_1)
	v_lshl_add_u32 v5, v5, 2, 0x1000
	ds_add_f32 v5, v13
.LBB2_99:
	s_or_b32 exec_lo, exec_lo, s0
.LBB2_100:
	s_delay_alu instid0(SALU_CYCLE_1)
	s_or_b32 exec_lo, exec_lo, s11
.LBB2_101:
	s_and_not1_saveexec_b32 s0, s10
	s_cbranch_execz .LBB2_103
; %bb.102:
	ds_load_b32 v12, v9 offset:1024
.LBB2_103:
	s_or_b32 exec_lo, exec_lo, s0
	v_ashrrev_i32_e32 v5, 31, v4
	s_delay_alu instid0(VALU_DEP_1) | instskip(NEXT) | instid1(VALU_DEP_1)
	v_lshlrev_b64 v[4:5], 2, v[4:5]
	v_add_co_u32 v4, vcc_lo, s14, v4
	s_delay_alu instid0(VALU_DEP_2)
	v_add_co_ci_u32_e32 v5, vcc_lo, s15, v5, vcc_lo
	v_cmp_ne_u32_e32 vcc_lo, 1, v11
	global_load_b32 v4, v[4:5], off
	v_dual_mov_b32 v1, s18 :: v_dual_add_nc_u32 v6, 0x200, v1
	s_waitcnt vmcnt(0) lgkmcnt(0)
	v_dual_mul_f32 v5, v4, v12 :: v_dual_mov_b32 v4, s22
	ds_store_b32 v9, v5 offset:1024
	s_cbranch_vccnz .LBB2_107
; %bb.104:
	v_dual_mov_b32 v1, s18 :: v_dual_mov_b32 v4, s22
	s_mov_b32 s10, 0
	.p2align	6
.LBB2_105:                              ; =>This Inner Loop Header: Depth=1
	s_delay_alu instid0(VALU_DEP_1) | instskip(NEXT) | instid1(VALU_DEP_1)
	v_add_nc_u32_e32 v5, v4, v1
	v_lshrrev_b32_e32 v7, 31, v5
	s_delay_alu instid0(VALU_DEP_1) | instskip(NEXT) | instid1(VALU_DEP_1)
	v_add_nc_u32_e32 v5, v5, v7
	v_ashrrev_i32_e32 v7, 1, v5
	s_delay_alu instid0(VALU_DEP_1) | instskip(NEXT) | instid1(VALU_DEP_1)
	v_ashrrev_i32_e32 v8, 31, v7
	v_lshlrev_b64 v[12:13], 2, v[7:8]
	s_delay_alu instid0(VALU_DEP_1) | instskip(NEXT) | instid1(VALU_DEP_2)
	v_add_co_u32 v12, vcc_lo, s8, v12
	v_add_co_ci_u32_e32 v13, vcc_lo, s9, v13, vcc_lo
	global_load_b32 v5, v[12:13], off
	s_waitcnt vmcnt(0)
	v_subrev_nc_u32_e32 v5, s20, v5
	s_delay_alu instid0(VALU_DEP_1) | instskip(SKIP_1) | instid1(VALU_DEP_1)
	v_cmp_gt_i32_e32 vcc_lo, v5, v6
	v_dual_cndmask_b32 v4, v4, v7 :: v_dual_cndmask_b32 v1, v7, v1
	v_add_nc_u32_e32 v5, -1, v4
	s_delay_alu instid0(VALU_DEP_2) | instskip(NEXT) | instid1(VALU_DEP_2)
	v_cmp_ge_i32_e32 vcc_lo, v1, v4
	v_cmp_eq_u32_e64 s0, v1, v5
	s_delay_alu instid0(VALU_DEP_1) | instskip(NEXT) | instid1(SALU_CYCLE_1)
	s_or_b32 s0, vcc_lo, s0
	s_and_b32 s0, exec_lo, s0
	s_delay_alu instid0(SALU_CYCLE_1) | instskip(NEXT) | instid1(SALU_CYCLE_1)
	s_or_b32 s10, s0, s10
	s_and_not1_b32 exec_lo, exec_lo, s10
	s_cbranch_execnz .LBB2_105
; %bb.106:
	s_or_b32 exec_lo, exec_lo, s10
.LBB2_107:
	v_ashrrev_i32_e32 v5, 31, v4
	s_mov_b32 s0, exec_lo
	s_delay_alu instid0(VALU_DEP_1) | instskip(NEXT) | instid1(VALU_DEP_1)
	v_lshlrev_b64 v[7:8], 2, v[4:5]
	v_add_co_u32 v7, vcc_lo, s8, v7
	s_delay_alu instid0(VALU_DEP_2) | instskip(SKIP_4) | instid1(VALU_DEP_1)
	v_add_co_ci_u32_e32 v8, vcc_lo, s9, v8, vcc_lo
	global_load_b32 v5, v[7:8], off
	global_load_b32 v7, v[2:3], off offset:2048
	s_waitcnt vmcnt(1)
	v_subrev_nc_u32_e32 v5, s20, v5
	v_cmp_gt_i32_e32 vcc_lo, v5, v6
	v_cndmask_b32_e32 v5, v4, v1, vcc_lo
	s_waitcnt vmcnt(0)
	v_subrev_nc_u32_e32 v4, s20, v7
                                        ; implicit-def: $vgpr1
	s_delay_alu instid0(VALU_DEP_1)
	v_cmpx_ne_u32_e64 v4, v5
	s_xor_b32 s10, exec_lo, s0
	s_cbranch_execz .LBB2_117
; %bb.108:
	s_load_b32 s0, s[6:7], 0x0
	ds_load_b32 v1, v9 offset:2048
	s_mov_b32 s11, exec_lo
	s_waitcnt lgkmcnt(0)
	s_sub_i32 s0, s0, s20
	s_delay_alu instid0(SALU_CYCLE_1)
	v_cmpx_gt_i32_e64 s0, v6
	s_cbranch_execz .LBB2_116
; %bb.109:
	v_ashrrev_i32_e32 v6, 31, v5
	v_cmp_le_i32_e64 s0, s19, v4
	s_delay_alu instid0(VALU_DEP_2) | instskip(NEXT) | instid1(VALU_DEP_1)
	v_lshlrev_b64 v[5:6], 2, v[5:6]
	v_add_co_u32 v5, vcc_lo, s14, v5
	s_delay_alu instid0(VALU_DEP_2)
	v_add_co_ci_u32_e32 v6, vcc_lo, s15, v6, vcc_lo
	v_cmp_gt_i32_e32 vcc_lo, s12, v4
	global_load_b32 v5, v[5:6], off
	s_or_b32 s0, vcc_lo, s0
	s_waitcnt vmcnt(0)
	v_mul_f32_e32 v12, v1, v5
	s_and_saveexec_b32 s24, s0
	s_delay_alu instid0(SALU_CYCLE_1)
	s_xor_b32 s0, exec_lo, s24
	s_cbranch_execz .LBB2_113
; %bb.110:
	v_ashrrev_i32_e32 v5, 31, v4
	s_mov_b32 s24, 0
	s_delay_alu instid0(VALU_DEP_1) | instskip(NEXT) | instid1(VALU_DEP_1)
	v_lshlrev_b64 v[5:6], 2, v[4:5]
	v_add_co_u32 v5, vcc_lo, s16, v5
	s_delay_alu instid0(VALU_DEP_2)
	v_add_co_ci_u32_e32 v6, vcc_lo, s17, v6, vcc_lo
	global_load_b32 v8, v[5:6], off
.LBB2_111:                              ; =>This Inner Loop Header: Depth=1
	s_waitcnt vmcnt(0)
	v_add_f32_e32 v7, v8, v12
	global_atomic_cmpswap_b32 v7, v[5:6], v[7:8], off glc
	s_waitcnt vmcnt(0)
	v_cmp_eq_u32_e32 vcc_lo, v7, v8
	v_mov_b32_e32 v8, v7
	s_or_b32 s24, vcc_lo, s24
	s_delay_alu instid0(SALU_CYCLE_1)
	s_and_not1_b32 exec_lo, exec_lo, s24
	s_cbranch_execnz .LBB2_111
; %bb.112:
	s_or_b32 exec_lo, exec_lo, s24
                                        ; implicit-def: $vgpr12
.LBB2_113:
	s_and_not1_saveexec_b32 s0, s0
	s_cbranch_execz .LBB2_115
; %bb.114:
	v_subrev_nc_u32_e32 v5, s12, v4
	s_delay_alu instid0(VALU_DEP_1)
	v_lshl_add_u32 v5, v5, 2, 0x1000
	ds_add_f32 v5, v12
.LBB2_115:
	s_or_b32 exec_lo, exec_lo, s0
.LBB2_116:
	s_delay_alu instid0(SALU_CYCLE_1)
	s_or_b32 exec_lo, exec_lo, s11
.LBB2_117:
	s_and_not1_saveexec_b32 s0, s10
	s_cbranch_execz .LBB2_119
; %bb.118:
	ds_load_b32 v1, v9 offset:2048
.LBB2_119:
	s_or_b32 exec_lo, exec_lo, s0
	v_ashrrev_i32_e32 v5, 31, v4
	s_delay_alu instid0(VALU_DEP_1) | instskip(NEXT) | instid1(VALU_DEP_1)
	v_lshlrev_b64 v[4:5], 2, v[4:5]
	v_add_co_u32 v4, vcc_lo, s14, v4
	s_delay_alu instid0(VALU_DEP_2)
	v_add_co_ci_u32_e32 v5, vcc_lo, s15, v5, vcc_lo
	v_cmp_ne_u32_e32 vcc_lo, 1, v11
	global_load_b32 v4, v[4:5], off
	s_and_b32 vcc_lo, exec_lo, vcc_lo
	s_waitcnt vmcnt(0) lgkmcnt(0)
	v_dual_mul_f32 v5, v4, v1 :: v_dual_mov_b32 v4, s22
	v_mov_b32_e32 v1, s18
	ds_store_b32 v9, v5 offset:2048
	s_cbranch_vccnz .LBB2_123
; %bb.120:
	v_dual_mov_b32 v1, s18 :: v_dual_mov_b32 v4, s22
	s_mov_b32 s10, 0
	.p2align	6
.LBB2_121:                              ; =>This Inner Loop Header: Depth=1
	s_delay_alu instid0(VALU_DEP_1) | instskip(NEXT) | instid1(VALU_DEP_1)
	v_add_nc_u32_e32 v5, v4, v1
	v_lshrrev_b32_e32 v6, 31, v5
	s_delay_alu instid0(VALU_DEP_1) | instskip(NEXT) | instid1(VALU_DEP_1)
	v_add_nc_u32_e32 v5, v5, v6
	v_ashrrev_i32_e32 v5, 1, v5
	s_delay_alu instid0(VALU_DEP_1) | instskip(NEXT) | instid1(VALU_DEP_1)
	v_ashrrev_i32_e32 v6, 31, v5
	v_lshlrev_b64 v[6:7], 2, v[5:6]
	s_delay_alu instid0(VALU_DEP_1) | instskip(NEXT) | instid1(VALU_DEP_2)
	v_add_co_u32 v6, vcc_lo, s8, v6
	v_add_co_ci_u32_e32 v7, vcc_lo, s9, v7, vcc_lo
	global_load_b32 v6, v[6:7], off
	s_waitcnt vmcnt(0)
	v_subrev_nc_u32_e32 v6, s20, v6
	s_delay_alu instid0(VALU_DEP_1) | instskip(SKIP_2) | instid1(VALU_DEP_2)
	v_cmp_gt_i32_e32 vcc_lo, v6, v10
	v_cndmask_b32_e32 v4, v4, v5, vcc_lo
	v_cndmask_b32_e32 v1, v5, v1, vcc_lo
	v_add_nc_u32_e32 v5, -1, v4
	s_delay_alu instid0(VALU_DEP_2) | instskip(NEXT) | instid1(VALU_DEP_2)
	v_cmp_ge_i32_e32 vcc_lo, v1, v4
	v_cmp_eq_u32_e64 s0, v1, v5
	s_delay_alu instid0(VALU_DEP_1) | instskip(NEXT) | instid1(SALU_CYCLE_1)
	s_or_b32 s0, vcc_lo, s0
	s_and_b32 s0, exec_lo, s0
	s_delay_alu instid0(SALU_CYCLE_1) | instskip(NEXT) | instid1(SALU_CYCLE_1)
	s_or_b32 s10, s0, s10
	s_and_not1_b32 exec_lo, exec_lo, s10
	s_cbranch_execnz .LBB2_121
; %bb.122:
	s_or_b32 exec_lo, exec_lo, s10
.LBB2_123:
	v_ashrrev_i32_e32 v5, 31, v4
	s_mov_b32 s0, exec_lo
	s_delay_alu instid0(VALU_DEP_1) | instskip(NEXT) | instid1(VALU_DEP_1)
	v_lshlrev_b64 v[5:6], 2, v[4:5]
	v_add_co_u32 v5, vcc_lo, s8, v5
	s_delay_alu instid0(VALU_DEP_2) | instskip(SKIP_4) | instid1(VALU_DEP_1)
	v_add_co_ci_u32_e32 v6, vcc_lo, s9, v6, vcc_lo
	global_load_b32 v5, v[5:6], off
	global_load_b32 v3, v[2:3], off offset:3072
                                        ; implicit-def: $vgpr6
	s_waitcnt vmcnt(1)
	v_subrev_nc_u32_e32 v2, s20, v5
	v_cmp_gt_i32_e32 vcc_lo, v2, v10
	v_cndmask_b32_e32 v2, v4, v1, vcc_lo
	s_waitcnt vmcnt(0)
	v_subrev_nc_u32_e32 v1, s20, v3
	s_delay_alu instid0(VALU_DEP_1)
	v_cmpx_ne_u32_e64 v1, v2
	s_xor_b32 s10, exec_lo, s0
	s_cbranch_execz .LBB2_133
; %bb.124:
	s_load_b32 s0, s[6:7], 0x0
	ds_load_b32 v6, v9 offset:3072
	s_mov_b32 s6, exec_lo
	s_waitcnt lgkmcnt(0)
	s_sub_i32 s0, s0, s20
	s_delay_alu instid0(SALU_CYCLE_1)
	v_cmpx_gt_i32_e64 s0, v10
	s_cbranch_execz .LBB2_132
; %bb.125:
	v_ashrrev_i32_e32 v3, 31, v2
	v_cmp_le_i32_e64 s0, s19, v1
	s_delay_alu instid0(VALU_DEP_2) | instskip(NEXT) | instid1(VALU_DEP_1)
	v_lshlrev_b64 v[2:3], 2, v[2:3]
	v_add_co_u32 v2, vcc_lo, s14, v2
	s_delay_alu instid0(VALU_DEP_2)
	v_add_co_ci_u32_e32 v3, vcc_lo, s15, v3, vcc_lo
	v_cmp_gt_i32_e32 vcc_lo, s12, v1
	global_load_b32 v2, v[2:3], off
	s_or_b32 s0, vcc_lo, s0
	s_waitcnt vmcnt(0)
	v_mul_f32_e32 v7, v6, v2
	s_and_saveexec_b32 s7, s0
	s_delay_alu instid0(SALU_CYCLE_1)
	s_xor_b32 s0, exec_lo, s7
	s_cbranch_execz .LBB2_129
; %bb.126:
	v_ashrrev_i32_e32 v2, 31, v1
	s_mov_b32 s7, 0
	s_delay_alu instid0(VALU_DEP_1) | instskip(NEXT) | instid1(VALU_DEP_1)
	v_lshlrev_b64 v[2:3], 2, v[1:2]
	v_add_co_u32 v2, vcc_lo, s16, v2
	s_delay_alu instid0(VALU_DEP_2)
	v_add_co_ci_u32_e32 v3, vcc_lo, s17, v3, vcc_lo
	global_load_b32 v5, v[2:3], off
.LBB2_127:                              ; =>This Inner Loop Header: Depth=1
	s_waitcnt vmcnt(0)
	v_add_f32_e32 v4, v5, v7
	global_atomic_cmpswap_b32 v4, v[2:3], v[4:5], off glc
	s_waitcnt vmcnt(0)
	v_cmp_eq_u32_e32 vcc_lo, v4, v5
	v_mov_b32_e32 v5, v4
	s_or_b32 s7, vcc_lo, s7
	s_delay_alu instid0(SALU_CYCLE_1)
	s_and_not1_b32 exec_lo, exec_lo, s7
	s_cbranch_execnz .LBB2_127
; %bb.128:
	s_or_b32 exec_lo, exec_lo, s7
                                        ; implicit-def: $vgpr7
.LBB2_129:
	s_and_not1_saveexec_b32 s0, s0
	s_cbranch_execz .LBB2_131
; %bb.130:
	v_subrev_nc_u32_e32 v2, s12, v1
	s_delay_alu instid0(VALU_DEP_1)
	v_lshl_add_u32 v2, v2, 2, 0x1000
	ds_add_f32 v2, v7
.LBB2_131:
	s_or_b32 exec_lo, exec_lo, s0
.LBB2_132:
	s_delay_alu instid0(SALU_CYCLE_1)
	s_or_b32 exec_lo, exec_lo, s6
.LBB2_133:
	s_and_not1_saveexec_b32 s0, s10
	s_cbranch_execz .LBB2_135
; %bb.134:
	ds_load_b32 v6, v9 offset:3072
.LBB2_135:
	s_or_b32 exec_lo, exec_lo, s0
	v_ashrrev_i32_e32 v2, 31, v1
	s_delay_alu instid0(VALU_DEP_1) | instskip(NEXT) | instid1(VALU_DEP_1)
	v_lshlrev_b64 v[1:2], 2, v[1:2]
	v_add_co_u32 v1, vcc_lo, s14, v1
	s_delay_alu instid0(VALU_DEP_2)
	v_add_co_ci_u32_e32 v2, vcc_lo, s15, v2, vcc_lo
	global_load_b32 v1, v[1:2], off
	s_waitcnt vmcnt(0) lgkmcnt(0)
	v_mul_f32_e32 v1, v1, v6
	ds_store_b32 v9, v1 offset:3072
.LBB2_136:
	s_or_b32 exec_lo, exec_lo, s13
	s_min_i32 s7, s19, s5
	s_mov_b32 s5, exec_lo
	s_sub_i32 s0, s7, s21
	s_waitcnt lgkmcnt(0)
	s_barrier
	buffer_gl0_inv
	v_cmpx_gt_i32_e64 s0, v0
	s_cbranch_execz .LBB2_141
; %bb.137:
	v_mov_b32_e32 v5, v0
	s_mov_b32 s6, 0
	.p2align	6
.LBB2_138:                              ; =>This Loop Header: Depth=1
                                        ;     Child Loop BB2_139 Depth 2
	s_delay_alu instid0(VALU_DEP_1) | instskip(SKIP_2) | instid1(VALU_DEP_2)
	v_add_nc_u32_e32 v1, s12, v5
	v_lshl_add_u32 v3, v5, 2, 0x1000
	s_mov_b32 s10, 0
	v_ashrrev_i32_e32 v2, 31, v1
	ds_load_b32 v6, v3
	v_lshlrev_b64 v[1:2], 2, v[1:2]
	s_delay_alu instid0(VALU_DEP_1) | instskip(NEXT) | instid1(VALU_DEP_2)
	v_add_co_u32 v1, vcc_lo, s16, v1
	v_add_co_ci_u32_e32 v2, vcc_lo, s17, v2, vcc_lo
	global_load_b32 v4, v[1:2], off
.LBB2_139:                              ;   Parent Loop BB2_138 Depth=1
                                        ; =>  This Inner Loop Header: Depth=2
	s_waitcnt vmcnt(0) lgkmcnt(0)
	v_add_f32_e32 v3, v4, v6
	global_atomic_cmpswap_b32 v3, v[1:2], v[3:4], off glc
	s_waitcnt vmcnt(0)
	v_cmp_eq_u32_e32 vcc_lo, v3, v4
	v_mov_b32_e32 v4, v3
	s_or_b32 s10, vcc_lo, s10
	s_delay_alu instid0(SALU_CYCLE_1)
	s_and_not1_b32 exec_lo, exec_lo, s10
	s_cbranch_execnz .LBB2_139
; %bb.140:                              ;   in Loop: Header=BB2_138 Depth=1
	s_or_b32 exec_lo, exec_lo, s10
	v_add_nc_u32_e32 v5, 0x100, v5
	s_delay_alu instid0(VALU_DEP_1) | instskip(SKIP_1) | instid1(SALU_CYCLE_1)
	v_cmp_le_i32_e32 vcc_lo, s0, v5
	s_or_b32 s6, vcc_lo, s6
	s_and_not1_b32 exec_lo, exec_lo, s6
	s_cbranch_execnz .LBB2_138
.LBB2_141:
	s_or_b32 exec_lo, exec_lo, s5
	s_mul_i32 s5, s4, s21
	s_add_i32 s6, s4, 1
	s_sub_i32 s5, s1, s5
	v_add_nc_u32_e32 v1, s18, v0
	s_sub_i32 s10, s5, s21
	s_cmp_ge_u32 s5, s21
	s_cselect_b32 s4, s6, s4
	s_cselect_b32 s5, s10, s5
	s_add_i32 s6, s4, 1
	s_cmp_ge_u32 s5, s21
	s_barrier
	s_cselect_b32 s4, s6, s4
	s_mov_b32 s6, -1
	s_add_i32 s4, s4, -1
	buffer_gl0_inv
	s_ashr_i32 s5, s4, 1
	s_delay_alu instid0(SALU_CYCLE_1) | instskip(NEXT) | instid1(SALU_CYCLE_1)
	s_or_b32 s4, s5, s4
	s_ashr_i32 s5, s4, 2
	s_delay_alu instid0(SALU_CYCLE_1) | instskip(NEXT) | instid1(SALU_CYCLE_1)
	s_or_b32 s4, s5, s4
	;; [unrolled: 3-line block ×5, first 2 shown]
	s_add_i32 s4, s4, 1
	s_delay_alu instid0(SALU_CYCLE_1) | instskip(NEXT) | instid1(SALU_CYCLE_1)
	s_ashr_i32 s5, s4, 1
	s_cmp_gt_i32 s5, 1
	s_cbranch_scc1 .LBB2_152
; %bb.142:
	s_mov_b32 s6, exec_lo
	v_cmpx_gt_i32_e64 s19, v1
	s_cbranch_execz .LBB2_151
; %bb.143:
	s_sub_i32 s7, s7, s19
	v_mov_b32_e32 v2, v1
	s_lshl_b32 s11, s23, 2
	s_lshl_b32 s7, s7, 2
	s_mov_b32 s10, 0
	s_addk_i32 s7, 0x1000
	s_sub_i32 s11, 0, s11
.LBB2_144:                              ; =>This Loop Header: Depth=1
                                        ;     Child Loop BB2_146 Depth 2
                                        ;     Child Loop BB2_149 Depth 2
	v_ashrrev_i32_e32 v3, 31, v2
	v_mov_b32_e32 v7, 0
	s_mov_b32 s12, exec_lo
	s_delay_alu instid0(VALU_DEP_2) | instskip(NEXT) | instid1(VALU_DEP_1)
	v_lshlrev_b64 v[3:4], 2, v[2:3]
	v_add_co_u32 v5, vcc_lo, s8, v3
	s_delay_alu instid0(VALU_DEP_2)
	v_add_co_ci_u32_e32 v6, vcc_lo, s9, v4, vcc_lo
	global_load_b64 v[5:6], v[5:6], off
	s_waitcnt vmcnt(0)
	v_cmpx_lt_i32_e64 v5, v6
	s_cbranch_execz .LBB2_148
; %bb.145:                              ;   in Loop: Header=BB2_144 Depth=1
	v_subrev_nc_u32_e32 v6, s23, v6
	v_subrev_nc_u32_e32 v8, s23, v5
	v_lshl_add_u32 v5, v5, 2, s11
	v_mov_b32_e32 v7, 0
	s_mov_b32 s13, 0
.LBB2_146:                              ;   Parent Loop BB2_144 Depth=1
                                        ; =>  This Inner Loop Header: Depth=2
	ds_load_b32 v10, v5
	v_add_nc_u32_e32 v8, 1, v8
	v_add_nc_u32_e32 v5, 4, v5
	s_waitcnt lgkmcnt(0)
	v_add_f32_e32 v7, v7, v10
	s_delay_alu instid0(VALU_DEP_3) | instskip(SKIP_1) | instid1(SALU_CYCLE_1)
	v_cmp_ge_i32_e32 vcc_lo, v8, v6
	s_or_b32 s13, vcc_lo, s13
	s_and_not1_b32 exec_lo, exec_lo, s13
	s_cbranch_execnz .LBB2_146
; %bb.147:                              ;   in Loop: Header=BB2_144 Depth=1
	s_or_b32 exec_lo, exec_lo, s13
.LBB2_148:                              ;   in Loop: Header=BB2_144 Depth=1
	s_delay_alu instid0(SALU_CYCLE_1)
	s_or_b32 exec_lo, exec_lo, s12
	v_add_co_u32 v3, vcc_lo, s16, v3
	v_add_co_ci_u32_e32 v4, vcc_lo, s17, v4, vcc_lo
	v_lshl_add_u32 v5, v2, 2, s7
	s_mov_b32 s12, 0
	global_load_b32 v6, v[3:4], off
	ds_load_b32 v5, v5
	s_waitcnt lgkmcnt(0)
	v_add_f32_e32 v7, v7, v5
.LBB2_149:                              ;   Parent Loop BB2_144 Depth=1
                                        ; =>  This Inner Loop Header: Depth=2
	s_waitcnt vmcnt(0)
	s_delay_alu instid0(VALU_DEP_1)
	v_add_f32_e32 v5, v6, v7
	global_atomic_cmpswap_b32 v5, v[3:4], v[5:6], off glc
	s_waitcnt vmcnt(0)
	v_cmp_eq_u32_e32 vcc_lo, v5, v6
	v_mov_b32_e32 v6, v5
	s_or_b32 s12, vcc_lo, s12
	s_delay_alu instid0(SALU_CYCLE_1)
	s_and_not1_b32 exec_lo, exec_lo, s12
	s_cbranch_execnz .LBB2_149
; %bb.150:                              ;   in Loop: Header=BB2_144 Depth=1
	s_or_b32 exec_lo, exec_lo, s12
	v_add_nc_u32_e32 v2, s1, v2
	s_delay_alu instid0(VALU_DEP_1) | instskip(SKIP_1) | instid1(SALU_CYCLE_1)
	v_cmp_le_i32_e32 vcc_lo, s19, v2
	s_or_b32 s10, vcc_lo, s10
	s_and_not1_b32 exec_lo, exec_lo, s10
	s_cbranch_execnz .LBB2_144
.LBB2_151:
	s_or_b32 exec_lo, exec_lo, s6
	s_mov_b32 s6, 0
.LBB2_152:
	s_delay_alu instid0(SALU_CYCLE_1)
	s_and_not1_b32 vcc_lo, exec_lo, s6
	s_cbranch_vccnz .LBB2_177
; %bb.153:
	v_cvt_f32_u32_e32 v2, s5
	s_sub_i32 s1, 0, s5
	v_mov_b32_e32 v8, 0
	s_delay_alu instid0(VALU_DEP_2) | instskip(SKIP_2) | instid1(VALU_DEP_1)
	v_rcp_iflag_f32_e32 v2, v2
	s_waitcnt_depctr 0xfff
	v_mul_f32_e32 v2, 0x4f7ffffe, v2
	v_cvt_u32_f32_e32 v2, v2
	s_delay_alu instid0(VALU_DEP_1) | instskip(SKIP_1) | instid1(VALU_DEP_1)
	v_mul_lo_u32 v3, s1, v2
	s_mov_b32 s1, exec_lo
	v_mul_hi_u32 v3, v2, v3
	s_delay_alu instid0(VALU_DEP_1) | instskip(NEXT) | instid1(VALU_DEP_1)
	v_add_nc_u32_e32 v2, v2, v3
	v_mul_hi_u32 v2, v0, v2
	s_delay_alu instid0(VALU_DEP_1) | instskip(SKIP_1) | instid1(VALU_DEP_2)
	v_mul_lo_u32 v3, v2, s5
	v_add_nc_u32_e32 v4, 1, v2
	v_sub_nc_u32_e32 v3, v0, v3
	s_delay_alu instid0(VALU_DEP_1) | instskip(SKIP_1) | instid1(VALU_DEP_2)
	v_subrev_nc_u32_e32 v5, s5, v3
	v_cmp_le_u32_e32 vcc_lo, s5, v3
	v_dual_cndmask_b32 v3, v3, v5 :: v_dual_cndmask_b32 v2, v2, v4
	s_delay_alu instid0(VALU_DEP_1) | instskip(NEXT) | instid1(VALU_DEP_2)
	v_cmp_le_u32_e32 vcc_lo, s5, v3
	v_add_nc_u32_e32 v4, 1, v2
	s_delay_alu instid0(VALU_DEP_1) | instskip(NEXT) | instid1(VALU_DEP_1)
	v_cndmask_b32_e32 v2, v2, v4, vcc_lo
	v_lshlrev_b32_e32 v3, 2, v2
	global_load_b64 v[3:4], v3, s[2:3]
	v_cmpx_gt_i32_e64 s21, v2
	s_cbranch_execz .LBB2_167
; %bb.154:
	s_abs_i32 s2, s5
	s_waitcnt vmcnt(0)
	v_subrev_nc_u32_e32 v5, s23, v4
	v_cvt_f32_u32_e32 v2, s2
	s_sub_i32 s3, 0, s2
	s_delay_alu instid0(VALU_DEP_1) | instskip(SKIP_2) | instid1(VALU_DEP_1)
	v_rcp_iflag_f32_e32 v2, v2
	s_waitcnt_depctr 0xfff
	v_mul_f32_e32 v2, 0x4f7ffffe, v2
	v_cvt_u32_f32_e32 v6, v2
	v_subrev_nc_u32_e32 v2, s23, v3
	s_delay_alu instid0(VALU_DEP_2) | instskip(NEXT) | instid1(VALU_DEP_2)
	v_mul_lo_u32 v7, s3, v6
	v_sub_nc_u32_e32 v4, v5, v2
	s_ashr_i32 s3, s5, 31
	s_delay_alu instid0(VALU_DEP_1) | instskip(NEXT) | instid1(VALU_DEP_3)
	v_sub_nc_u32_e32 v8, 0, v4
	v_mul_hi_u32 v7, v6, v7
	s_delay_alu instid0(VALU_DEP_2) | instskip(SKIP_1) | instid1(VALU_DEP_3)
	v_max_i32_e32 v8, v4, v8
	v_ashrrev_i32_e32 v4, 31, v4
	v_add_nc_u32_e32 v10, v6, v7
	s_delay_alu instid0(VALU_DEP_2) | instskip(NEXT) | instid1(VALU_DEP_2)
	v_xor_b32_e32 v4, s3, v4
	v_mad_u64_u32 v[6:7], null, v8, v10, 0
	s_delay_alu instid0(VALU_DEP_1) | instskip(NEXT) | instid1(VALU_DEP_1)
	v_mul_lo_u32 v6, v7, s2
	v_sub_nc_u32_e32 v6, v8, v6
	v_add_nc_u32_e32 v8, 1, v7
	s_delay_alu instid0(VALU_DEP_2) | instskip(SKIP_1) | instid1(VALU_DEP_2)
	v_subrev_nc_u32_e32 v10, s2, v6
	v_cmp_le_u32_e32 vcc_lo, s2, v6
	v_dual_cndmask_b32 v7, v7, v8 :: v_dual_cndmask_b32 v6, v6, v10
	s_delay_alu instid0(VALU_DEP_1) | instskip(NEXT) | instid1(VALU_DEP_2)
	v_add_nc_u32_e32 v8, 1, v7
	v_cmp_le_u32_e32 vcc_lo, s2, v6
	s_add_i32 s2, s5, -1
	s_delay_alu instid0(VALU_DEP_2) | instskip(SKIP_1) | instid1(VALU_DEP_2)
	v_cndmask_b32_e32 v6, v7, v8, vcc_lo
	v_mov_b32_e32 v8, 0
	v_xor_b32_e32 v6, v6, v4
	s_delay_alu instid0(VALU_DEP_1) | instskip(SKIP_2) | instid1(VALU_DEP_2)
	v_sub_nc_u32_e32 v7, v6, v4
	v_and_b32_e32 v6, s2, v0
	s_mov_b32 s2, exec_lo
	v_cmpx_lt_i32_e32 0, v7
	s_cbranch_execz .LBB2_164
; %bb.155:
	v_mov_b32_e32 v4, 0
	v_mov_b32_e32 v8, 0
	s_mov_b32 s3, exec_lo
	v_cmpx_lt_u32_e32 7, v7
	s_cbranch_execz .LBB2_159
; %bb.156:
	v_add_nc_u32_e32 v4, v3, v6
	s_lshl_b32 s6, s5, 5
	s_lshl_b32 s8, s5, 2
	s_mov_b32 s7, 0
	s_mov_b32 s9, 0
	v_subrev_nc_u32_e32 v8, s23, v4
	v_and_b32_e32 v4, 0x7ffffff8, v7
	s_delay_alu instid0(VALU_DEP_2)
	v_lshlrev_b32_e32 v10, 2, v8
	v_mov_b32_e32 v8, 0
	s_set_inst_prefetch_distance 0x1
	.p2align	6
.LBB2_157:                              ; =>This Inner Loop Header: Depth=1
	ds_load_b32 v12, v10
	v_add_nc_u32_e32 v11, s8, v10
	s_add_i32 s9, s9, 8
	s_delay_alu instid0(SALU_CYCLE_1) | instskip(NEXT) | instid1(VALU_DEP_2)
	v_cmp_eq_u32_e32 vcc_lo, s9, v4
	v_add_nc_u32_e32 v13, s8, v11
	ds_load_b32 v11, v11
	s_or_b32 s7, vcc_lo, s7
	v_add_nc_u32_e32 v14, s8, v13
	ds_load_b32 v13, v13
	v_add_nc_u32_e32 v15, s8, v14
	ds_load_b32 v14, v14
	v_add_nc_u32_e32 v10, s6, v10
	s_waitcnt lgkmcnt(3)
	v_add_f32_e32 v8, v8, v12
	s_waitcnt lgkmcnt(2)
	s_delay_alu instid0(VALU_DEP_1) | instskip(SKIP_3) | instid1(VALU_DEP_1)
	v_add_f32_e32 v8, v8, v11
	ds_load_b32 v12, v15
	v_add_nc_u32_e32 v16, s8, v15
	s_waitcnt lgkmcnt(2)
	v_dual_add_f32 v8, v8, v13 :: v_dual_add_nc_u32 v15, s8, v16
	ds_load_b32 v16, v16
	ds_load_b32 v17, v15
	s_waitcnt lgkmcnt(3)
	v_dual_add_f32 v8, v8, v14 :: v_dual_add_nc_u32 v11, s8, v15
	s_waitcnt lgkmcnt(2)
	s_delay_alu instid0(VALU_DEP_1) | instskip(SKIP_4) | instid1(VALU_DEP_1)
	v_add_f32_e32 v8, v8, v12
	ds_load_b32 v11, v11
	s_waitcnt lgkmcnt(2)
	v_add_f32_e32 v8, v8, v16
	s_waitcnt lgkmcnt(1)
	v_add_f32_e32 v8, v8, v17
	s_waitcnt lgkmcnt(0)
	s_delay_alu instid0(VALU_DEP_1)
	v_add_f32_e32 v8, v8, v11
	s_and_not1_b32 exec_lo, exec_lo, s7
	s_cbranch_execnz .LBB2_157
; %bb.158:
	s_set_inst_prefetch_distance 0x2
	s_or_b32 exec_lo, exec_lo, s7
.LBB2_159:
	s_delay_alu instid0(SALU_CYCLE_1) | instskip(SKIP_3) | instid1(VALU_DEP_1)
	s_or_b32 exec_lo, exec_lo, s3
	v_and_b32_e32 v10, 7, v7
	s_mov_b32 s6, 0
	s_mov_b32 s3, exec_lo
	v_cmpx_ne_u32_e32 0, v10
	s_cbranch_execz .LBB2_163
; %bb.160:
	v_mul_lo_u32 v4, v4, s5
	s_lshl_b32 s7, s5, 2
	s_delay_alu instid0(VALU_DEP_1) | instskip(NEXT) | instid1(VALU_DEP_1)
	v_add3_u32 v3, v3, v6, v4
	v_subrev_nc_u32_e32 v3, s23, v3
	s_delay_alu instid0(VALU_DEP_1)
	v_lshlrev_b32_e32 v3, 2, v3
.LBB2_161:                              ; =>This Inner Loop Header: Depth=1
	ds_load_b32 v4, v3
	v_add_nc_u32_e32 v10, -1, v10
	v_add_nc_u32_e32 v3, s7, v3
	s_delay_alu instid0(VALU_DEP_2)
	v_cmp_eq_u32_e32 vcc_lo, 0, v10
	s_or_b32 s6, vcc_lo, s6
	s_waitcnt lgkmcnt(0)
	v_add_f32_e32 v8, v8, v4
	s_and_not1_b32 exec_lo, exec_lo, s6
	s_cbranch_execnz .LBB2_161
; %bb.162:
	s_or_b32 exec_lo, exec_lo, s6
.LBB2_163:
	s_delay_alu instid0(SALU_CYCLE_1)
	s_or_b32 exec_lo, exec_lo, s3
.LBB2_164:
	s_delay_alu instid0(SALU_CYCLE_1) | instskip(SKIP_2) | instid1(VALU_DEP_1)
	s_or_b32 exec_lo, exec_lo, s2
	v_mad_u64_u32 v[3:4], null, v7, s5, v[2:3]
	s_mov_b32 s2, exec_lo
	v_sub_nc_u32_e32 v2, v5, v3
	s_delay_alu instid0(VALU_DEP_1)
	v_cmpx_lt_i32_e64 v6, v2
	s_cbranch_execz .LBB2_166
; %bb.165:
	v_add_lshl_u32 v2, v3, v6, 2
	ds_load_b32 v2, v2
	s_waitcnt lgkmcnt(0)
	v_add_f32_e32 v8, v8, v2
.LBB2_166:
	s_or_b32 exec_lo, exec_lo, s2
.LBB2_167:
	s_delay_alu instid0(SALU_CYCLE_1)
	s_or_b32 exec_lo, exec_lo, s1
	s_waitcnt vmcnt(0)
	s_barrier
	buffer_gl0_inv
	ds_store_b32 v9, v8
	s_waitcnt lgkmcnt(0)
	s_barrier
	buffer_gl0_inv
	s_mov_b32 s1, exec_lo
	v_cmpx_gt_i32_e64 s21, v0
	s_cbranch_execz .LBB2_177
; %bb.168:
	v_mul_lo_u32 v2, s5, v0
	s_cmp_lt_u32 s5, 8
	s_cbranch_scc1 .LBB2_171
; %bb.169:
	s_delay_alu instid0(VALU_DEP_1)
	v_dual_mov_b32 v3, 0 :: v_dual_lshlrev_b32 v4, 2, v2
	s_and_b32 s1, s5, 0x7ffffff8
	s_mov_b32 s2, 0
	.p2align	6
.LBB2_170:                              ; =>This Inner Loop Header: Depth=1
	ds_load_2addr_b32 v[5:6], v4 offset1:1
	ds_load_2addr_b32 v[7:8], v4 offset0:2 offset1:3
	ds_load_2addr_b32 v[9:10], v4 offset0:4 offset1:5
	ds_load_2addr_b32 v[11:12], v4 offset0:6 offset1:7
	s_add_i32 s2, s2, 8
	v_add_nc_u32_e32 v4, 32, v4
	s_cmp_eq_u32 s1, s2
	s_waitcnt lgkmcnt(3)
	v_add_f32_e32 v3, v3, v5
	s_delay_alu instid0(VALU_DEP_1) | instskip(SKIP_1) | instid1(VALU_DEP_1)
	v_add_f32_e32 v3, v3, v6
	s_waitcnt lgkmcnt(2)
	v_add_f32_e32 v3, v3, v7
	s_delay_alu instid0(VALU_DEP_1) | instskip(SKIP_1) | instid1(VALU_DEP_1)
	v_add_f32_e32 v3, v3, v8
	;; [unrolled: 4-line block ×3, first 2 shown]
	s_waitcnt lgkmcnt(0)
	v_add_f32_e32 v3, v3, v11
	s_delay_alu instid0(VALU_DEP_1)
	v_add_f32_e32 v3, v3, v12
	s_cbranch_scc0 .LBB2_170
	s_branch .LBB2_172
.LBB2_171:
	v_mov_b32_e32 v3, 0
	s_mov_b32 s1, 0
.LBB2_172:
	s_bfe_u32 s2, s4, 0x30001
	s_delay_alu instid0(SALU_CYCLE_1)
	s_cmp_eq_u32 s2, 0
	s_cbranch_scc1 .LBB2_175
; %bb.173:
	v_add_lshl_u32 v2, s1, v2, 2
.LBB2_174:                              ; =>This Inner Loop Header: Depth=1
	ds_load_b32 v4, v2
	v_add_nc_u32_e32 v2, 4, v2
	s_add_i32 s2, s2, -1
	s_delay_alu instid0(SALU_CYCLE_1)
	s_cmp_lg_u32 s2, 0
	s_waitcnt lgkmcnt(0)
	v_add_f32_e32 v3, v3, v4
	s_cbranch_scc1 .LBB2_174
.LBB2_175:
	v_ashrrev_i32_e32 v2, 31, v1
	v_lshlrev_b32_e32 v0, 2, v0
	s_lshl_b32 s0, s0, 2
	s_delay_alu instid0(VALU_DEP_2) | instskip(NEXT) | instid1(VALU_DEP_2)
	v_lshlrev_b64 v[1:2], 2, v[1:2]
	v_add3_u32 v0, 0x1000, s0, v0
	s_mov_b32 s0, 0
	ds_load_b32 v0, v0
	v_add_co_u32 v1, vcc_lo, s16, v1
	v_add_co_ci_u32_e32 v2, vcc_lo, s17, v2, vcc_lo
	global_load_b32 v4, v[1:2], off
	s_waitcnt lgkmcnt(0)
	v_add_f32_e32 v0, v3, v0
.LBB2_176:                              ; =>This Inner Loop Header: Depth=1
	s_waitcnt vmcnt(0)
	s_delay_alu instid0(VALU_DEP_1)
	v_add_f32_e32 v3, v4, v0
	global_atomic_cmpswap_b32 v3, v[1:2], v[3:4], off glc
	s_waitcnt vmcnt(0)
	v_cmp_eq_u32_e32 vcc_lo, v3, v4
	v_mov_b32_e32 v4, v3
	s_or_b32 s0, vcc_lo, s0
	s_delay_alu instid0(SALU_CYCLE_1)
	s_and_not1_b32 exec_lo, exec_lo, s0
	s_cbranch_execnz .LBB2_176
.LBB2_177:
	s_endpgm
	.section	.rodata,"a",@progbits
	.p2align	6, 0x0
	.amdhsa_kernel _ZN9rocsparseL27csrmvn_symm_adaptive_kernelIiiffffEEvbT_S1_PKS1_NS_24const_host_device_scalarIT4_EES3_PKT0_PKT1_PKT2_S6_PT3_21rocsparse_index_base_b
		.amdhsa_group_segment_fixed_size 4096
		.amdhsa_private_segment_fixed_size 0
		.amdhsa_kernarg_size 344
		.amdhsa_user_sgpr_count 15
		.amdhsa_user_sgpr_dispatch_ptr 0
		.amdhsa_user_sgpr_queue_ptr 0
		.amdhsa_user_sgpr_kernarg_segment_ptr 1
		.amdhsa_user_sgpr_dispatch_id 0
		.amdhsa_user_sgpr_private_segment_size 0
		.amdhsa_wavefront_size32 1
		.amdhsa_uses_dynamic_stack 0
		.amdhsa_enable_private_segment 0
		.amdhsa_system_sgpr_workgroup_id_x 1
		.amdhsa_system_sgpr_workgroup_id_y 0
		.amdhsa_system_sgpr_workgroup_id_z 0
		.amdhsa_system_sgpr_workgroup_info 0
		.amdhsa_system_vgpr_workitem_id 0
		.amdhsa_next_free_vgpr 18
		.amdhsa_next_free_sgpr 34
		.amdhsa_reserve_vcc 1
		.amdhsa_float_round_mode_32 0
		.amdhsa_float_round_mode_16_64 0
		.amdhsa_float_denorm_mode_32 3
		.amdhsa_float_denorm_mode_16_64 3
		.amdhsa_dx10_clamp 1
		.amdhsa_ieee_mode 1
		.amdhsa_fp16_overflow 0
		.amdhsa_workgroup_processor_mode 1
		.amdhsa_memory_ordered 1
		.amdhsa_forward_progress 0
		.amdhsa_shared_vgpr_count 0
		.amdhsa_exception_fp_ieee_invalid_op 0
		.amdhsa_exception_fp_denorm_src 0
		.amdhsa_exception_fp_ieee_div_zero 0
		.amdhsa_exception_fp_ieee_overflow 0
		.amdhsa_exception_fp_ieee_underflow 0
		.amdhsa_exception_fp_ieee_inexact 0
		.amdhsa_exception_int_div_zero 0
	.end_amdhsa_kernel
	.section	.text._ZN9rocsparseL27csrmvn_symm_adaptive_kernelIiiffffEEvbT_S1_PKS1_NS_24const_host_device_scalarIT4_EES3_PKT0_PKT1_PKT2_S6_PT3_21rocsparse_index_base_b,"axG",@progbits,_ZN9rocsparseL27csrmvn_symm_adaptive_kernelIiiffffEEvbT_S1_PKS1_NS_24const_host_device_scalarIT4_EES3_PKT0_PKT1_PKT2_S6_PT3_21rocsparse_index_base_b,comdat
.Lfunc_end2:
	.size	_ZN9rocsparseL27csrmvn_symm_adaptive_kernelIiiffffEEvbT_S1_PKS1_NS_24const_host_device_scalarIT4_EES3_PKT0_PKT1_PKT2_S6_PT3_21rocsparse_index_base_b, .Lfunc_end2-_ZN9rocsparseL27csrmvn_symm_adaptive_kernelIiiffffEEvbT_S1_PKS1_NS_24const_host_device_scalarIT4_EES3_PKT0_PKT1_PKT2_S6_PT3_21rocsparse_index_base_b
                                        ; -- End function
	.section	.AMDGPU.csdata,"",@progbits
; Kernel info:
; codeLenInByte = 7684
; NumSgprs: 36
; NumVgprs: 18
; ScratchSize: 0
; MemoryBound: 0
; FloatMode: 240
; IeeeMode: 1
; LDSByteSize: 4096 bytes/workgroup (compile time only)
; SGPRBlocks: 4
; VGPRBlocks: 2
; NumSGPRsForWavesPerEU: 36
; NumVGPRsForWavesPerEU: 18
; Occupancy: 16
; WaveLimiterHint : 1
; COMPUTE_PGM_RSRC2:SCRATCH_EN: 0
; COMPUTE_PGM_RSRC2:USER_SGPR: 15
; COMPUTE_PGM_RSRC2:TRAP_HANDLER: 0
; COMPUTE_PGM_RSRC2:TGID_X_EN: 1
; COMPUTE_PGM_RSRC2:TGID_Y_EN: 0
; COMPUTE_PGM_RSRC2:TGID_Z_EN: 0
; COMPUTE_PGM_RSRC2:TIDIG_COMP_CNT: 0
	.section	.text._ZL33csrmvn_symm_large_adaptive_kernelIiiffffEvbT_PKS0_N9rocsparse24const_host_device_scalarIT4_EES2_PKT0_PKT1_PKT2_S6_PT3_21rocsparse_index_base_b,"axG",@progbits,_ZL33csrmvn_symm_large_adaptive_kernelIiiffffEvbT_PKS0_N9rocsparse24const_host_device_scalarIT4_EES2_PKT0_PKT1_PKT2_S6_PT3_21rocsparse_index_base_b,comdat
	.globl	_ZL33csrmvn_symm_large_adaptive_kernelIiiffffEvbT_PKS0_N9rocsparse24const_host_device_scalarIT4_EES2_PKT0_PKT1_PKT2_S6_PT3_21rocsparse_index_base_b ; -- Begin function _ZL33csrmvn_symm_large_adaptive_kernelIiiffffEvbT_PKS0_N9rocsparse24const_host_device_scalarIT4_EES2_PKT0_PKT1_PKT2_S6_PT3_21rocsparse_index_base_b
	.p2align	8
	.type	_ZL33csrmvn_symm_large_adaptive_kernelIiiffffEvbT_PKS0_N9rocsparse24const_host_device_scalarIT4_EES2_PKT0_PKT1_PKT2_S6_PT3_21rocsparse_index_base_b,@function
_ZL33csrmvn_symm_large_adaptive_kernelIiiffffEvbT_PKS0_N9rocsparse24const_host_device_scalarIT4_EES2_PKT0_PKT1_PKT2_S6_PT3_21rocsparse_index_base_b: ; @_ZL33csrmvn_symm_large_adaptive_kernelIiiffffEvbT_PKS0_N9rocsparse24const_host_device_scalarIT4_EES2_PKT0_PKT1_PKT2_S6_PT3_21rocsparse_index_base_b
; %bb.0:
	s_clause 0x2
	s_load_b64 s[6:7], s[0:1], 0x48
	s_load_b64 s[16:17], s[0:1], 0x10
	;; [unrolled: 1-line block ×3, first 2 shown]
	s_mov_b32 s2, s15
	s_waitcnt lgkmcnt(0)
	s_bitcmp1_b32 s7, 0
	s_cselect_b32 s3, -1, 0
	s_delay_alu instid0(SALU_CYCLE_1)
	s_and_b32 vcc_lo, exec_lo, s3
	s_xor_b32 s3, s3, -1
	s_cbranch_vccnz .LBB3_2
; %bb.1:
	s_load_b32 s16, s[16:17], 0x0
.LBB3_2:
	s_and_not1_b32 vcc_lo, exec_lo, s3
	s_cbranch_vccnz .LBB3_4
; %bb.3:
	s_load_b32 s4, s[4:5], 0x0
.LBB3_4:
	s_waitcnt lgkmcnt(0)
	v_cmp_neq_f32_e64 s3, s16, 0
	v_cmp_neq_f32_e64 s4, s4, 1.0
	s_delay_alu instid0(VALU_DEP_1) | instskip(NEXT) | instid1(SALU_CYCLE_1)
	s_or_b32 s3, s3, s4
	s_and_not1_b32 vcc_lo, exec_lo, s3
	s_cbranch_vccnz .LBB3_38
; %bb.5:
	s_load_b64 s[4:5], s[0:1], 0x8
	s_ashr_i32 s3, s2, 31
	v_lshlrev_b32_e32 v5, 2, v0
	v_mov_b32_e32 v1, 0
	s_lshl_b64 s[2:3], s[2:3], 2
	ds_store_2addr_stride64_b32 v5, v1, v1 offset1:4
	ds_store_2addr_stride64_b32 v5, v1, v1 offset0:8 offset1:12
	s_waitcnt lgkmcnt(0)
	s_barrier
	buffer_gl0_inv
	s_add_u32 s2, s4, s2
	s_addc_u32 s3, s5, s3
	s_load_b64 s[18:19], s[2:3], 0x0
	s_clause 0x1
	s_load_b256 s[8:15], s[0:1], 0x18
	s_load_b64 s[20:21], s[0:1], 0x40
	s_waitcnt lgkmcnt(0)
	s_cmp_lt_i32 s18, s19
	s_cbranch_scc1 .LBB3_7
; %bb.6:
	s_ashr_i32 s1, s18, 31
	s_mov_b32 s0, s18
	s_delay_alu instid0(SALU_CYCLE_1) | instskip(NEXT) | instid1(SALU_CYCLE_1)
	s_lshl_b64 s[0:1], s[0:1], 2
	s_add_u32 s0, s8, s0
	s_addc_u32 s1, s9, s1
	s_load_b32 s7, s[0:1], 0x0
	v_subrev_nc_u32_e32 v6, s6, v0
	s_cbranch_execz .LBB3_8
	s_branch .LBB3_28
.LBB3_7:
                                        ; implicit-def: $sgpr7
	v_subrev_nc_u32_e32 v6, s6, v0
.LBB3_8:
	s_ashr_i32 s1, s18, 31
	s_mov_b32 s0, s18
	v_cmp_gt_u32_e32 vcc_lo, 0x100, v0
	s_lshl_b64 s[0:1], s[0:1], 2
	v_cmp_gt_u32_e64 s2, 4, v0
	s_add_u32 s0, s8, s0
	s_addc_u32 s1, s9, s1
	v_cmp_eq_u32_e64 s3, 0, v0
	s_waitcnt lgkmcnt(0)
	s_load_b32 s7, s[0:1], 0x0
	v_cmp_gt_u32_e64 s0, 64, v0
	v_cmp_gt_u32_e64 s1, 16, v0
	v_mov_b32_e32 v7, 0
	s_add_u32 s17, s8, 4
	s_addc_u32 s26, s9, 0
	s_mov_b32 s22, s18
	s_waitcnt lgkmcnt(0)
	s_mov_b32 s27, s7
	s_branch .LBB3_10
.LBB3_9:                                ;   in Loop: Header=BB3_10 Depth=1
	s_or_b32 exec_lo, exec_lo, s5
	s_add_i32 s22, s22, 1
	s_delay_alu instid0(SALU_CYCLE_1)
	s_cmp_ge_i32 s22, s19
	s_cbranch_scc1 .LBB3_28
.LBB3_10:                               ; =>This Loop Header: Depth=1
                                        ;     Child Loop BB3_12 Depth 2
                                        ;     Child Loop BB3_27 Depth 2
	s_ashr_i32 s23, s22, 31
	v_mov_b32_e32 v8, 0
	s_lshl_b64 s[24:25], s[22:23], 2
	s_mov_b32 s23, s27
	s_add_u32 s4, s17, s24
	s_addc_u32 s5, s26, s25
	v_add_nc_u32_e32 v0, s23, v6
	s_load_b32 s27, s[4:5], 0x0
	s_mov_b32 s23, exec_lo
	s_waitcnt lgkmcnt(0)
	s_sub_i32 s28, s27, s6
	s_delay_alu instid0(SALU_CYCLE_1)
	v_cmpx_gt_i32_e64 s28, v0
	s_cbranch_execz .LBB3_14
; %bb.11:                               ;   in Loop: Header=BB3_10 Depth=1
	v_ashrrev_i32_e32 v1, 31, v0
	v_mov_b32_e32 v8, 0
	s_mov_b32 s29, 0
	s_delay_alu instid0(VALU_DEP_2) | instskip(NEXT) | instid1(VALU_DEP_1)
	v_lshlrev_b64 v[3:4], 2, v[0:1]
	v_add_co_u32 v1, s4, s10, v3
	s_delay_alu instid0(VALU_DEP_1) | instskip(SKIP_1) | instid1(VALU_DEP_1)
	v_add_co_ci_u32_e64 v2, s4, s11, v4, s4
	v_add_co_u32 v3, s4, s12, v3
	v_add_co_ci_u32_e64 v4, s4, s13, v4, s4
	.p2align	6
.LBB3_12:                               ;   Parent Loop BB3_10 Depth=1
                                        ; =>  This Inner Loop Header: Depth=2
	global_load_b32 v9, v[1:2], off
	v_add_nc_u32_e32 v0, 0x100, v0
	s_delay_alu instid0(VALU_DEP_1) | instskip(NEXT) | instid1(VALU_DEP_1)
	v_cmp_le_i32_e64 s5, s28, v0
	s_or_b32 s29, s5, s29
	s_waitcnt vmcnt(0)
	v_subrev_nc_u32_e32 v9, s6, v9
	s_delay_alu instid0(VALU_DEP_1) | instskip(NEXT) | instid1(VALU_DEP_1)
	v_ashrrev_i32_e32 v10, 31, v9
	v_lshlrev_b64 v[9:10], 2, v[9:10]
	s_delay_alu instid0(VALU_DEP_1) | instskip(NEXT) | instid1(VALU_DEP_1)
	v_add_co_u32 v9, s4, s14, v9
	v_add_co_ci_u32_e64 v10, s4, s15, v10, s4
	v_add_co_u32 v1, s4, 0x400, v1
	global_load_b32 v11, v[3:4], off
	global_load_b32 v9, v[9:10], off
	v_add_co_ci_u32_e64 v2, s4, 0, v2, s4
	v_add_co_u32 v3, s4, 0x400, v3
	s_delay_alu instid0(VALU_DEP_1)
	v_add_co_ci_u32_e64 v4, s4, 0, v4, s4
	s_waitcnt vmcnt(0)
	v_fmac_f32_e32 v8, v11, v9
	s_and_not1_b32 exec_lo, exec_lo, s29
	s_cbranch_execnz .LBB3_12
; %bb.13:                               ;   in Loop: Header=BB3_10 Depth=1
	s_or_b32 exec_lo, exec_lo, s29
.LBB3_14:                               ;   in Loop: Header=BB3_10 Depth=1
	s_delay_alu instid0(SALU_CYCLE_1)
	s_or_b32 exec_lo, exec_lo, s23
	ds_store_b32 v5, v8
	s_waitcnt lgkmcnt(0)
	s_barrier
	buffer_gl0_inv
	s_and_saveexec_b32 s4, vcc_lo
	s_cbranch_execz .LBB3_16
; %bb.15:                               ;   in Loop: Header=BB3_10 Depth=1
	ds_load_2addr_stride64_b32 v[0:1], v5 offset1:4
	ds_load_2addr_stride64_b32 v[2:3], v5 offset0:8 offset1:12
	s_waitcnt lgkmcnt(0)
	v_add_f32_e32 v1, v1, v2
	s_delay_alu instid0(VALU_DEP_1) | instskip(NEXT) | instid1(VALU_DEP_1)
	v_add_f32_e32 v1, v1, v3
	v_add_f32_e32 v0, v0, v1
	ds_store_b32 v5, v0
.LBB3_16:                               ;   in Loop: Header=BB3_10 Depth=1
	s_or_b32 exec_lo, exec_lo, s4
	s_waitcnt lgkmcnt(0)
	s_barrier
	buffer_gl0_inv
	s_and_saveexec_b32 s4, s0
	s_cbranch_execz .LBB3_18
; %bb.17:                               ;   in Loop: Header=BB3_10 Depth=1
	ds_load_2addr_stride64_b32 v[0:1], v5 offset1:1
	ds_load_2addr_stride64_b32 v[2:3], v5 offset0:2 offset1:3
	s_waitcnt lgkmcnt(0)
	v_add_f32_e32 v1, v1, v2
	s_delay_alu instid0(VALU_DEP_1) | instskip(NEXT) | instid1(VALU_DEP_1)
	v_add_f32_e32 v1, v1, v3
	v_add_f32_e32 v0, v0, v1
	ds_store_b32 v5, v0
.LBB3_18:                               ;   in Loop: Header=BB3_10 Depth=1
	s_or_b32 exec_lo, exec_lo, s4
	s_waitcnt lgkmcnt(0)
	s_barrier
	buffer_gl0_inv
	s_and_saveexec_b32 s4, s1
	s_cbranch_execz .LBB3_20
; %bb.19:                               ;   in Loop: Header=BB3_10 Depth=1
	ds_load_2addr_b32 v[0:1], v5 offset1:16
	ds_load_2addr_b32 v[2:3], v5 offset0:32 offset1:48
	s_waitcnt lgkmcnt(0)
	v_add_f32_e32 v1, v1, v2
	s_delay_alu instid0(VALU_DEP_1) | instskip(NEXT) | instid1(VALU_DEP_1)
	v_add_f32_e32 v1, v1, v3
	v_add_f32_e32 v0, v0, v1
	ds_store_b32 v5, v0
.LBB3_20:                               ;   in Loop: Header=BB3_10 Depth=1
	s_or_b32 exec_lo, exec_lo, s4
	s_waitcnt lgkmcnt(0)
	s_barrier
	buffer_gl0_inv
	s_and_saveexec_b32 s4, s2
	s_cbranch_execz .LBB3_22
; %bb.21:                               ;   in Loop: Header=BB3_10 Depth=1
	ds_load_2addr_b32 v[0:1], v5 offset1:4
	ds_load_2addr_b32 v[2:3], v5 offset0:8 offset1:12
	s_waitcnt lgkmcnt(0)
	v_add_f32_e32 v1, v1, v2
	s_delay_alu instid0(VALU_DEP_1) | instskip(NEXT) | instid1(VALU_DEP_1)
	v_add_f32_e32 v1, v1, v3
	v_add_f32_e32 v0, v0, v1
	ds_store_b32 v5, v0
.LBB3_22:                               ;   in Loop: Header=BB3_10 Depth=1
	s_or_b32 exec_lo, exec_lo, s4
	s_waitcnt lgkmcnt(0)
	s_barrier
	buffer_gl0_inv
	s_and_saveexec_b32 s4, s3
	s_cbranch_execz .LBB3_24
; %bb.23:                               ;   in Loop: Header=BB3_10 Depth=1
	ds_load_2addr_b32 v[0:1], v7 offset0:1 offset1:2
	ds_load_b32 v2, v7 offset:12
	ds_load_b32 v3, v5
	s_waitcnt lgkmcnt(2)
	v_add_f32_e32 v0, v0, v1
	s_waitcnt lgkmcnt(1)
	s_delay_alu instid0(VALU_DEP_1) | instskip(SKIP_1) | instid1(VALU_DEP_1)
	v_add_f32_e32 v0, v0, v2
	s_waitcnt lgkmcnt(0)
	v_add_f32_e32 v0, v3, v0
	ds_store_b32 v5, v0
.LBB3_24:                               ;   in Loop: Header=BB3_10 Depth=1
	s_or_b32 exec_lo, exec_lo, s4
	s_waitcnt lgkmcnt(0)
	s_barrier
	buffer_gl0_inv
	s_and_saveexec_b32 s5, s3
	s_cbranch_execz .LBB3_9
; %bb.25:                               ;   in Loop: Header=BB3_10 Depth=1
	s_mov_b32 s23, exec_lo
	s_delay_alu instid0(SALU_CYCLE_1) | instskip(NEXT) | instid1(VALU_DEP_1)
	v_mbcnt_lo_u32_b32 v0, s23, 0
	v_cmp_eq_u32_e64 s4, 0, v0
	s_delay_alu instid0(VALU_DEP_1) | instskip(NEXT) | instid1(SALU_CYCLE_1)
	s_and_b32 s4, exec_lo, s4
	s_mov_b32 exec_lo, s4
	s_cbranch_execz .LBB3_9
; %bb.26:                               ;   in Loop: Header=BB3_10 Depth=1
	s_add_u32 s24, s20, s24
	s_addc_u32 s25, s21, s25
	s_bcnt1_i32_b32 s4, s23
	global_load_b32 v1, v7, s[24:25]
	ds_load_b32 v0, v7
	v_cvt_f32_ubyte0_e32 v2, s4
	s_mov_b32 s23, 0
	s_waitcnt lgkmcnt(0)
	v_mul_f32_e32 v0, s16, v0
	s_delay_alu instid0(VALU_DEP_1)
	v_mul_f32_e32 v2, v0, v2
.LBB3_27:                               ;   Parent Loop BB3_10 Depth=1
                                        ; =>  This Inner Loop Header: Depth=2
	s_waitcnt vmcnt(0)
	s_delay_alu instid0(VALU_DEP_1) | instskip(SKIP_4) | instid1(VALU_DEP_2)
	v_add_f32_e32 v0, v1, v2
	global_atomic_cmpswap_b32 v0, v7, v[0:1], s[24:25] glc
	s_waitcnt vmcnt(0)
	v_cmp_eq_u32_e64 s4, v0, v1
	v_mov_b32_e32 v1, v0
	s_or_b32 s23, s4, s23
	s_delay_alu instid0(SALU_CYCLE_1)
	s_and_not1_b32 exec_lo, exec_lo, s23
	s_cbranch_execnz .LBB3_27
	s_branch .LBB3_9
.LBB3_28:
	s_ashr_i32 s1, s19, 31
	s_mov_b32 s0, s19
	s_waitcnt lgkmcnt(0)
	v_add_nc_u32_e32 v0, s7, v6
	s_lshl_b64 s[0:1], s[0:1], 2
	s_delay_alu instid0(SALU_CYCLE_1)
	s_add_u32 s0, s8, s0
	s_addc_u32 s1, s9, s1
	s_load_b32 s0, s[0:1], 0x0
	s_waitcnt lgkmcnt(0)
	s_sub_i32 s1, s0, s6
	s_mov_b32 s0, exec_lo
	v_cmpx_gt_i32_e64 s1, v0
	s_cbranch_execz .LBB3_38
; %bb.29:
	s_add_i32 s2, s19, -1
	s_mov_b32 s4, 0
	s_cmp_gt_i32 s2, s18
	s_cselect_b32 s0, -1, 0
	s_add_i32 s3, s19, -2
	s_delay_alu instid0(SALU_CYCLE_1) | instskip(SKIP_1) | instid1(SALU_CYCLE_1)
	s_cmp_lg_u32 s3, s18
	s_cselect_b32 s3, -1, 0
	s_and_b32 s3, s0, s3
	s_branch .LBB3_31
.LBB3_30:                               ;   in Loop: Header=BB3_31 Depth=1
	s_or_b32 exec_lo, exec_lo, s0
	v_add_nc_u32_e32 v0, 0x100, v0
	s_delay_alu instid0(VALU_DEP_1) | instskip(SKIP_1) | instid1(SALU_CYCLE_1)
	v_cmp_le_i32_e32 vcc_lo, s1, v0
	s_or_b32 s4, vcc_lo, s4
	s_and_not1_b32 exec_lo, exec_lo, s4
	s_cbranch_execz .LBB3_38
.LBB3_31:                               ; =>This Loop Header: Depth=1
                                        ;     Child Loop BB3_33 Depth 2
                                        ;     Child Loop BB3_37 Depth 2
	v_dual_mov_b32 v5, s18 :: v_dual_mov_b32 v2, s2
	s_and_not1_b32 vcc_lo, exec_lo, s3
	s_cbranch_vccnz .LBB3_35
; %bb.32:                               ;   in Loop: Header=BB3_31 Depth=1
	v_dual_mov_b32 v5, s18 :: v_dual_mov_b32 v2, s2
	s_mov_b32 s5, 0
	.p2align	6
.LBB3_33:                               ;   Parent Loop BB3_31 Depth=1
                                        ; =>  This Inner Loop Header: Depth=2
	s_delay_alu instid0(VALU_DEP_1) | instskip(NEXT) | instid1(VALU_DEP_1)
	v_add_nc_u32_e32 v1, v2, v5
	v_lshrrev_b32_e32 v3, 31, v1
	s_delay_alu instid0(VALU_DEP_1) | instskip(NEXT) | instid1(VALU_DEP_1)
	v_add_nc_u32_e32 v1, v1, v3
	v_ashrrev_i32_e32 v3, 1, v1
	s_delay_alu instid0(VALU_DEP_1) | instskip(NEXT) | instid1(VALU_DEP_1)
	v_ashrrev_i32_e32 v4, 31, v3
	v_lshlrev_b64 v[6:7], 2, v[3:4]
	s_delay_alu instid0(VALU_DEP_1) | instskip(NEXT) | instid1(VALU_DEP_2)
	v_add_co_u32 v6, vcc_lo, s8, v6
	v_add_co_ci_u32_e32 v7, vcc_lo, s9, v7, vcc_lo
	global_load_b32 v1, v[6:7], off
	s_waitcnt vmcnt(0)
	v_subrev_nc_u32_e32 v1, s6, v1
	s_delay_alu instid0(VALU_DEP_1) | instskip(SKIP_1) | instid1(VALU_DEP_1)
	v_cmp_gt_i32_e32 vcc_lo, v1, v0
	v_dual_cndmask_b32 v2, v2, v3 :: v_dual_cndmask_b32 v5, v3, v5
	v_add_nc_u32_e32 v1, -1, v2
	s_delay_alu instid0(VALU_DEP_2) | instskip(NEXT) | instid1(VALU_DEP_2)
	v_cmp_ge_i32_e32 vcc_lo, v5, v2
	v_cmp_eq_u32_e64 s0, v5, v1
	s_delay_alu instid0(VALU_DEP_1) | instskip(NEXT) | instid1(SALU_CYCLE_1)
	s_or_b32 s0, vcc_lo, s0
	s_and_b32 s0, exec_lo, s0
	s_delay_alu instid0(SALU_CYCLE_1) | instskip(NEXT) | instid1(SALU_CYCLE_1)
	s_or_b32 s5, s0, s5
	s_and_not1_b32 exec_lo, exec_lo, s5
	s_cbranch_execnz .LBB3_33
; %bb.34:                               ;   in Loop: Header=BB3_31 Depth=1
	s_or_b32 exec_lo, exec_lo, s5
.LBB3_35:                               ;   in Loop: Header=BB3_31 Depth=1
	s_delay_alu instid0(VALU_DEP_1) | instskip(SKIP_2) | instid1(VALU_DEP_2)
	v_ashrrev_i32_e32 v3, 31, v2
	v_ashrrev_i32_e32 v1, 31, v0
	s_mov_b32 s0, exec_lo
	v_lshlrev_b64 v[3:4], 2, v[2:3]
	s_delay_alu instid0(VALU_DEP_1) | instskip(NEXT) | instid1(VALU_DEP_2)
	v_add_co_u32 v6, vcc_lo, s8, v3
	v_add_co_ci_u32_e32 v7, vcc_lo, s9, v4, vcc_lo
	v_lshlrev_b64 v[3:4], 2, v[0:1]
	global_load_b32 v1, v[6:7], off
	v_add_co_u32 v6, vcc_lo, s10, v3
	v_add_co_ci_u32_e32 v7, vcc_lo, s11, v4, vcc_lo
	global_load_b32 v6, v[6:7], off
	s_waitcnt vmcnt(1)
	v_subrev_nc_u32_e32 v1, s6, v1
	s_delay_alu instid0(VALU_DEP_1) | instskip(SKIP_3) | instid1(VALU_DEP_1)
	v_cmp_gt_i32_e32 vcc_lo, v1, v0
	s_waitcnt vmcnt(0)
	v_subrev_nc_u32_e32 v1, s6, v6
	v_cndmask_b32_e32 v5, v2, v5, vcc_lo
	v_cmpx_ne_u32_e64 v1, v5
	s_cbranch_execz .LBB3_30
; %bb.36:                               ;   in Loop: Header=BB3_31 Depth=1
	v_ashrrev_i32_e32 v6, 31, v5
	v_ashrrev_i32_e32 v2, 31, v1
	v_add_co_u32 v3, vcc_lo, s12, v3
	v_add_co_ci_u32_e32 v4, vcc_lo, s13, v4, vcc_lo
	s_delay_alu instid0(VALU_DEP_4) | instskip(NEXT) | instid1(VALU_DEP_4)
	v_lshlrev_b64 v[5:6], 2, v[5:6]
	v_lshlrev_b64 v[1:2], 2, v[1:2]
	s_mov_b32 s5, 0
	global_load_b32 v7, v[3:4], off
	v_add_co_u32 v3, vcc_lo, s14, v5
	v_add_co_ci_u32_e32 v4, vcc_lo, s15, v6, vcc_lo
	v_add_co_u32 v1, vcc_lo, s20, v1
	v_add_co_ci_u32_e32 v2, vcc_lo, s21, v2, vcc_lo
	global_load_b32 v3, v[3:4], off
	global_load_b32 v4, v[1:2], off
	s_waitcnt vmcnt(2)
	v_mul_f32_e32 v5, s16, v7
	s_waitcnt vmcnt(1)
	s_delay_alu instid0(VALU_DEP_1)
	v_mul_f32_e32 v5, v5, v3
.LBB3_37:                               ;   Parent Loop BB3_31 Depth=1
                                        ; =>  This Inner Loop Header: Depth=2
	s_waitcnt vmcnt(0)
	s_delay_alu instid0(VALU_DEP_1)
	v_add_f32_e32 v3, v4, v5
	global_atomic_cmpswap_b32 v3, v[1:2], v[3:4], off glc
	s_waitcnt vmcnt(0)
	v_cmp_eq_u32_e32 vcc_lo, v3, v4
	v_mov_b32_e32 v4, v3
	s_or_b32 s5, vcc_lo, s5
	s_delay_alu instid0(SALU_CYCLE_1)
	s_and_not1_b32 exec_lo, exec_lo, s5
	s_cbranch_execnz .LBB3_37
	s_branch .LBB3_30
.LBB3_38:
	s_endpgm
	.section	.rodata,"a",@progbits
	.p2align	6, 0x0
	.amdhsa_kernel _ZL33csrmvn_symm_large_adaptive_kernelIiiffffEvbT_PKS0_N9rocsparse24const_host_device_scalarIT4_EES2_PKT0_PKT1_PKT2_S6_PT3_21rocsparse_index_base_b
		.amdhsa_group_segment_fixed_size 4096
		.amdhsa_private_segment_fixed_size 0
		.amdhsa_kernarg_size 80
		.amdhsa_user_sgpr_count 15
		.amdhsa_user_sgpr_dispatch_ptr 0
		.amdhsa_user_sgpr_queue_ptr 0
		.amdhsa_user_sgpr_kernarg_segment_ptr 1
		.amdhsa_user_sgpr_dispatch_id 0
		.amdhsa_user_sgpr_private_segment_size 0
		.amdhsa_wavefront_size32 1
		.amdhsa_uses_dynamic_stack 0
		.amdhsa_enable_private_segment 0
		.amdhsa_system_sgpr_workgroup_id_x 1
		.amdhsa_system_sgpr_workgroup_id_y 0
		.amdhsa_system_sgpr_workgroup_id_z 0
		.amdhsa_system_sgpr_workgroup_info 0
		.amdhsa_system_vgpr_workitem_id 0
		.amdhsa_next_free_vgpr 12
		.amdhsa_next_free_sgpr 30
		.amdhsa_reserve_vcc 1
		.amdhsa_float_round_mode_32 0
		.amdhsa_float_round_mode_16_64 0
		.amdhsa_float_denorm_mode_32 3
		.amdhsa_float_denorm_mode_16_64 3
		.amdhsa_dx10_clamp 1
		.amdhsa_ieee_mode 1
		.amdhsa_fp16_overflow 0
		.amdhsa_workgroup_processor_mode 1
		.amdhsa_memory_ordered 1
		.amdhsa_forward_progress 0
		.amdhsa_shared_vgpr_count 0
		.amdhsa_exception_fp_ieee_invalid_op 0
		.amdhsa_exception_fp_denorm_src 0
		.amdhsa_exception_fp_ieee_div_zero 0
		.amdhsa_exception_fp_ieee_overflow 0
		.amdhsa_exception_fp_ieee_underflow 0
		.amdhsa_exception_fp_ieee_inexact 0
		.amdhsa_exception_int_div_zero 0
	.end_amdhsa_kernel
	.section	.text._ZL33csrmvn_symm_large_adaptive_kernelIiiffffEvbT_PKS0_N9rocsparse24const_host_device_scalarIT4_EES2_PKT0_PKT1_PKT2_S6_PT3_21rocsparse_index_base_b,"axG",@progbits,_ZL33csrmvn_symm_large_adaptive_kernelIiiffffEvbT_PKS0_N9rocsparse24const_host_device_scalarIT4_EES2_PKT0_PKT1_PKT2_S6_PT3_21rocsparse_index_base_b,comdat
.Lfunc_end3:
	.size	_ZL33csrmvn_symm_large_adaptive_kernelIiiffffEvbT_PKS0_N9rocsparse24const_host_device_scalarIT4_EES2_PKT0_PKT1_PKT2_S6_PT3_21rocsparse_index_base_b, .Lfunc_end3-_ZL33csrmvn_symm_large_adaptive_kernelIiiffffEvbT_PKS0_N9rocsparse24const_host_device_scalarIT4_EES2_PKT0_PKT1_PKT2_S6_PT3_21rocsparse_index_base_b
                                        ; -- End function
	.section	.AMDGPU.csdata,"",@progbits
; Kernel info:
; codeLenInByte = 1824
; NumSgprs: 32
; NumVgprs: 12
; ScratchSize: 0
; MemoryBound: 0
; FloatMode: 240
; IeeeMode: 1
; LDSByteSize: 4096 bytes/workgroup (compile time only)
; SGPRBlocks: 3
; VGPRBlocks: 1
; NumSGPRsForWavesPerEU: 32
; NumVGPRsForWavesPerEU: 12
; Occupancy: 16
; WaveLimiterHint : 1
; COMPUTE_PGM_RSRC2:SCRATCH_EN: 0
; COMPUTE_PGM_RSRC2:USER_SGPR: 15
; COMPUTE_PGM_RSRC2:TRAP_HANDLER: 0
; COMPUTE_PGM_RSRC2:TGID_X_EN: 1
; COMPUTE_PGM_RSRC2:TGID_Y_EN: 0
; COMPUTE_PGM_RSRC2:TGID_Z_EN: 0
; COMPUTE_PGM_RSRC2:TIDIG_COMP_CNT: 0
	.section	.text._ZN9rocsparseL22csrmvn_adaptive_kernelIliffffEEvbT_PKS1_PjPKT0_NS_24const_host_device_scalarIT4_EES3_S7_PKT1_PKT2_SA_PT3_21rocsparse_index_base_b,"axG",@progbits,_ZN9rocsparseL22csrmvn_adaptive_kernelIliffffEEvbT_PKS1_PjPKT0_NS_24const_host_device_scalarIT4_EES3_S7_PKT1_PKT2_SA_PT3_21rocsparse_index_base_b,comdat
	.globl	_ZN9rocsparseL22csrmvn_adaptive_kernelIliffffEEvbT_PKS1_PjPKT0_NS_24const_host_device_scalarIT4_EES3_S7_PKT1_PKT2_SA_PT3_21rocsparse_index_base_b ; -- Begin function _ZN9rocsparseL22csrmvn_adaptive_kernelIliffffEEvbT_PKS1_PjPKT0_NS_24const_host_device_scalarIT4_EES3_S7_PKT1_PKT2_SA_PT3_21rocsparse_index_base_b
	.p2align	8
	.type	_ZN9rocsparseL22csrmvn_adaptive_kernelIliffffEEvbT_PKS1_PjPKT0_NS_24const_host_device_scalarIT4_EES3_S7_PKT1_PKT2_SA_PT3_21rocsparse_index_base_b,@function
_ZN9rocsparseL22csrmvn_adaptive_kernelIliffffEEvbT_PKS1_PjPKT0_NS_24const_host_device_scalarIT4_EES3_S7_PKT1_PKT2_SA_PT3_21rocsparse_index_base_b: ; @_ZN9rocsparseL22csrmvn_adaptive_kernelIliffffEEvbT_PKS1_PjPKT0_NS_24const_host_device_scalarIT4_EES3_S7_PKT1_PKT2_SA_PT3_21rocsparse_index_base_b
; %bb.0:
	s_clause 0x2
	s_load_b64 s[36:37], s[0:1], 0x60
	s_load_b64 s[34:35], s[0:1], 0x28
	;; [unrolled: 1-line block ×3, first 2 shown]
	s_mov_b32 s38, s15
	s_waitcnt lgkmcnt(0)
	s_bitcmp1_b32 s37, 0
	s_cselect_b32 s2, -1, 0
	s_delay_alu instid0(SALU_CYCLE_1)
	s_and_b32 vcc_lo, exec_lo, s2
	s_xor_b32 s2, s2, -1
	s_cbranch_vccnz .LBB4_2
; %bb.1:
	s_load_b32 s34, s[34:35], 0x0
.LBB4_2:
	s_and_not1_b32 vcc_lo, exec_lo, s2
	s_cbranch_vccnz .LBB4_4
; %bb.3:
	s_load_b32 s24, s[24:25], 0x0
.LBB4_4:
	s_waitcnt lgkmcnt(0)
	v_cmp_neq_f32_e64 s2, s34, 0
	v_cmp_neq_f32_e64 s3, s24, 1.0
	s_delay_alu instid0(VALU_DEP_1) | instskip(NEXT) | instid1(SALU_CYCLE_1)
	s_or_b32 s2, s2, s3
	s_and_not1_b32 vcc_lo, exec_lo, s2
	s_cbranch_vccnz .LBB4_116
; %bb.5:
	s_clause 0x2
	s_load_b64 s[2:3], s[0:1], 0x10
	s_load_b64 s[6:7], s[0:1], 0x20
	;; [unrolled: 1-line block ×3, first 2 shown]
	s_ashr_i32 s39, s38, 31
	s_delay_alu instid0(SALU_CYCLE_1)
	s_lshl_b64 s[4:5], s[38:39], 3
	s_waitcnt lgkmcnt(0)
	s_add_u32 s2, s2, s4
	s_addc_u32 s3, s3, s5
	s_lshl_b64 s[40:41], s[38:39], 2
	s_load_b128 s[20:23], s[2:3], 0x0
	s_load_b256 s[12:19], s[0:1], 0x30
	s_mov_b32 s3, -1
	s_waitcnt lgkmcnt(0)
	s_sub_i32 s2, s22, s20
	s_add_u32 s4, s6, s40
	s_addc_u32 s5, s7, s41
	s_lshl_b64 s[6:7], s[20:21], 3
	s_delay_alu instid0(SALU_CYCLE_1)
	s_add_u32 s28, s12, s6
	s_addc_u32 s29, s13, s7
	s_load_b32 s25, s[4:5], 0x0
	s_load_b64 s[30:31], s[28:29], 0x0
	s_cmp_lt_i32 s2, 2
	s_cbranch_scc0 .LBB4_72
; %bb.6:
	s_cmp_lg_u32 s2, 1
	s_cselect_b32 s2, -1, 0
	s_waitcnt lgkmcnt(0)
	s_cmp_lg_u32 s25, 0
	s_cselect_b32 s3, -1, 0
	s_delay_alu instid0(SALU_CYCLE_1) | instskip(NEXT) | instid1(SALU_CYCLE_1)
	s_or_b32 s2, s2, s3
	s_and_b32 vcc_lo, exec_lo, s2
	s_mov_b32 s2, -1
	s_cbranch_vccnz .LBB4_35
; %bb.7:
	v_cmp_le_i64_e64 s2, s[22:23], s[20:21]
	s_delay_alu instid0(VALU_DEP_1)
	s_and_b32 vcc_lo, exec_lo, s2
	s_cbranch_vccnz .LBB4_34
; %bb.8:
	v_sub_co_u32 v7, s2, v0, s36
	s_delay_alu instid0(VALU_DEP_1)
	v_sub_co_ci_u32_e64 v8, null, 0, 0, s2
	v_dual_mov_b32 v10, 0 :: v_dual_lshlrev_b32 v9, 2, v0
	v_cmp_gt_u32_e64 s2, 0x80, v0
	v_cmp_gt_u32_e64 s3, 64, v0
	;; [unrolled: 1-line block ×7, first 2 shown]
	v_cmp_eq_u32_e64 s9, 0, v0
	v_cmp_neq_f32_e64 s33, s24, 0
	s_add_u32 s11, s12, 8
	s_addc_u32 s35, s13, 0
	s_mov_b64 s[44:45], s[30:31]
	s_mov_b64 s[42:43], s[20:21]
	s_branch .LBB4_11
.LBB4_9:                                ;   in Loop: Header=BB4_11 Depth=1
	s_lshl_b64 s[46:47], s[42:43], 2
	s_delay_alu instid0(SALU_CYCLE_1)
	s_add_u32 s46, s26, s46
	s_addc_u32 s47, s27, s47
	s_waitcnt lgkmcnt(0)
	global_store_b32 v10, v1, s[46:47]
.LBB4_10:                               ;   in Loop: Header=BB4_11 Depth=1
	s_or_b32 exec_lo, exec_lo, s10
	s_add_u32 s42, s42, 1
	s_addc_u32 s43, s43, 0
	s_delay_alu instid0(SALU_CYCLE_1) | instskip(NEXT) | instid1(VALU_DEP_1)
	v_cmp_ge_i64_e64 s10, s[42:43], s[22:23]
	s_and_b32 vcc_lo, exec_lo, s10
	s_cbranch_vccnz .LBB4_34
.LBB4_11:                               ; =>This Loop Header: Depth=1
                                        ;     Child Loop BB4_13 Depth 2
	s_lshl_b64 s[46:47], s[42:43], 3
	s_mov_b64 s[48:49], s[44:45]
	s_add_u32 s46, s11, s46
	s_addc_u32 s47, s35, s47
	v_add_co_u32 v1, vcc_lo, s48, v7
	s_load_b64 s[44:45], s[46:47], 0x0
	v_add_co_ci_u32_e32 v2, vcc_lo, s49, v8, vcc_lo
	v_mov_b32_e32 v11, 0
	s_mov_b32 s37, exec_lo
	s_waitcnt lgkmcnt(0)
	s_sub_u32 s46, s44, s36
	s_subb_u32 s47, s45, 0
	s_delay_alu instid0(SALU_CYCLE_1)
	v_cmpx_gt_i64_e64 s[46:47], v[1:2]
	s_cbranch_execz .LBB4_15
; %bb.12:                               ;   in Loop: Header=BB4_11 Depth=1
	v_lshlrev_b64 v[5:6], 2, v[1:2]
	v_mov_b32_e32 v11, 0
	s_mov_b32 s39, 0
	s_delay_alu instid0(VALU_DEP_2) | instskip(NEXT) | instid1(VALU_DEP_3)
	v_add_co_u32 v3, vcc_lo, s16, v5
	v_add_co_ci_u32_e32 v4, vcc_lo, s17, v6, vcc_lo
	v_add_co_u32 v5, vcc_lo, s14, v5
	v_add_co_ci_u32_e32 v6, vcc_lo, s15, v6, vcc_lo
	.p2align	6
.LBB4_13:                               ;   Parent Loop BB4_11 Depth=1
                                        ; =>  This Inner Loop Header: Depth=2
	global_load_b32 v12, v[5:6], off
	global_load_b32 v14, v[3:4], off
	v_add_co_u32 v5, s10, 0x400, v5
	s_delay_alu instid0(VALU_DEP_1) | instskip(SKIP_2) | instid1(VALU_DEP_1)
	v_add_co_ci_u32_e64 v6, s10, 0, v6, s10
	s_waitcnt vmcnt(1)
	v_subrev_nc_u32_e32 v12, s36, v12
	v_ashrrev_i32_e32 v13, 31, v12
	s_delay_alu instid0(VALU_DEP_1) | instskip(NEXT) | instid1(VALU_DEP_1)
	v_lshlrev_b64 v[12:13], 2, v[12:13]
	v_add_co_u32 v12, vcc_lo, s18, v12
	s_delay_alu instid0(VALU_DEP_2)
	v_add_co_ci_u32_e32 v13, vcc_lo, s19, v13, vcc_lo
	v_add_co_u32 v1, vcc_lo, 0x100, v1
	v_add_co_ci_u32_e32 v2, vcc_lo, 0, v2, vcc_lo
	global_load_b32 v12, v[12:13], off
	v_add_co_u32 v3, vcc_lo, 0x400, v3
	s_waitcnt vmcnt(1)
	v_mul_f32_e32 v13, s34, v14
	v_add_co_ci_u32_e32 v4, vcc_lo, 0, v4, vcc_lo
	v_cmp_le_i64_e32 vcc_lo, s[46:47], v[1:2]
	s_or_b32 s39, vcc_lo, s39
	s_waitcnt vmcnt(0)
	v_fmac_f32_e32 v11, v13, v12
	s_and_not1_b32 exec_lo, exec_lo, s39
	s_cbranch_execnz .LBB4_13
; %bb.14:                               ;   in Loop: Header=BB4_11 Depth=1
	s_or_b32 exec_lo, exec_lo, s39
.LBB4_15:                               ;   in Loop: Header=BB4_11 Depth=1
	s_delay_alu instid0(SALU_CYCLE_1)
	s_or_b32 exec_lo, exec_lo, s37
	ds_store_b32 v9, v11
	s_waitcnt lgkmcnt(0)
	s_waitcnt_vscnt null, 0x0
	s_barrier
	buffer_gl0_inv
	s_and_saveexec_b32 s10, s2
	s_cbranch_execz .LBB4_17
; %bb.16:                               ;   in Loop: Header=BB4_11 Depth=1
	ds_load_2addr_stride64_b32 v[1:2], v9 offset1:2
	s_waitcnt lgkmcnt(0)
	v_add_f32_e32 v1, v1, v2
	ds_store_b32 v9, v1
.LBB4_17:                               ;   in Loop: Header=BB4_11 Depth=1
	s_or_b32 exec_lo, exec_lo, s10
	s_waitcnt lgkmcnt(0)
	s_barrier
	buffer_gl0_inv
	s_and_saveexec_b32 s10, s3
	s_cbranch_execz .LBB4_19
; %bb.18:                               ;   in Loop: Header=BB4_11 Depth=1
	ds_load_2addr_stride64_b32 v[1:2], v9 offset1:1
	s_waitcnt lgkmcnt(0)
	v_add_f32_e32 v1, v1, v2
	ds_store_b32 v9, v1
.LBB4_19:                               ;   in Loop: Header=BB4_11 Depth=1
	s_or_b32 exec_lo, exec_lo, s10
	s_waitcnt lgkmcnt(0)
	s_barrier
	buffer_gl0_inv
	s_and_saveexec_b32 s10, s4
	s_cbranch_execz .LBB4_21
; %bb.20:                               ;   in Loop: Header=BB4_11 Depth=1
	ds_load_2addr_b32 v[1:2], v9 offset1:32
	s_waitcnt lgkmcnt(0)
	v_add_f32_e32 v1, v1, v2
	ds_store_b32 v9, v1
.LBB4_21:                               ;   in Loop: Header=BB4_11 Depth=1
	s_or_b32 exec_lo, exec_lo, s10
	s_waitcnt lgkmcnt(0)
	s_barrier
	buffer_gl0_inv
	s_and_saveexec_b32 s10, s5
	s_cbranch_execz .LBB4_23
; %bb.22:                               ;   in Loop: Header=BB4_11 Depth=1
	ds_load_2addr_b32 v[1:2], v9 offset1:16
	s_waitcnt lgkmcnt(0)
	v_add_f32_e32 v1, v1, v2
	ds_store_b32 v9, v1
.LBB4_23:                               ;   in Loop: Header=BB4_11 Depth=1
	;; [unrolled: 12-line block ×5, first 2 shown]
	s_or_b32 exec_lo, exec_lo, s10
	s_waitcnt lgkmcnt(0)
	s_barrier
	buffer_gl0_inv
	s_and_saveexec_b32 s10, s9
	s_cbranch_execz .LBB4_31
; %bb.30:                               ;   in Loop: Header=BB4_11 Depth=1
	ds_load_b64 v[1:2], v10
	s_waitcnt lgkmcnt(0)
	v_add_f32_e32 v1, v1, v2
	ds_store_b32 v10, v1
.LBB4_31:                               ;   in Loop: Header=BB4_11 Depth=1
	s_or_b32 exec_lo, exec_lo, s10
	s_waitcnt lgkmcnt(0)
	s_barrier
	buffer_gl0_inv
	s_and_saveexec_b32 s10, s9
	s_cbranch_execz .LBB4_10
; %bb.32:                               ;   in Loop: Header=BB4_11 Depth=1
	ds_load_b32 v1, v10
	s_and_not1_b32 vcc_lo, exec_lo, s33
	s_cbranch_vccnz .LBB4_9
; %bb.33:                               ;   in Loop: Header=BB4_11 Depth=1
	s_lshl_b64 s[46:47], s[42:43], 2
	s_delay_alu instid0(SALU_CYCLE_1)
	s_add_u32 s46, s26, s46
	s_addc_u32 s47, s27, s47
	global_load_b32 v2, v10, s[46:47]
	s_waitcnt vmcnt(0) lgkmcnt(0)
	v_fmac_f32_e32 v1, s24, v2
	s_branch .LBB4_9
.LBB4_34:
	s_mov_b32 s2, 0
.LBB4_35:
	s_delay_alu instid0(SALU_CYCLE_1)
	s_and_not1_b32 vcc_lo, exec_lo, s2
	s_cbranch_vccnz .LBB4_71
; %bb.36:
	s_load_b64 s[6:7], s[0:1], 0x18
	s_sub_i32 s8, s38, s25
	v_or_b32_e32 v1, s25, v0
	v_mov_b32_e32 v7, 0
	s_mov_b32 s2, exec_lo
	s_waitcnt lgkmcnt(0)
	s_add_u32 s4, s6, s40
	s_addc_u32 s5, s7, s41
	s_load_b32 s33, s[4:5], 0x0
	v_cmpx_eq_u32_e32 0, v1
	s_cbranch_execz .LBB4_40
; %bb.37:
	s_lshl_b64 s[38:39], s[20:21], 2
	s_mov_b32 s10, exec_lo
	s_add_u32 s38, s26, s38
	s_addc_u32 s39, s27, s39
	v_mbcnt_lo_u32_b32 v2, s10, 0
	s_load_b32 s3, s[38:39], 0x0
	v_add_f32_e64 v1, s24, -1.0
	s_mov_b32 s11, exec_lo
	s_waitcnt vmcnt(0) expcnt(0) lgkmcnt(0)
	s_waitcnt_vscnt null, 0x0
	v_cmpx_eq_u32_e32 0, v2
	s_cbranch_execz .LBB4_39
; %bb.38:
	s_ashr_i32 s9, s8, 31
	s_delay_alu instid0(SALU_CYCLE_1) | instskip(NEXT) | instid1(SALU_CYCLE_1)
	s_lshl_b64 s[38:39], s[8:9], 2
	s_add_u32 s38, s6, s38
	s_addc_u32 s39, s7, s39
	s_bcnt1_i32_b32 s9, s10
	s_delay_alu instid0(SALU_CYCLE_1) | instskip(NEXT) | instid1(SALU_CYCLE_1)
	s_and_b32 s9, s9, 1
	v_dual_mov_b32 v2, 0 :: v_dual_mov_b32 v3, s9
	global_atomic_xor_b32 v2, v3, s[38:39]
.LBB4_39:
	s_or_b32 exec_lo, exec_lo, s11
	v_mul_f32_e32 v7, s3, v1
.LBB4_40:
	s_or_b32 exec_lo, exec_lo, s2
	s_load_b64 s[2:3], s[28:29], 0x8
	s_mul_i32 s10, s25, 0xc00
	s_sub_u32 s11, s30, s36
	s_subb_u32 s35, s31, 0
	s_mul_hi_i32 s9, s25, 0xc00
	s_add_u32 s11, s11, s10
	s_addc_u32 s10, s35, s9
	v_add_co_u32 v1, s9, s11, v0
	s_delay_alu instid0(VALU_DEP_1) | instskip(SKIP_4) | instid1(SALU_CYCLE_1)
	v_add_co_ci_u32_e64 v2, null, s10, 0, s9
	s_mov_b32 s9, exec_lo
	s_waitcnt lgkmcnt(0)
	s_sub_u32 s2, s2, s36
	s_subb_u32 s3, s3, 0
	v_cmpx_gt_i64_e64 s[2:3], v[1:2]
	s_cbranch_execz .LBB4_44
; %bb.41:
	v_lshlrev_b64 v[5:6], 2, v[1:2]
	s_add_u32 s38, s11, 0xc00
	s_addc_u32 s39, s10, 0
	s_delay_alu instid0(SALU_CYCLE_1) | instskip(NEXT) | instid1(VALU_DEP_2)
	v_cmp_lt_i64_e64 s10, s[38:39], s[2:3]
	v_add_co_u32 v3, vcc_lo, s16, v5
	s_delay_alu instid0(VALU_DEP_3)
	v_add_co_ci_u32_e32 v4, vcc_lo, s17, v6, vcc_lo
	v_add_co_u32 v5, vcc_lo, s14, v5
	v_add_co_ci_u32_e32 v6, vcc_lo, s15, v6, vcc_lo
	s_and_b32 s10, s10, exec_lo
	s_cselect_b32 s11, s39, s3
	s_cselect_b32 s10, s38, s2
	s_mov_b32 s3, 0
	.p2align	6
.LBB4_42:                               ; =>This Inner Loop Header: Depth=1
	global_load_b32 v8, v[5:6], off
	global_load_b32 v10, v[3:4], off
	v_add_co_u32 v5, s2, 0x400, v5
	s_delay_alu instid0(VALU_DEP_1) | instskip(SKIP_2) | instid1(VALU_DEP_1)
	v_add_co_ci_u32_e64 v6, s2, 0, v6, s2
	s_waitcnt vmcnt(1)
	v_subrev_nc_u32_e32 v8, s36, v8
	v_ashrrev_i32_e32 v9, 31, v8
	s_delay_alu instid0(VALU_DEP_1) | instskip(NEXT) | instid1(VALU_DEP_1)
	v_lshlrev_b64 v[8:9], 2, v[8:9]
	v_add_co_u32 v8, vcc_lo, s18, v8
	s_delay_alu instid0(VALU_DEP_2)
	v_add_co_ci_u32_e32 v9, vcc_lo, s19, v9, vcc_lo
	v_add_co_u32 v1, vcc_lo, 0x100, v1
	v_add_co_ci_u32_e32 v2, vcc_lo, 0, v2, vcc_lo
	global_load_b32 v8, v[8:9], off
	v_add_co_u32 v3, vcc_lo, 0x400, v3
	s_waitcnt vmcnt(1)
	v_mul_f32_e32 v9, s34, v10
	v_add_co_ci_u32_e32 v4, vcc_lo, 0, v4, vcc_lo
	v_cmp_le_i64_e32 vcc_lo, s[10:11], v[1:2]
	s_or_b32 s3, vcc_lo, s3
	s_waitcnt vmcnt(0)
	v_fmac_f32_e32 v7, v9, v8
	s_and_not1_b32 exec_lo, exec_lo, s3
	s_cbranch_execnz .LBB4_42
; %bb.43:
	s_or_b32 exec_lo, exec_lo, s3
.LBB4_44:
	s_delay_alu instid0(SALU_CYCLE_1)
	s_or_b32 exec_lo, exec_lo, s9
	v_lshlrev_b32_e32 v1, 2, v0
	s_mov_b32 s2, exec_lo
	ds_store_b32 v1, v7
	s_waitcnt lgkmcnt(0)
	s_waitcnt_vscnt null, 0x0
	s_barrier
	buffer_gl0_inv
	v_cmpx_gt_u32_e32 0x80, v0
	s_cbranch_execz .LBB4_46
; %bb.45:
	ds_load_2addr_stride64_b32 v[2:3], v1 offset1:2
	s_waitcnt lgkmcnt(0)
	v_add_f32_e32 v2, v2, v3
	ds_store_b32 v1, v2
.LBB4_46:
	s_or_b32 exec_lo, exec_lo, s2
	s_delay_alu instid0(SALU_CYCLE_1)
	s_mov_b32 s2, exec_lo
	s_waitcnt lgkmcnt(0)
	s_barrier
	buffer_gl0_inv
	v_cmpx_gt_u32_e32 64, v0
	s_cbranch_execz .LBB4_48
; %bb.47:
	ds_load_2addr_stride64_b32 v[2:3], v1 offset1:1
	s_waitcnt lgkmcnt(0)
	v_add_f32_e32 v2, v2, v3
	ds_store_b32 v1, v2
.LBB4_48:
	s_or_b32 exec_lo, exec_lo, s2
	s_delay_alu instid0(SALU_CYCLE_1)
	s_mov_b32 s2, exec_lo
	s_waitcnt lgkmcnt(0)
	s_barrier
	buffer_gl0_inv
	v_cmpx_gt_u32_e32 32, v0
	s_cbranch_execz .LBB4_50
; %bb.49:
	ds_load_2addr_b32 v[2:3], v1 offset1:32
	s_waitcnt lgkmcnt(0)
	v_add_f32_e32 v2, v2, v3
	ds_store_b32 v1, v2
.LBB4_50:
	s_or_b32 exec_lo, exec_lo, s2
	s_delay_alu instid0(SALU_CYCLE_1)
	s_mov_b32 s2, exec_lo
	s_waitcnt lgkmcnt(0)
	s_barrier
	buffer_gl0_inv
	v_cmpx_gt_u32_e32 16, v0
	s_cbranch_execz .LBB4_52
; %bb.51:
	ds_load_2addr_b32 v[2:3], v1 offset1:16
	s_waitcnt lgkmcnt(0)
	v_add_f32_e32 v2, v2, v3
	ds_store_b32 v1, v2
.LBB4_52:
	;; [unrolled: 14-line block ×5, first 2 shown]
	s_or_b32 exec_lo, exec_lo, s2
	v_cmp_eq_u32_e32 vcc_lo, 0, v0
	s_waitcnt lgkmcnt(0)
	s_barrier
	buffer_gl0_inv
	s_and_saveexec_b32 s2, vcc_lo
	s_cbranch_execz .LBB4_60
; %bb.59:
	v_mov_b32_e32 v3, 0
	ds_load_b64 v[1:2], v3
	s_waitcnt lgkmcnt(0)
	v_add_f32_e32 v1, v1, v2
	ds_store_b32 v3, v1
.LBB4_60:
	s_or_b32 exec_lo, exec_lo, s2
	s_waitcnt lgkmcnt(0)
	s_barrier
	buffer_gl0_inv
	s_and_saveexec_b32 s10, vcc_lo
	s_cbranch_execz .LBB4_70
; %bb.61:
	s_cmp_eq_u32 s25, 0
	s_cbranch_scc1 .LBB4_67
; %bb.62:
	s_ashr_i32 s9, s8, 31
	v_mov_b32_e32 v1, 0
	s_lshl_b64 s[2:3], s[8:9], 2
	s_delay_alu instid0(SALU_CYCLE_1)
	s_add_u32 s2, s6, s2
	s_addc_u32 s3, s7, s3
	s_branch .LBB4_64
.LBB4_63:                               ;   in Loop: Header=BB4_64 Depth=1
	s_or_b32 exec_lo, exec_lo, s6
	s_waitcnt vmcnt(0)
	v_readfirstlane_b32 s6, v2
	s_delay_alu instid0(VALU_DEP_1)
	s_cmp_eq_u32 s6, s33
	s_cbranch_scc0 .LBB4_66
.LBB4_64:                               ; =>This Inner Loop Header: Depth=1
	v_mbcnt_lo_u32_b32 v2, exec_lo, 0
	s_delay_alu instid0(VALU_DEP_1)
	v_cmp_eq_u32_e32 vcc_lo, 0, v2
                                        ; implicit-def: $vgpr2
	s_and_saveexec_b32 s6, vcc_lo
	s_cbranch_execz .LBB4_63
; %bb.65:                               ;   in Loop: Header=BB4_64 Depth=1
	global_load_b32 v2, v1, s[2:3] glc
	s_branch .LBB4_63
.LBB4_66:
	v_mov_b32_e32 v1, 0
	global_load_b32 v2, v1, s[4:5]
	s_waitcnt vmcnt(0)
	v_xor_b32_e32 v2, 1, v2
	global_store_b32 v1, v2, s[4:5]
.LBB4_67:
	s_mov_b32 s4, exec_lo
	s_delay_alu instid0(SALU_CYCLE_1) | instskip(NEXT) | instid1(VALU_DEP_1)
	v_mbcnt_lo_u32_b32 v1, s4, 0
	v_cmp_eq_u32_e32 vcc_lo, 0, v1
	s_and_b32 s2, exec_lo, vcc_lo
	s_delay_alu instid0(SALU_CYCLE_1)
	s_mov_b32 exec_lo, s2
	s_cbranch_execz .LBB4_70
; %bb.68:
	s_lshl_b64 s[2:3], s[20:21], 2
	s_delay_alu instid0(SALU_CYCLE_1) | instskip(SKIP_2) | instid1(SALU_CYCLE_1)
	s_add_u32 s2, s26, s2
	s_addc_u32 s3, s27, s3
	s_bcnt1_i32_b32 s4, s4
	v_cvt_f32_ubyte0_e32 v4, s4
	v_mov_b32_e32 v3, 0
	s_mov_b32 s4, 0
	global_load_b32 v2, v3, s[2:3]
	ds_load_b32 v1, v3
	s_waitcnt lgkmcnt(0)
	v_mul_f32_e32 v4, v1, v4
.LBB4_69:                               ; =>This Inner Loop Header: Depth=1
	s_waitcnt vmcnt(0)
	s_delay_alu instid0(VALU_DEP_1)
	v_add_f32_e32 v1, v2, v4
	global_atomic_cmpswap_b32 v1, v3, v[1:2], s[2:3] glc
	s_waitcnt vmcnt(0)
	v_cmp_eq_u32_e32 vcc_lo, v1, v2
	v_mov_b32_e32 v2, v1
	s_or_b32 s4, vcc_lo, s4
	s_delay_alu instid0(SALU_CYCLE_1)
	s_and_not1_b32 exec_lo, exec_lo, s4
	s_cbranch_execnz .LBB4_69
.LBB4_70:
	s_or_b32 exec_lo, exec_lo, s10
.LBB4_71:
	s_mov_b32 s3, 0
.LBB4_72:
	s_delay_alu instid0(SALU_CYCLE_1)
	s_and_not1_b32 vcc_lo, exec_lo, s3
	s_cbranch_vccnz .LBB4_116
; %bb.73:
	s_load_b64 s[0:1], s[0:1], 0x8
	v_sub_co_u32 v1, s2, v0, s36
	s_delay_alu instid0(VALU_DEP_1) | instskip(SKIP_1) | instid1(VALU_DEP_2)
	v_sub_co_ci_u32_e64 v2, null, 0, 0, s2
	s_waitcnt lgkmcnt(0)
	v_add_co_u32 v1, vcc_lo, s30, v1
	s_delay_alu instid0(VALU_DEP_2) | instskip(NEXT) | instid1(VALU_DEP_2)
	v_add_co_ci_u32_e32 v2, vcc_lo, s31, v2, vcc_lo
	v_add_co_u32 v3, vcc_lo, 0x300, v1
	s_delay_alu instid0(VALU_DEP_2) | instskip(NEXT) | instid1(VALU_DEP_1)
	v_add_co_ci_u32_e32 v4, vcc_lo, 0, v2, vcc_lo
	v_cmp_le_i64_e32 vcc_lo, s[0:1], v[3:4]
	s_and_saveexec_b32 s0, vcc_lo
	s_delay_alu instid0(SALU_CYCLE_1)
	s_xor_b32 s1, exec_lo, s0
	s_cbranch_execz .LBB4_78
; %bb.74:
	s_lshl_b64 s[2:3], s[22:23], 3
	s_mov_b32 s4, exec_lo
	s_add_u32 s2, s12, s2
	s_addc_u32 s3, s13, s3
	s_load_b64 s[2:3], s[2:3], 0x0
	s_waitcnt lgkmcnt(0)
	s_sub_u32 s2, s2, s36
	s_subb_u32 s3, s3, 0
	s_delay_alu instid0(SALU_CYCLE_1)
	v_cmpx_gt_i64_e64 s[2:3], v[1:2]
	s_cbranch_execz .LBB4_77
; %bb.75:
	v_lshlrev_b64 v[5:6], 2, v[1:2]
	v_lshlrev_b32_e32 v7, 2, v0
	s_mov_b32 s5, 0
	s_delay_alu instid0(VALU_DEP_2) | instskip(NEXT) | instid1(VALU_DEP_3)
	v_add_co_u32 v3, vcc_lo, s16, v5
	v_add_co_ci_u32_e32 v4, vcc_lo, s17, v6, vcc_lo
	v_add_co_u32 v5, vcc_lo, s14, v5
	v_add_co_ci_u32_e32 v6, vcc_lo, s15, v6, vcc_lo
	s_set_inst_prefetch_distance 0x1
	.p2align	6
.LBB4_76:                               ; =>This Inner Loop Header: Depth=1
	global_load_b32 v8, v[5:6], off
	global_load_b32 v10, v[3:4], off
	s_waitcnt vmcnt(1)
	v_subrev_nc_u32_e32 v8, s36, v8
	s_delay_alu instid0(VALU_DEP_1) | instskip(NEXT) | instid1(VALU_DEP_1)
	v_ashrrev_i32_e32 v9, 31, v8
	v_lshlrev_b64 v[8:9], 2, v[8:9]
	s_delay_alu instid0(VALU_DEP_1) | instskip(NEXT) | instid1(VALU_DEP_2)
	v_add_co_u32 v8, vcc_lo, s18, v8
	v_add_co_ci_u32_e32 v9, vcc_lo, s19, v9, vcc_lo
	v_add_co_u32 v1, vcc_lo, 0x100, v1
	v_add_co_ci_u32_e32 v2, vcc_lo, 0, v2, vcc_lo
	global_load_b32 v8, v[8:9], off
	s_waitcnt vmcnt(1)
	v_mul_f32_e32 v9, s34, v10
	v_add_co_u32 v3, vcc_lo, 0x400, v3
	v_add_co_ci_u32_e32 v4, vcc_lo, 0, v4, vcc_lo
	v_cmp_le_i64_e64 s0, s[2:3], v[1:2]
	v_add_co_u32 v5, vcc_lo, 0x400, v5
	v_add_co_ci_u32_e32 v6, vcc_lo, 0, v6, vcc_lo
	s_delay_alu instid0(VALU_DEP_3)
	s_or_b32 s5, s0, s5
	s_waitcnt vmcnt(0)
	v_mul_f32_e32 v8, v9, v8
	ds_store_b32 v7, v8
	v_add_nc_u32_e32 v7, 0x400, v7
	s_and_not1_b32 exec_lo, exec_lo, s5
	s_cbranch_execnz .LBB4_76
.LBB4_77:
	s_set_inst_prefetch_distance 0x2
	s_or_b32 exec_lo, exec_lo, s4
                                        ; implicit-def: $vgpr1_vgpr2
.LBB4_78:
	s_or_saveexec_b32 s0, s1
	v_lshlrev_b32_e32 v7, 2, v0
	s_xor_b32 exec_lo, exec_lo, s0
	s_cbranch_execz .LBB4_80
; %bb.79:
	v_lshlrev_b64 v[1:2], 2, v[1:2]
	s_delay_alu instid0(VALU_DEP_1) | instskip(NEXT) | instid1(VALU_DEP_2)
	v_add_co_u32 v3, vcc_lo, s14, v1
	v_add_co_ci_u32_e32 v4, vcc_lo, s15, v2, vcc_lo
	v_add_co_u32 v1, vcc_lo, s16, v1
	v_add_co_ci_u32_e32 v2, vcc_lo, s17, v2, vcc_lo
	s_clause 0x3
	global_load_b32 v5, v[3:4], off
	global_load_b32 v6, v[3:4], off offset:1024
	global_load_b32 v8, v[3:4], off offset:2048
	;; [unrolled: 1-line block ×3, first 2 shown]
	s_clause 0x3
	global_load_b32 v12, v[1:2], off
	global_load_b32 v13, v[1:2], off offset:1024
	global_load_b32 v14, v[1:2], off offset:2048
	;; [unrolled: 1-line block ×3, first 2 shown]
	s_waitcnt vmcnt(7)
	v_subrev_nc_u32_e32 v3, s36, v5
	s_waitcnt vmcnt(6)
	v_subrev_nc_u32_e32 v5, s36, v6
	;; [unrolled: 2-line block ×4, first 2 shown]
	v_ashrrev_i32_e32 v4, 31, v3
	v_ashrrev_i32_e32 v6, 31, v5
	v_ashrrev_i32_e32 v9, 31, v8
	s_delay_alu instid0(VALU_DEP_4) | instskip(NEXT) | instid1(VALU_DEP_4)
	v_ashrrev_i32_e32 v11, 31, v10
	v_lshlrev_b64 v[3:4], 2, v[3:4]
	s_delay_alu instid0(VALU_DEP_4) | instskip(NEXT) | instid1(VALU_DEP_4)
	v_lshlrev_b64 v[1:2], 2, v[5:6]
	v_lshlrev_b64 v[5:6], 2, v[8:9]
	s_delay_alu instid0(VALU_DEP_4) | instskip(NEXT) | instid1(VALU_DEP_4)
	v_lshlrev_b64 v[8:9], 2, v[10:11]
	v_add_co_u32 v3, vcc_lo, s18, v3
	v_add_co_ci_u32_e32 v4, vcc_lo, s19, v4, vcc_lo
	v_add_co_u32 v1, vcc_lo, s18, v1
	v_add_co_ci_u32_e32 v2, vcc_lo, s19, v2, vcc_lo
	;; [unrolled: 2-line block ×4, first 2 shown]
	s_clause 0x3
	global_load_b32 v3, v[3:4], off
	global_load_b32 v1, v[1:2], off
	global_load_b32 v2, v[5:6], off
	global_load_b32 v4, v[8:9], off
	s_waitcnt vmcnt(6)
	v_dual_mul_f32 v5, s34, v12 :: v_dual_mul_f32 v6, s34, v13
	s_waitcnt vmcnt(4)
	v_dual_mul_f32 v8, s34, v14 :: v_dual_mul_f32 v9, s34, v15
	s_waitcnt vmcnt(3)
	s_delay_alu instid0(VALU_DEP_2) | instskip(SKIP_1) | instid1(VALU_DEP_2)
	v_mul_f32_e32 v3, v5, v3
	s_waitcnt vmcnt(1)
	v_dual_mul_f32 v1, v6, v1 :: v_dual_mul_f32 v2, v8, v2
	s_waitcnt vmcnt(0)
	v_mul_f32_e32 v4, v9, v4
	ds_store_2addr_stride64_b32 v7, v3, v1 offset1:4
	ds_store_2addr_stride64_b32 v7, v2, v4 offset0:8 offset1:12
.LBB4_80:
	s_or_b32 exec_lo, exec_lo, s0
	s_cmp_lt_i32 s25, 2
	s_mov_b32 s0, -1
	s_waitcnt lgkmcnt(0)
	s_waitcnt_vscnt null, 0x0
	s_barrier
	buffer_gl0_inv
	s_cbranch_scc0 .LBB4_91
; %bb.81:
	v_add_co_u32 v5, s0, s20, v0
	s_delay_alu instid0(VALU_DEP_1) | instskip(SKIP_1) | instid1(VALU_DEP_1)
	v_add_co_ci_u32_e64 v6, null, s21, 0, s0
	s_mov_b32 s1, exec_lo
	v_cmpx_gt_i64_e64 s[22:23], v[5:6]
	s_cbranch_execz .LBB4_90
; %bb.82:
	v_cmp_neq_f32_e64 s2, s24, 0
	s_lshl_b32 s0, s30, 2
	s_mov_b32 s3, 0
	s_sub_i32 s4, 0, s0
	s_branch .LBB4_84
.LBB4_83:                               ;   in Loop: Header=BB4_84 Depth=1
	v_add_co_u32 v5, vcc_lo, 0x100, v5
	v_add_co_ci_u32_e32 v6, vcc_lo, 0, v6, vcc_lo
	s_delay_alu instid0(VALU_DEP_3) | instskip(NEXT) | instid1(VALU_DEP_1)
	v_add_co_u32 v1, s0, s26, v1
	v_add_co_ci_u32_e64 v2, s0, s27, v2, s0
	s_delay_alu instid0(VALU_DEP_3) | instskip(SKIP_2) | instid1(SALU_CYCLE_1)
	v_cmp_le_i64_e32 vcc_lo, s[22:23], v[5:6]
	global_store_b32 v[1:2], v3, off
	s_or_b32 s3, vcc_lo, s3
	s_and_not1_b32 exec_lo, exec_lo, s3
	s_cbranch_execz .LBB4_90
.LBB4_84:                               ; =>This Loop Header: Depth=1
                                        ;     Child Loop BB4_86 Depth 2
	v_lshlrev_b64 v[1:2], 3, v[5:6]
	s_mov_b32 s0, exec_lo
	s_delay_alu instid0(VALU_DEP_1) | instskip(NEXT) | instid1(VALU_DEP_2)
	v_add_co_u32 v1, vcc_lo, s12, v1
	v_add_co_ci_u32_e32 v2, vcc_lo, s13, v2, vcc_lo
	global_load_b128 v[1:4], v[1:2], off
	s_waitcnt vmcnt(0)
	v_subrev_nc_u32_e32 v2, s30, v1
	v_subrev_nc_u32_e32 v4, s30, v3
	v_mov_b32_e32 v3, 0
	s_delay_alu instid0(VALU_DEP_2)
	v_cmpx_lt_i32_e64 v2, v4
	s_cbranch_execz .LBB4_88
; %bb.85:                               ;   in Loop: Header=BB4_84 Depth=1
	v_lshl_add_u32 v1, v1, 2, s4
	v_mov_b32_e32 v3, 0
	s_mov_b32 s5, 0
.LBB4_86:                               ;   Parent Loop BB4_84 Depth=1
                                        ; =>  This Inner Loop Header: Depth=2
	ds_load_b32 v8, v1
	v_add_nc_u32_e32 v2, 1, v2
	v_add_nc_u32_e32 v1, 4, v1
	s_waitcnt lgkmcnt(0)
	v_add_f32_e32 v3, v3, v8
	s_delay_alu instid0(VALU_DEP_3) | instskip(SKIP_1) | instid1(SALU_CYCLE_1)
	v_cmp_ge_i32_e32 vcc_lo, v2, v4
	s_or_b32 s5, vcc_lo, s5
	s_and_not1_b32 exec_lo, exec_lo, s5
	s_cbranch_execnz .LBB4_86
; %bb.87:                               ;   in Loop: Header=BB4_84 Depth=1
	s_or_b32 exec_lo, exec_lo, s5
.LBB4_88:                               ;   in Loop: Header=BB4_84 Depth=1
	s_delay_alu instid0(SALU_CYCLE_1)
	s_or_b32 exec_lo, exec_lo, s0
	v_lshlrev_b64 v[1:2], 2, v[5:6]
	s_and_b32 vcc_lo, exec_lo, s2
	s_cbranch_vccz .LBB4_83
; %bb.89:                               ;   in Loop: Header=BB4_84 Depth=1
	s_delay_alu instid0(VALU_DEP_1) | instskip(NEXT) | instid1(VALU_DEP_2)
	v_add_co_u32 v8, vcc_lo, s26, v1
	v_add_co_ci_u32_e32 v9, vcc_lo, s27, v2, vcc_lo
	global_load_b32 v4, v[8:9], off
	s_waitcnt vmcnt(0)
	v_fmac_f32_e32 v3, s24, v4
	s_branch .LBB4_83
.LBB4_90:
	s_or_b32 exec_lo, exec_lo, s1
	s_mov_b32 s0, 0
.LBB4_91:
	s_delay_alu instid0(SALU_CYCLE_1)
	s_and_not1_b32 vcc_lo, exec_lo, s0
	s_cbranch_vccnz .LBB4_116
; %bb.92:
	s_clz_i32_u32 s0, s25
	s_add_i32 s1, s25, -1
	s_xor_b32 s0, s0, 31
	v_mov_b32_e32 v3, 0
	v_lshrrev_b32_e32 v4, s0, v0
	v_and_b32_e32 v0, s1, v0
	s_mov_b32 s1, exec_lo
	s_delay_alu instid0(VALU_DEP_2) | instskip(NEXT) | instid1(VALU_DEP_1)
	v_add_co_u32 v1, s0, s20, v4
	v_add_co_ci_u32_e64 v2, null, s21, 0, s0
	s_delay_alu instid0(VALU_DEP_1)
	v_cmp_le_i64_e32 vcc_lo, s[22:23], v[1:2]
	v_cmpx_gt_i64_e64 s[22:23], v[1:2]
	s_cbranch_execz .LBB4_98
; %bb.93:
	v_lshlrev_b32_e32 v3, 3, v4
	s_mov_b32 s2, exec_lo
	s_clause 0x1
	global_load_b32 v4, v3, s[28:29]
	global_load_b32 v3, v3, s[28:29] offset:8
	s_waitcnt vmcnt(1)
	v_subrev_nc_u32_e32 v5, s30, v4
	s_waitcnt vmcnt(0)
	v_subrev_nc_u32_e32 v4, s30, v3
	v_mov_b32_e32 v3, 0
	s_delay_alu instid0(VALU_DEP_3) | instskip(NEXT) | instid1(VALU_DEP_1)
	v_add_nc_u32_e32 v5, v0, v5
	v_cmpx_lt_i32_e64 v5, v4
	s_cbranch_execz .LBB4_97
; %bb.94:
	v_dual_mov_b32 v3, 0 :: v_dual_lshlrev_b32 v6, 2, v5
	s_lshl_b32 s4, s25, 2
	s_mov_b32 s3, 0
.LBB4_95:                               ; =>This Inner Loop Header: Depth=1
	ds_load_b32 v8, v6
	v_add_nc_u32_e32 v5, s25, v5
	v_add_nc_u32_e32 v6, s4, v6
	s_delay_alu instid0(VALU_DEP_2) | instskip(NEXT) | instid1(VALU_DEP_1)
	v_cmp_ge_i32_e64 s0, v5, v4
	s_or_b32 s3, s0, s3
	s_waitcnt lgkmcnt(0)
	v_add_f32_e32 v3, v3, v8
	s_and_not1_b32 exec_lo, exec_lo, s3
	s_cbranch_execnz .LBB4_95
; %bb.96:
	s_or_b32 exec_lo, exec_lo, s3
.LBB4_97:
	s_delay_alu instid0(SALU_CYCLE_1)
	s_or_b32 exec_lo, exec_lo, s2
.LBB4_98:
	s_delay_alu instid0(SALU_CYCLE_1)
	s_or_b32 exec_lo, exec_lo, s1
	s_cmpk_lt_i32 s25, 0x81
	s_waitcnt_vscnt null, 0x0
	s_barrier
	buffer_gl0_inv
	ds_store_b32 v7, v3
	s_waitcnt lgkmcnt(0)
	s_barrier
	buffer_gl0_inv
	s_cbranch_scc1 .LBB4_100
; %bb.99:
	ds_load_b32 v4, v7 offset:512
	s_waitcnt lgkmcnt(0)
	s_barrier
	buffer_gl0_inv
	v_add_f32_e32 v3, v3, v4
	ds_store_b32 v7, v3
.LBB4_100:
	s_cmpk_lt_i32 s25, 0x41
	s_waitcnt lgkmcnt(0)
	s_barrier
	buffer_gl0_inv
	s_cbranch_scc1 .LBB4_102
; %bb.101:
	ds_load_b32 v4, v7 offset:256
	s_waitcnt lgkmcnt(0)
	s_barrier
	buffer_gl0_inv
	v_add_f32_e32 v3, v3, v4
	ds_store_b32 v7, v3
.LBB4_102:
	s_cmp_lt_i32 s25, 33
	s_waitcnt lgkmcnt(0)
	s_barrier
	buffer_gl0_inv
	s_cbranch_scc1 .LBB4_104
; %bb.103:
	ds_load_b32 v4, v7 offset:128
	s_waitcnt lgkmcnt(0)
	s_barrier
	buffer_gl0_inv
	v_add_f32_e32 v3, v3, v4
	ds_store_b32 v7, v3
.LBB4_104:
	s_cmp_lt_i32 s25, 17
	;; [unrolled: 13-line block ×4, first 2 shown]
	s_waitcnt lgkmcnt(0)
	s_barrier
	buffer_gl0_inv
	s_cbranch_scc1 .LBB4_110
; %bb.109:
	ds_load_b32 v4, v7 offset:16
	s_waitcnt lgkmcnt(0)
	s_barrier
	buffer_gl0_inv
	v_add_f32_e32 v3, v3, v4
	ds_store_b32 v7, v3
.LBB4_110:
	s_cmp_eq_u32 s25, 2
	s_waitcnt lgkmcnt(0)
	s_barrier
	buffer_gl0_inv
	s_cbranch_scc1 .LBB4_112
; %bb.111:
	ds_load_b32 v4, v7 offset:8
	s_waitcnt lgkmcnt(0)
	s_barrier
	buffer_gl0_inv
	v_add_f32_e32 v3, v3, v4
	ds_store_b32 v7, v3
.LBB4_112:
	s_waitcnt lgkmcnt(0)
	s_barrier
	buffer_gl0_inv
	ds_load_b32 v4, v7 offset:4
	v_cmp_eq_u32_e64 s0, 0, v0
	s_xor_b32 s1, vcc_lo, -1
	s_waitcnt lgkmcnt(0)
	s_barrier
	buffer_gl0_inv
	s_and_b32 s0, s0, s1
	v_add_f32_e32 v3, v3, v4
	ds_store_b32 v7, v3
	s_and_saveexec_b32 s1, s0
	s_cbranch_execz .LBB4_116
; %bb.113:
	v_cmp_eq_f32_e64 s0, s24, 0
	v_lshlrev_b64 v[0:1], 2, v[1:2]
	s_delay_alu instid0(VALU_DEP_2)
	s_and_b32 vcc_lo, exec_lo, s0
	s_cbranch_vccnz .LBB4_115
; %bb.114:
	s_delay_alu instid0(VALU_DEP_1) | instskip(NEXT) | instid1(VALU_DEP_2)
	v_add_co_u32 v4, vcc_lo, s26, v0
	v_add_co_ci_u32_e32 v5, vcc_lo, s27, v1, vcc_lo
	global_load_b32 v2, v[4:5], off
	s_waitcnt vmcnt(0)
	v_fmac_f32_e32 v3, s24, v2
.LBB4_115:
	s_delay_alu instid0(VALU_DEP_1) | instskip(NEXT) | instid1(VALU_DEP_2)
	v_add_co_u32 v0, vcc_lo, s26, v0
	v_add_co_ci_u32_e32 v1, vcc_lo, s27, v1, vcc_lo
	global_store_b32 v[0:1], v3, off
.LBB4_116:
	s_nop 0
	s_sendmsg sendmsg(MSG_DEALLOC_VGPRS)
	s_endpgm
	.section	.rodata,"a",@progbits
	.p2align	6, 0x0
	.amdhsa_kernel _ZN9rocsparseL22csrmvn_adaptive_kernelIliffffEEvbT_PKS1_PjPKT0_NS_24const_host_device_scalarIT4_EES3_S7_PKT1_PKT2_SA_PT3_21rocsparse_index_base_b
		.amdhsa_group_segment_fixed_size 4096
		.amdhsa_private_segment_fixed_size 0
		.amdhsa_kernarg_size 104
		.amdhsa_user_sgpr_count 15
		.amdhsa_user_sgpr_dispatch_ptr 0
		.amdhsa_user_sgpr_queue_ptr 0
		.amdhsa_user_sgpr_kernarg_segment_ptr 1
		.amdhsa_user_sgpr_dispatch_id 0
		.amdhsa_user_sgpr_private_segment_size 0
		.amdhsa_wavefront_size32 1
		.amdhsa_uses_dynamic_stack 0
		.amdhsa_enable_private_segment 0
		.amdhsa_system_sgpr_workgroup_id_x 1
		.amdhsa_system_sgpr_workgroup_id_y 0
		.amdhsa_system_sgpr_workgroup_id_z 0
		.amdhsa_system_sgpr_workgroup_info 0
		.amdhsa_system_vgpr_workitem_id 0
		.amdhsa_next_free_vgpr 16
		.amdhsa_next_free_sgpr 50
		.amdhsa_reserve_vcc 1
		.amdhsa_float_round_mode_32 0
		.amdhsa_float_round_mode_16_64 0
		.amdhsa_float_denorm_mode_32 3
		.amdhsa_float_denorm_mode_16_64 3
		.amdhsa_dx10_clamp 1
		.amdhsa_ieee_mode 1
		.amdhsa_fp16_overflow 0
		.amdhsa_workgroup_processor_mode 1
		.amdhsa_memory_ordered 1
		.amdhsa_forward_progress 0
		.amdhsa_shared_vgpr_count 0
		.amdhsa_exception_fp_ieee_invalid_op 0
		.amdhsa_exception_fp_denorm_src 0
		.amdhsa_exception_fp_ieee_div_zero 0
		.amdhsa_exception_fp_ieee_overflow 0
		.amdhsa_exception_fp_ieee_underflow 0
		.amdhsa_exception_fp_ieee_inexact 0
		.amdhsa_exception_int_div_zero 0
	.end_amdhsa_kernel
	.section	.text._ZN9rocsparseL22csrmvn_adaptive_kernelIliffffEEvbT_PKS1_PjPKT0_NS_24const_host_device_scalarIT4_EES3_S7_PKT1_PKT2_SA_PT3_21rocsparse_index_base_b,"axG",@progbits,_ZN9rocsparseL22csrmvn_adaptive_kernelIliffffEEvbT_PKS1_PjPKT0_NS_24const_host_device_scalarIT4_EES3_S7_PKT1_PKT2_SA_PT3_21rocsparse_index_base_b,comdat
.Lfunc_end4:
	.size	_ZN9rocsparseL22csrmvn_adaptive_kernelIliffffEEvbT_PKS1_PjPKT0_NS_24const_host_device_scalarIT4_EES3_S7_PKT1_PKT2_SA_PT3_21rocsparse_index_base_b, .Lfunc_end4-_ZN9rocsparseL22csrmvn_adaptive_kernelIliffffEEvbT_PKS1_PjPKT0_NS_24const_host_device_scalarIT4_EES3_S7_PKT1_PKT2_SA_PT3_21rocsparse_index_base_b
                                        ; -- End function
	.section	.AMDGPU.csdata,"",@progbits
; Kernel info:
; codeLenInByte = 4544
; NumSgprs: 52
; NumVgprs: 16
; ScratchSize: 0
; MemoryBound: 0
; FloatMode: 240
; IeeeMode: 1
; LDSByteSize: 4096 bytes/workgroup (compile time only)
; SGPRBlocks: 6
; VGPRBlocks: 1
; NumSGPRsForWavesPerEU: 52
; NumVGPRsForWavesPerEU: 16
; Occupancy: 16
; WaveLimiterHint : 1
; COMPUTE_PGM_RSRC2:SCRATCH_EN: 0
; COMPUTE_PGM_RSRC2:USER_SGPR: 15
; COMPUTE_PGM_RSRC2:TRAP_HANDLER: 0
; COMPUTE_PGM_RSRC2:TGID_X_EN: 1
; COMPUTE_PGM_RSRC2:TGID_Y_EN: 0
; COMPUTE_PGM_RSRC2:TGID_Z_EN: 0
; COMPUTE_PGM_RSRC2:TIDIG_COMP_CNT: 0
	.section	.text._ZN9rocsparseL27csrmvn_symm_adaptive_kernelIliffffEEvbT_S1_PKS1_NS_24const_host_device_scalarIT4_EES3_PKT0_PKT1_PKT2_S6_PT3_21rocsparse_index_base_b,"axG",@progbits,_ZN9rocsparseL27csrmvn_symm_adaptive_kernelIliffffEEvbT_S1_PKS1_NS_24const_host_device_scalarIT4_EES3_PKT0_PKT1_PKT2_S6_PT3_21rocsparse_index_base_b,comdat
	.globl	_ZN9rocsparseL27csrmvn_symm_adaptive_kernelIliffffEEvbT_S1_PKS1_NS_24const_host_device_scalarIT4_EES3_PKT0_PKT1_PKT2_S6_PT3_21rocsparse_index_base_b ; -- Begin function _ZN9rocsparseL27csrmvn_symm_adaptive_kernelIliffffEEvbT_S1_PKS1_NS_24const_host_device_scalarIT4_EES3_PKT0_PKT1_PKT2_S6_PT3_21rocsparse_index_base_b
	.p2align	8
	.type	_ZN9rocsparseL27csrmvn_symm_adaptive_kernelIliffffEEvbT_S1_PKS1_NS_24const_host_device_scalarIT4_EES3_PKT0_PKT1_PKT2_S6_PT3_21rocsparse_index_base_b,@function
_ZN9rocsparseL27csrmvn_symm_adaptive_kernelIliffffEEvbT_S1_PKS1_NS_24const_host_device_scalarIT4_EES3_PKT0_PKT1_PKT2_S6_PT3_21rocsparse_index_base_b: ; @_ZN9rocsparseL27csrmvn_symm_adaptive_kernelIliffffEEvbT_S1_PKS1_NS_24const_host_device_scalarIT4_EES3_PKT0_PKT1_PKT2_S6_PT3_21rocsparse_index_base_b
; %bb.0:
	s_clause 0x2
	s_load_b64 s[24:25], s[0:1], 0x58
	s_load_b64 s[30:31], s[0:1], 0x20
	;; [unrolled: 1-line block ×3, first 2 shown]
	s_mov_b32 s2, s15
	s_waitcnt lgkmcnt(0)
	s_bitcmp1_b32 s25, 0
	s_cselect_b32 s3, -1, 0
	s_delay_alu instid0(SALU_CYCLE_1)
	s_and_b32 vcc_lo, exec_lo, s3
	s_xor_b32 s3, s3, -1
	s_cbranch_vccnz .LBB5_2
; %bb.1:
	s_load_b32 s30, s[30:31], 0x0
.LBB5_2:
	s_and_not1_b32 vcc_lo, exec_lo, s3
	s_cbranch_vccnz .LBB5_4
; %bb.3:
	s_load_b32 s4, s[4:5], 0x0
.LBB5_4:
	s_waitcnt lgkmcnt(0)
	v_cmp_neq_f32_e64 s3, s30, 0
	v_cmp_neq_f32_e64 s4, s4, 1.0
	s_delay_alu instid0(VALU_DEP_1) | instskip(NEXT) | instid1(SALU_CYCLE_1)
	s_or_b32 s3, s3, s4
	s_and_not1_b32 vcc_lo, exec_lo, s3
	s_cbranch_vccnz .LBB5_167
; %bb.5:
	s_load_b64 s[4:5], s[0:1], 0x18
	s_ashr_i32 s3, s2, 31
	v_lshlrev_b32_e32 v15, 2, v0
	v_mov_b32_e32 v1, 0
	s_lshl_b64 s[2:3], s[2:3], 3
	ds_store_2addr_stride64_b32 v15, v1, v1 offset1:4
	ds_store_2addr_stride64_b32 v15, v1, v1 offset0:8 offset1:12
	s_waitcnt lgkmcnt(0)
	s_barrier
	buffer_gl0_inv
	s_add_u32 s2, s4, s2
	s_addc_u32 s3, s5, s3
	s_load_b128 s[16:19], s[2:3], 0x0
	s_clause 0x1
	s_load_b256 s[8:15], s[0:1], 0x28
	s_load_b64 s[20:21], s[0:1], 0x50
	s_waitcnt lgkmcnt(0)
	s_sub_u32 s22, s18, s16
	s_subb_u32 s23, s19, s17
	s_delay_alu instid0(SALU_CYCLE_1) | instskip(NEXT) | instid1(VALU_DEP_1)
	v_cmp_gt_i64_e64 s2, s[22:23], 2
	s_and_b32 vcc_lo, exec_lo, s2
	s_mov_b32 s2, -1
	s_cbranch_vccnz .LBB5_40
; %bb.6:
	v_cmp_gt_i64_e64 s2, s[18:19], s[16:17]
	v_sub_co_u32 v7, s3, v0, s24
	s_delay_alu instid0(VALU_DEP_1) | instskip(NEXT) | instid1(VALU_DEP_3)
	v_sub_co_ci_u32_e64 v8, null, 0, 0, s3
	s_and_b32 vcc_lo, exec_lo, s2
	s_mov_b32 s2, 0
	s_cbranch_vccnz .LBB5_8
; %bb.7:
	s_lshl_b64 s[4:5], s[16:17], 3
	s_delay_alu instid0(SALU_CYCLE_1)
	s_add_u32 s4, s8, s4
	s_addc_u32 s5, s9, s5
	s_load_b64 s[26:27], s[4:5], 0x0
	s_and_not1_b32 vcc_lo, exec_lo, s2
	s_cbranch_vccz .LBB5_9
	s_branch .LBB5_29
.LBB5_8:
                                        ; implicit-def: $sgpr26_sgpr27
.LBB5_9:
	s_lshl_b64 s[2:3], s[16:17], 3
	v_cmp_gt_u32_e64 s4, 16, v0
	s_add_u32 s2, s8, s2
	s_addc_u32 s3, s9, s3
	v_cmp_gt_u32_e64 s5, 4, v0
	s_waitcnt lgkmcnt(0)
	s_load_b64 s[26:27], s[2:3], 0x0
	v_cmp_gt_u32_e64 s2, 0x100, v0
	v_cmp_gt_u32_e64 s3, 64, v0
	v_cmp_eq_u32_e64 s6, 0, v0
	v_mov_b32_e32 v9, 0
	s_add_u32 s25, s8, 8
	s_addc_u32 s31, s9, 0
	s_mov_b64 s[28:29], s[16:17]
	s_waitcnt lgkmcnt(0)
	s_mov_b64 s[34:35], s[26:27]
	s_branch .LBB5_11
.LBB5_10:                               ;   in Loop: Header=BB5_11 Depth=1
	s_or_b32 exec_lo, exec_lo, s7
	s_add_u32 s28, s28, 1
	s_addc_u32 s29, s29, 0
	s_delay_alu instid0(SALU_CYCLE_1) | instskip(NEXT) | instid1(VALU_DEP_1)
	v_cmp_ge_i64_e64 s7, s[28:29], s[18:19]
	s_and_b32 vcc_lo, exec_lo, s7
	s_cbranch_vccnz .LBB5_29
.LBB5_11:                               ; =>This Loop Header: Depth=1
                                        ;     Child Loop BB5_13 Depth 2
                                        ;     Child Loop BB5_28 Depth 2
	s_lshl_b64 s[36:37], s[28:29], 3
	s_mov_b64 s[38:39], s[34:35]
	s_add_u32 s36, s25, s36
	s_addc_u32 s37, s31, s37
	v_add_co_u32 v1, vcc_lo, s38, v7
	s_load_b64 s[34:35], s[36:37], 0x0
	v_add_co_ci_u32_e32 v2, vcc_lo, s39, v8, vcc_lo
	v_mov_b32_e32 v10, 0
	s_mov_b32 s33, exec_lo
	s_waitcnt lgkmcnt(0)
	s_sub_u32 s36, s34, s24
	s_subb_u32 s37, s35, 0
	s_delay_alu instid0(SALU_CYCLE_1)
	v_cmpx_gt_i64_e64 s[36:37], v[1:2]
	s_cbranch_execz .LBB5_15
; %bb.12:                               ;   in Loop: Header=BB5_11 Depth=1
	v_lshlrev_b64 v[5:6], 2, v[1:2]
	v_mov_b32_e32 v10, 0
	s_mov_b32 s38, 0
	s_delay_alu instid0(VALU_DEP_2) | instskip(NEXT) | instid1(VALU_DEP_3)
	v_add_co_u32 v3, vcc_lo, s10, v5
	v_add_co_ci_u32_e32 v4, vcc_lo, s11, v6, vcc_lo
	v_add_co_u32 v5, vcc_lo, s12, v5
	v_add_co_ci_u32_e32 v6, vcc_lo, s13, v6, vcc_lo
	.p2align	6
.LBB5_13:                               ;   Parent Loop BB5_11 Depth=1
                                        ; =>  This Inner Loop Header: Depth=2
	global_load_b32 v11, v[3:4], off
	s_waitcnt vmcnt(0)
	v_subrev_nc_u32_e32 v11, s24, v11
	s_delay_alu instid0(VALU_DEP_1) | instskip(NEXT) | instid1(VALU_DEP_1)
	v_ashrrev_i32_e32 v12, 31, v11
	v_lshlrev_b64 v[11:12], 2, v[11:12]
	s_delay_alu instid0(VALU_DEP_1) | instskip(NEXT) | instid1(VALU_DEP_2)
	v_add_co_u32 v11, vcc_lo, s14, v11
	v_add_co_ci_u32_e32 v12, vcc_lo, s15, v12, vcc_lo
	v_add_co_u32 v1, vcc_lo, 0x100, v1
	global_load_b32 v13, v[5:6], off
	global_load_b32 v11, v[11:12], off
	v_add_co_ci_u32_e32 v2, vcc_lo, 0, v2, vcc_lo
	v_add_co_u32 v3, vcc_lo, 0x400, v3
	v_add_co_ci_u32_e32 v4, vcc_lo, 0, v4, vcc_lo
	s_delay_alu instid0(VALU_DEP_3) | instskip(SKIP_1) | instid1(VALU_DEP_1)
	v_cmp_le_i64_e32 vcc_lo, s[36:37], v[1:2]
	v_add_co_u32 v5, s7, 0x400, v5
	v_add_co_ci_u32_e64 v6, s7, 0, v6, s7
	s_or_b32 s38, vcc_lo, s38
	s_waitcnt vmcnt(0)
	v_fmac_f32_e32 v10, v13, v11
	s_and_not1_b32 exec_lo, exec_lo, s38
	s_cbranch_execnz .LBB5_13
; %bb.14:                               ;   in Loop: Header=BB5_11 Depth=1
	s_or_b32 exec_lo, exec_lo, s38
.LBB5_15:                               ;   in Loop: Header=BB5_11 Depth=1
	s_delay_alu instid0(SALU_CYCLE_1)
	s_or_b32 exec_lo, exec_lo, s33
	ds_store_b32 v15, v10
	s_waitcnt lgkmcnt(0)
	s_barrier
	buffer_gl0_inv
	s_and_saveexec_b32 s7, s2
	s_cbranch_execz .LBB5_17
; %bb.16:                               ;   in Loop: Header=BB5_11 Depth=1
	ds_load_2addr_stride64_b32 v[1:2], v15 offset1:4
	ds_load_2addr_stride64_b32 v[3:4], v15 offset0:8 offset1:12
	s_waitcnt lgkmcnt(0)
	v_add_f32_e32 v2, v2, v3
	s_delay_alu instid0(VALU_DEP_1) | instskip(NEXT) | instid1(VALU_DEP_1)
	v_add_f32_e32 v2, v2, v4
	v_add_f32_e32 v1, v1, v2
	ds_store_b32 v15, v1
.LBB5_17:                               ;   in Loop: Header=BB5_11 Depth=1
	s_or_b32 exec_lo, exec_lo, s7
	s_waitcnt lgkmcnt(0)
	s_barrier
	buffer_gl0_inv
	s_and_saveexec_b32 s7, s3
	s_cbranch_execz .LBB5_19
; %bb.18:                               ;   in Loop: Header=BB5_11 Depth=1
	ds_load_2addr_stride64_b32 v[1:2], v15 offset1:1
	ds_load_2addr_stride64_b32 v[3:4], v15 offset0:2 offset1:3
	s_waitcnt lgkmcnt(0)
	v_add_f32_e32 v2, v2, v3
	s_delay_alu instid0(VALU_DEP_1) | instskip(NEXT) | instid1(VALU_DEP_1)
	v_add_f32_e32 v2, v2, v4
	v_add_f32_e32 v1, v1, v2
	ds_store_b32 v15, v1
.LBB5_19:                               ;   in Loop: Header=BB5_11 Depth=1
	s_or_b32 exec_lo, exec_lo, s7
	s_waitcnt lgkmcnt(0)
	s_barrier
	buffer_gl0_inv
	s_and_saveexec_b32 s7, s4
	s_cbranch_execz .LBB5_21
; %bb.20:                               ;   in Loop: Header=BB5_11 Depth=1
	ds_load_2addr_b32 v[1:2], v15 offset1:16
	ds_load_2addr_b32 v[3:4], v15 offset0:32 offset1:48
	s_waitcnt lgkmcnt(0)
	v_add_f32_e32 v2, v2, v3
	s_delay_alu instid0(VALU_DEP_1) | instskip(NEXT) | instid1(VALU_DEP_1)
	v_add_f32_e32 v2, v2, v4
	v_add_f32_e32 v1, v1, v2
	ds_store_b32 v15, v1
.LBB5_21:                               ;   in Loop: Header=BB5_11 Depth=1
	s_or_b32 exec_lo, exec_lo, s7
	s_waitcnt lgkmcnt(0)
	s_barrier
	buffer_gl0_inv
	s_and_saveexec_b32 s7, s5
	s_cbranch_execz .LBB5_23
; %bb.22:                               ;   in Loop: Header=BB5_11 Depth=1
	ds_load_2addr_b32 v[1:2], v15 offset1:4
	ds_load_2addr_b32 v[3:4], v15 offset0:8 offset1:12
	s_waitcnt lgkmcnt(0)
	v_add_f32_e32 v2, v2, v3
	s_delay_alu instid0(VALU_DEP_1) | instskip(NEXT) | instid1(VALU_DEP_1)
	v_add_f32_e32 v2, v2, v4
	v_add_f32_e32 v1, v1, v2
	ds_store_b32 v15, v1
.LBB5_23:                               ;   in Loop: Header=BB5_11 Depth=1
	s_or_b32 exec_lo, exec_lo, s7
	s_waitcnt lgkmcnt(0)
	s_barrier
	buffer_gl0_inv
	s_and_saveexec_b32 s7, s6
	s_cbranch_execz .LBB5_25
; %bb.24:                               ;   in Loop: Header=BB5_11 Depth=1
	ds_load_2addr_b32 v[1:2], v9 offset0:1 offset1:2
	ds_load_b32 v3, v9 offset:12
	ds_load_b32 v4, v15
	s_waitcnt lgkmcnt(2)
	v_add_f32_e32 v1, v1, v2
	s_waitcnt lgkmcnt(1)
	s_delay_alu instid0(VALU_DEP_1) | instskip(SKIP_1) | instid1(VALU_DEP_1)
	v_add_f32_e32 v1, v1, v3
	s_waitcnt lgkmcnt(0)
	v_add_f32_e32 v1, v4, v1
	ds_store_b32 v15, v1
.LBB5_25:                               ;   in Loop: Header=BB5_11 Depth=1
	s_or_b32 exec_lo, exec_lo, s7
	s_waitcnt lgkmcnt(0)
	s_barrier
	buffer_gl0_inv
	s_and_saveexec_b32 s7, s6
	s_cbranch_execz .LBB5_10
; %bb.26:                               ;   in Loop: Header=BB5_11 Depth=1
	s_mov_b32 s33, exec_lo
	s_delay_alu instid0(SALU_CYCLE_1) | instskip(NEXT) | instid1(VALU_DEP_1)
	v_mbcnt_lo_u32_b32 v1, s33, 0
	v_cmp_eq_u32_e32 vcc_lo, 0, v1
	s_and_b32 s36, exec_lo, vcc_lo
	s_delay_alu instid0(SALU_CYCLE_1)
	s_mov_b32 exec_lo, s36
	s_cbranch_execz .LBB5_10
; %bb.27:                               ;   in Loop: Header=BB5_11 Depth=1
	s_lshl_b64 s[36:37], s[28:29], 2
	ds_load_b32 v1, v9
	s_add_u32 s36, s20, s36
	s_addc_u32 s37, s21, s37
	s_bcnt1_i32_b32 s33, s33
	global_load_b32 v2, v9, s[36:37]
	v_cvt_f32_ubyte0_e32 v3, s33
	s_mov_b32 s33, 0
	s_waitcnt lgkmcnt(0)
	v_mul_f32_e32 v1, s30, v1
	s_delay_alu instid0(VALU_DEP_1)
	v_mul_f32_e32 v3, v1, v3
.LBB5_28:                               ;   Parent Loop BB5_11 Depth=1
                                        ; =>  This Inner Loop Header: Depth=2
	s_waitcnt vmcnt(0)
	s_delay_alu instid0(VALU_DEP_1)
	v_add_f32_e32 v1, v2, v3
	global_atomic_cmpswap_b32 v1, v9, v[1:2], s[36:37] glc
	s_waitcnt vmcnt(0)
	v_cmp_eq_u32_e32 vcc_lo, v1, v2
	v_mov_b32_e32 v2, v1
	s_or_b32 s33, vcc_lo, s33
	s_delay_alu instid0(SALU_CYCLE_1)
	s_and_not1_b32 exec_lo, exec_lo, s33
	s_cbranch_execnz .LBB5_28
	s_branch .LBB5_10
.LBB5_29:
	s_lshl_b64 s[2:3], s[18:19], 3
	s_waitcnt lgkmcnt(0)
	v_add_co_u32 v1, vcc_lo, s26, v7
	s_add_u32 s2, s8, s2
	s_addc_u32 s3, s9, s3
	v_add_co_ci_u32_e32 v2, vcc_lo, s27, v8, vcc_lo
	s_load_b64 s[2:3], s[2:3], 0x0
	s_waitcnt lgkmcnt(0)
	s_sub_u32 s4, s2, s24
	s_subb_u32 s5, s3, 0
	s_mov_b32 s3, exec_lo
	v_cmpx_gt_i64_e64 s[4:5], v[1:2]
	s_cbranch_execz .LBB5_39
; %bb.30:
	s_add_u32 s6, s18, -1
	s_addc_u32 s7, s19, -1
	s_add_u32 s26, s18, -2
	v_cmp_gt_i64_e64 s2, s[6:7], s[16:17]
	s_addc_u32 s27, s19, -1
	s_delay_alu instid0(SALU_CYCLE_1)
	s_cmp_lg_u64 s[26:27], s[16:17]
	s_mov_b32 s26, 0
	s_cselect_b32 s25, -1, 0
	s_delay_alu instid0(VALU_DEP_1) | instid1(SALU_CYCLE_1)
	s_and_b32 s25, s2, s25
	s_branch .LBB5_32
.LBB5_31:                               ;   in Loop: Header=BB5_32 Depth=1
	s_or_b32 exec_lo, exec_lo, s2
	v_add_co_u32 v1, vcc_lo, 0x100, v1
	v_add_co_ci_u32_e32 v2, vcc_lo, 0, v2, vcc_lo
	s_delay_alu instid0(VALU_DEP_1) | instskip(SKIP_1) | instid1(SALU_CYCLE_1)
	v_cmp_le_i64_e32 vcc_lo, s[4:5], v[1:2]
	s_or_b32 s26, vcc_lo, s26
	s_and_not1_b32 exec_lo, exec_lo, s26
	s_cbranch_execz .LBB5_39
.LBB5_32:                               ; =>This Loop Header: Depth=1
                                        ;     Child Loop BB5_34 Depth 2
                                        ;     Child Loop BB5_38 Depth 2
	v_dual_mov_b32 v3, s16 :: v_dual_mov_b32 v4, s17
	v_dual_mov_b32 v5, s6 :: v_dual_mov_b32 v6, s7
	s_and_not1_b32 vcc_lo, exec_lo, s25
	s_cbranch_vccnz .LBB5_36
; %bb.33:                               ;   in Loop: Header=BB5_32 Depth=1
	v_dual_mov_b32 v3, s16 :: v_dual_mov_b32 v4, s17
	v_dual_mov_b32 v5, s6 :: v_dual_mov_b32 v6, s7
	s_mov_b32 s27, 0
	s_set_inst_prefetch_distance 0x1
	.p2align	6
.LBB5_34:                               ;   Parent Loop BB5_32 Depth=1
                                        ; =>  This Inner Loop Header: Depth=2
	s_delay_alu instid0(VALU_DEP_1) | instskip(NEXT) | instid1(VALU_DEP_2)
	v_add_co_u32 v7, vcc_lo, v5, v3
	v_add_co_ci_u32_e32 v8, vcc_lo, v6, v4, vcc_lo
	s_delay_alu instid0(VALU_DEP_1) | instskip(NEXT) | instid1(VALU_DEP_1)
	v_lshrrev_b32_e32 v9, 31, v8
	v_add_co_u32 v7, vcc_lo, v7, v9
	v_add_co_ci_u32_e32 v8, vcc_lo, 0, v8, vcc_lo
	s_delay_alu instid0(VALU_DEP_1) | instskip(NEXT) | instid1(VALU_DEP_1)
	v_ashrrev_i64 v[7:8], 1, v[7:8]
	v_lshlrev_b64 v[9:10], 3, v[7:8]
	s_delay_alu instid0(VALU_DEP_1) | instskip(NEXT) | instid1(VALU_DEP_2)
	v_add_co_u32 v9, vcc_lo, s8, v9
	v_add_co_ci_u32_e32 v10, vcc_lo, s9, v10, vcc_lo
	global_load_b64 v[9:10], v[9:10], off
	s_waitcnt vmcnt(0)
	v_sub_co_u32 v9, vcc_lo, v9, s24
	v_subrev_co_ci_u32_e32 v10, vcc_lo, 0, v10, vcc_lo
	s_delay_alu instid0(VALU_DEP_1) | instskip(SKIP_2) | instid1(VALU_DEP_2)
	v_cmp_gt_i64_e32 vcc_lo, v[9:10], v[1:2]
	v_dual_cndmask_b32 v6, v6, v8 :: v_dual_cndmask_b32 v5, v5, v7
	v_dual_cndmask_b32 v4, v8, v4 :: v_dual_cndmask_b32 v3, v7, v3
	v_add_co_u32 v7, vcc_lo, v5, -1
	s_delay_alu instid0(VALU_DEP_3) | instskip(NEXT) | instid1(VALU_DEP_3)
	v_add_co_ci_u32_e32 v8, vcc_lo, -1, v6, vcc_lo
	v_cmp_ge_i64_e32 vcc_lo, v[3:4], v[5:6]
	s_delay_alu instid0(VALU_DEP_2) | instskip(NEXT) | instid1(VALU_DEP_1)
	v_cmp_eq_u64_e64 s2, v[3:4], v[7:8]
	s_or_b32 s2, vcc_lo, s2
	s_delay_alu instid0(SALU_CYCLE_1) | instskip(NEXT) | instid1(SALU_CYCLE_1)
	s_and_b32 s2, exec_lo, s2
	s_or_b32 s27, s2, s27
	s_delay_alu instid0(SALU_CYCLE_1)
	s_and_not1_b32 exec_lo, exec_lo, s27
	s_cbranch_execnz .LBB5_34
; %bb.35:                               ;   in Loop: Header=BB5_32 Depth=1
	s_set_inst_prefetch_distance 0x2
	s_or_b32 exec_lo, exec_lo, s27
.LBB5_36:                               ;   in Loop: Header=BB5_32 Depth=1
	s_delay_alu instid0(VALU_DEP_1) | instskip(SKIP_1) | instid1(VALU_DEP_1)
	v_lshlrev_b64 v[7:8], 3, v[5:6]
	s_mov_b32 s2, exec_lo
	v_add_co_u32 v9, vcc_lo, s8, v7
	s_delay_alu instid0(VALU_DEP_2)
	v_add_co_ci_u32_e32 v10, vcc_lo, s9, v8, vcc_lo
	v_lshlrev_b64 v[7:8], 2, v[1:2]
	global_load_b64 v[9:10], v[9:10], off
	v_add_co_u32 v11, vcc_lo, s10, v7
	v_add_co_ci_u32_e32 v12, vcc_lo, s11, v8, vcc_lo
	global_load_b32 v11, v[11:12], off
	s_waitcnt vmcnt(1)
	v_sub_co_u32 v9, vcc_lo, v9, s24
	v_subrev_co_ci_u32_e32 v10, vcc_lo, 0, v10, vcc_lo
	s_delay_alu instid0(VALU_DEP_1) | instskip(SKIP_3) | instid1(VALU_DEP_2)
	v_cmp_gt_i64_e32 vcc_lo, v[9:10], v[1:2]
	s_waitcnt vmcnt(0)
	v_subrev_nc_u32_e32 v9, s24, v11
	v_dual_cndmask_b32 v4, v6, v4 :: v_dual_cndmask_b32 v3, v5, v3
	v_ashrrev_i32_e32 v10, 31, v9
	s_delay_alu instid0(VALU_DEP_1)
	v_cmpx_ne_u64_e64 v[3:4], v[9:10]
	s_cbranch_execz .LBB5_31
; %bb.37:                               ;   in Loop: Header=BB5_32 Depth=1
	v_add_co_u32 v5, vcc_lo, s12, v7
	v_lshlrev_b64 v[3:4], 2, v[3:4]
	v_add_co_ci_u32_e32 v6, vcc_lo, s13, v8, vcc_lo
	v_lshlrev_b64 v[7:8], 2, v[9:10]
	s_mov_b32 s27, 0
	global_load_b32 v9, v[5:6], off
	v_add_co_u32 v5, vcc_lo, s14, v3
	v_add_co_ci_u32_e32 v6, vcc_lo, s15, v4, vcc_lo
	v_add_co_u32 v3, vcc_lo, s20, v7
	v_add_co_ci_u32_e32 v4, vcc_lo, s21, v8, vcc_lo
	global_load_b32 v5, v[5:6], off
	global_load_b32 v6, v[3:4], off
	s_waitcnt vmcnt(2)
	v_mul_f32_e32 v7, s30, v9
	s_waitcnt vmcnt(1)
	s_delay_alu instid0(VALU_DEP_1)
	v_mul_f32_e32 v7, v7, v5
.LBB5_38:                               ;   Parent Loop BB5_32 Depth=1
                                        ; =>  This Inner Loop Header: Depth=2
	s_waitcnt vmcnt(0)
	s_delay_alu instid0(VALU_DEP_1)
	v_add_f32_e32 v5, v6, v7
	global_atomic_cmpswap_b32 v5, v[3:4], v[5:6], off glc
	s_waitcnt vmcnt(0)
	v_cmp_eq_u32_e32 vcc_lo, v5, v6
	v_mov_b32_e32 v6, v5
	s_or_b32 s27, vcc_lo, s27
	s_delay_alu instid0(SALU_CYCLE_1)
	s_and_not1_b32 exec_lo, exec_lo, s27
	s_cbranch_execnz .LBB5_38
	s_branch .LBB5_31
.LBB5_39:
	s_or_b32 exec_lo, exec_lo, s3
	s_mov_b32 s2, 0
.LBB5_40:
	s_delay_alu instid0(SALU_CYCLE_1)
	s_and_b32 vcc_lo, exec_lo, s2
	s_cbranch_vccz .LBB5_167
; %bb.41:
	s_load_b32 s2, s[0:1], 0x6c
	s_mov_b32 s7, 0
	s_mov_b64 s[28:29], 0
	s_waitcnt lgkmcnt(0)
	s_and_b32 s6, s2, 0xffff
	s_delay_alu instid0(SALU_CYCLE_1) | instskip(NEXT) | instid1(VALU_DEP_1)
	v_cmp_lt_u64_e64 s2, s[6:7], s[22:23]
	s_and_b32 vcc_lo, exec_lo, s2
	s_cbranch_vccnz .LBB5_43
; %bb.42:
	v_cvt_f32_u32_e32 v1, s22
	s_sub_i32 s3, 0, s22
	s_delay_alu instid0(VALU_DEP_1) | instskip(SKIP_2) | instid1(VALU_DEP_1)
	v_rcp_iflag_f32_e32 v1, v1
	s_waitcnt_depctr 0xfff
	v_mul_f32_e32 v1, 0x4f7ffffe, v1
	v_cvt_u32_f32_e32 v1, v1
	s_delay_alu instid0(VALU_DEP_1) | instskip(NEXT) | instid1(VALU_DEP_1)
	v_readfirstlane_b32 s2, v1
	s_mul_i32 s3, s3, s2
	s_delay_alu instid0(SALU_CYCLE_1) | instskip(NEXT) | instid1(SALU_CYCLE_1)
	s_mul_hi_u32 s3, s2, s3
	s_add_i32 s2, s2, s3
	s_delay_alu instid0(SALU_CYCLE_1) | instskip(NEXT) | instid1(SALU_CYCLE_1)
	s_mul_hi_u32 s2, s6, s2
	s_mul_i32 s3, s2, s22
	s_add_i32 s4, s2, 1
	s_sub_i32 s3, s6, s3
	s_delay_alu instid0(SALU_CYCLE_1)
	s_sub_i32 s5, s3, s22
	s_cmp_ge_u32 s3, s22
	s_cselect_b32 s2, s4, s2
	s_cselect_b32 s3, s5, s3
	s_add_i32 s4, s2, 1
	s_cmp_ge_u32 s3, s22
	s_cselect_b32 s28, s4, s2
.LBB5_43:
	s_lshl_b64 s[2:3], s[16:17], 3
	v_sub_co_u32 v1, s7, v0, s24
	s_add_u32 s26, s8, s2
	s_addc_u32 s27, s9, s3
	s_load_b64 s[4:5], s[26:27], 0x0
	s_load_b128 s[0:3], s[0:1], 0x8
	v_sub_co_ci_u32_e64 v3, null, 0, 0, s7
	s_waitcnt lgkmcnt(0)
	v_add_co_u32 v2, vcc_lo, s4, v1
	s_delay_alu instid0(VALU_DEP_2) | instskip(SKIP_1) | instid1(VALU_DEP_3)
	v_add_co_ci_u32_e32 v3, vcc_lo, s5, v3, vcc_lo
	v_mov_b32_e32 v1, 0
	v_add_co_u32 v4, vcc_lo, 0x300, v2
	s_delay_alu instid0(VALU_DEP_3) | instskip(NEXT) | instid1(VALU_DEP_1)
	v_add_co_ci_u32_e32 v5, vcc_lo, 0, v3, vcc_lo
	v_cmp_le_i64_e32 vcc_lo, s[0:1], v[4:5]
	s_and_saveexec_b32 s0, vcc_lo
	s_delay_alu instid0(SALU_CYCLE_1)
	s_xor_b32 s7, exec_lo, s0
	s_cbranch_execnz .LBB5_46
; %bb.44:
	s_or_saveexec_b32 s1, s7
	v_lshlrev_b64 v[6:7], 2, v[2:3]
	s_xor_b32 exec_lo, exec_lo, s1
	s_cbranch_execnz .LBB5_50
.LBB5_45:
	s_or_b32 exec_lo, exec_lo, s1
	s_delay_alu instid0(SALU_CYCLE_1)
	s_mov_b32 s1, exec_lo
	v_cmpx_gt_i64_e64 s[2:3], v[0:1]
	s_cbranch_execnz .LBB5_51
	s_branch .LBB5_53
.LBB5_46:
	s_lshl_b64 s[0:1], s[18:19], 3
	s_mov_b32 s25, exec_lo
	s_add_u32 s0, s8, s0
	s_addc_u32 s1, s9, s1
	s_load_b64 s[0:1], s[0:1], 0x0
	s_waitcnt lgkmcnt(0)
	s_sub_u32 s34, s0, s4
	s_subb_u32 s35, s1, s5
	s_delay_alu instid0(SALU_CYCLE_1)
	v_cmpx_gt_i64_e64 s[34:35], v[0:1]
	s_cbranch_execz .LBB5_49
; %bb.47:
	v_lshlrev_b64 v[6:7], 2, v[2:3]
	v_dual_mov_b32 v10, v15 :: v_dual_mov_b32 v9, v1
	v_mov_b32_e32 v8, v0
	s_mov_b32 s29, 0
	s_delay_alu instid0(VALU_DEP_3) | instskip(NEXT) | instid1(VALU_DEP_1)
	v_add_co_u32 v6, s0, s12, v6
	v_add_co_ci_u32_e64 v7, s0, s13, v7, s0
	.p2align	6
.LBB5_48:                               ; =>This Inner Loop Header: Depth=1
	global_load_b32 v11, v[6:7], off
	v_add_co_u32 v8, s0, 0x100, v8
	s_delay_alu instid0(VALU_DEP_1) | instskip(SKIP_1) | instid1(VALU_DEP_1)
	v_add_co_ci_u32_e64 v9, s0, 0, v9, s0
	v_add_co_u32 v6, s0, 0x400, v6
	v_add_co_ci_u32_e64 v7, s0, 0, v7, s0
	s_delay_alu instid0(VALU_DEP_3) | instskip(NEXT) | instid1(VALU_DEP_1)
	v_cmp_le_i64_e64 s1, s[34:35], v[8:9]
	s_or_b32 s29, s1, s29
	s_waitcnt vmcnt(0)
	v_mul_f32_e32 v11, s30, v11
	ds_store_b32 v10, v11
	v_add_nc_u32_e32 v10, 0x400, v10
	s_and_not1_b32 exec_lo, exec_lo, s29
	s_cbranch_execnz .LBB5_48
.LBB5_49:
	s_or_b32 exec_lo, exec_lo, s25
	s_or_saveexec_b32 s1, s7
	v_lshlrev_b64 v[6:7], 2, v[2:3]
	s_xor_b32 exec_lo, exec_lo, s1
	s_cbranch_execz .LBB5_45
.LBB5_50:
	s_delay_alu instid0(VALU_DEP_1) | instskip(NEXT) | instid1(VALU_DEP_1)
	v_add_co_u32 v8, s0, s12, v6
	v_add_co_ci_u32_e64 v9, s0, s13, v7, s0
	s_clause 0x3
	global_load_b32 v10, v[8:9], off
	global_load_b32 v11, v[8:9], off offset:1024
	global_load_b32 v12, v[8:9], off offset:2048
	;; [unrolled: 1-line block ×3, first 2 shown]
	s_waitcnt vmcnt(2)
	v_dual_mul_f32 v9, s30, v10 :: v_dual_mul_f32 v10, s30, v11
	s_waitcnt vmcnt(1)
	v_mul_f32_e32 v11, s30, v12
	s_waitcnt vmcnt(0)
	v_mul_f32_e32 v8, s30, v8
	ds_store_2addr_stride64_b32 v15, v9, v10 offset1:4
	ds_store_2addr_stride64_b32 v15, v11, v8 offset0:8 offset1:12
	s_or_b32 exec_lo, exec_lo, s1
	s_delay_alu instid0(SALU_CYCLE_1)
	s_mov_b32 s1, exec_lo
	v_cmpx_gt_i64_e64 s[2:3], v[0:1]
	s_cbranch_execz .LBB5_53
.LBB5_51:
	v_mov_b32_e32 v9, v1
	v_lshl_add_u32 v10, v0, 2, 0x1000
	v_dual_mov_b32 v11, 0 :: v_dual_mov_b32 v8, v0
	s_mov_b32 s7, 0
.LBB5_52:                               ; =>This Inner Loop Header: Depth=1
	s_delay_alu instid0(VALU_DEP_1) | instskip(NEXT) | instid1(VALU_DEP_1)
	v_add_co_u32 v8, s0, 0x100, v8
	v_add_co_ci_u32_e64 v9, s0, 0, v9, s0
	ds_store_b32 v10, v11
	v_add_nc_u32_e32 v10, 0x400, v10
	v_cmp_le_i64_e64 s0, s[2:3], v[8:9]
	s_delay_alu instid0(VALU_DEP_1) | instskip(NEXT) | instid1(SALU_CYCLE_1)
	s_or_b32 s7, s0, s7
	s_and_not1_b32 exec_lo, exec_lo, s7
	s_cbranch_execnz .LBB5_52
.LBB5_53:
	s_or_b32 exec_lo, exec_lo, s1
	v_cmp_ge_i64_e64 s0, s[18:19], s[2:3]
	s_sub_u32 s1, s18, s2
	s_subb_u32 s7, s19, s3
	s_waitcnt lgkmcnt(0)
	s_barrier
	buffer_gl0_inv
	s_and_b32 s0, s0, exec_lo
	s_cselect_b32 s13, s7, 0
	s_cselect_b32 s12, s1, 0
	s_and_saveexec_b32 s0, vcc_lo
	s_delay_alu instid0(SALU_CYCLE_1)
	s_xor_b32 s7, exec_lo, s0
	s_cbranch_execz .LBB5_72
; %bb.54:
	s_lshl_b64 s[0:1], s[18:19], 3
	s_mov_b32 s25, exec_lo
	s_add_u32 s0, s8, s0
	s_addc_u32 s1, s9, s1
	s_load_b64 s[0:1], s[0:1], 0x0
	s_waitcnt lgkmcnt(0)
	s_sub_u32 s30, s0, s4
	s_subb_u32 s31, s1, s5
	s_delay_alu instid0(SALU_CYCLE_1)
	v_cmpx_gt_i64_e64 s[30:31], v[0:1]
	s_cbranch_execz .LBB5_71
; %bb.55:
	s_add_u32 s34, s18, -1
	s_addc_u32 s35, s19, -1
	s_add_u32 s36, s18, -2
	v_cmp_gt_i64_e64 s29, s[34:35], s[16:17]
	s_addc_u32 s37, s19, -1
	s_mov_b64 s[38:39], 0
	s_cmp_lg_u64 s[36:37], s[16:17]
	s_cselect_b32 s33, -1, 0
	s_delay_alu instid0(VALU_DEP_1) | instid1(SALU_CYCLE_1)
	s_and_b32 s29, s29, s33
	s_sub_u32 s36, s0, s24
	s_subb_u32 s37, s1, 0
	s_mov_b32 s1, 0
	s_branch .LBB5_58
.LBB5_56:                               ;   in Loop: Header=BB5_58 Depth=1
	s_or_b32 exec_lo, exec_lo, s0
.LBB5_57:                               ;   in Loop: Header=BB5_58 Depth=1
	s_delay_alu instid0(SALU_CYCLE_1) | instskip(SKIP_3) | instid1(VALU_DEP_1)
	s_or_b32 exec_lo, exec_lo, s33
	v_lshlrev_b64 v[4:5], 2, v[4:5]
	s_add_u32 s38, s38, 0x100
	s_addc_u32 s39, s39, 0
	v_add_co_u32 v4, vcc_lo, s14, v4
	s_delay_alu instid0(VALU_DEP_2) | instskip(SKIP_2) | instid1(VALU_DEP_1)
	v_add_co_ci_u32_e32 v5, vcc_lo, s15, v5, vcc_lo
	global_load_b32 v6, v[4:5], off
	v_add_co_u32 v4, s0, s38, v0
	v_add_co_ci_u32_e64 v5, null, s39, 0, s0
	s_delay_alu instid0(VALU_DEP_1)
	v_cmp_le_i64_e32 vcc_lo, s[30:31], v[4:5]
	v_lshlrev_b32_e32 v4, 2, v10
	s_or_b32 s1, vcc_lo, s1
	s_waitcnt vmcnt(0) lgkmcnt(0)
	v_mul_f32_e32 v5, v6, v11
	ds_store_b32 v4, v5
	s_and_not1_b32 exec_lo, exec_lo, s1
	s_cbranch_execz .LBB5_71
.LBB5_58:                               ; =>This Loop Header: Depth=1
                                        ;     Child Loop BB5_60 Depth 2
                                        ;     Child Loop BB5_67 Depth 2
	v_add_co_u32 v6, vcc_lo, s38, v2
	v_add_co_ci_u32_e32 v7, vcc_lo, s39, v3, vcc_lo
	v_dual_mov_b32 v8, s16 :: v_dual_mov_b32 v9, s17
	v_dual_mov_b32 v10, s34 :: v_dual_mov_b32 v11, s35
	s_and_not1_b32 vcc_lo, exec_lo, s29
	s_cbranch_vccnz .LBB5_62
; %bb.59:                               ;   in Loop: Header=BB5_58 Depth=1
	v_dual_mov_b32 v8, s16 :: v_dual_mov_b32 v9, s17
	v_dual_mov_b32 v10, s34 :: v_dual_mov_b32 v11, s35
	s_mov_b32 s33, 0
	s_set_inst_prefetch_distance 0x1
	.p2align	6
.LBB5_60:                               ;   Parent Loop BB5_58 Depth=1
                                        ; =>  This Inner Loop Header: Depth=2
	s_delay_alu instid0(VALU_DEP_1) | instskip(NEXT) | instid1(VALU_DEP_2)
	v_add_co_u32 v4, vcc_lo, v10, v8
	v_add_co_ci_u32_e32 v5, vcc_lo, v11, v9, vcc_lo
	s_delay_alu instid0(VALU_DEP_1) | instskip(NEXT) | instid1(VALU_DEP_1)
	v_lshrrev_b32_e32 v12, 31, v5
	v_add_co_u32 v4, vcc_lo, v4, v12
	v_add_co_ci_u32_e32 v5, vcc_lo, 0, v5, vcc_lo
	s_delay_alu instid0(VALU_DEP_1) | instskip(NEXT) | instid1(VALU_DEP_1)
	v_ashrrev_i64 v[4:5], 1, v[4:5]
	v_lshlrev_b64 v[12:13], 3, v[4:5]
	s_delay_alu instid0(VALU_DEP_1) | instskip(NEXT) | instid1(VALU_DEP_2)
	v_add_co_u32 v12, vcc_lo, s8, v12
	v_add_co_ci_u32_e32 v13, vcc_lo, s9, v13, vcc_lo
	global_load_b64 v[12:13], v[12:13], off
	s_waitcnt vmcnt(0)
	v_sub_co_u32 v12, vcc_lo, v12, s24
	v_subrev_co_ci_u32_e32 v13, vcc_lo, 0, v13, vcc_lo
	s_delay_alu instid0(VALU_DEP_1) | instskip(SKIP_2) | instid1(VALU_DEP_2)
	v_cmp_gt_i64_e32 vcc_lo, v[12:13], v[6:7]
	v_dual_cndmask_b32 v11, v11, v5 :: v_dual_cndmask_b32 v10, v10, v4
	v_dual_cndmask_b32 v9, v5, v9 :: v_dual_cndmask_b32 v8, v4, v8
	v_add_co_u32 v4, vcc_lo, v10, -1
	s_delay_alu instid0(VALU_DEP_3) | instskip(NEXT) | instid1(VALU_DEP_3)
	v_add_co_ci_u32_e32 v5, vcc_lo, -1, v11, vcc_lo
	v_cmp_ge_i64_e32 vcc_lo, v[8:9], v[10:11]
	s_delay_alu instid0(VALU_DEP_2) | instskip(NEXT) | instid1(VALU_DEP_1)
	v_cmp_eq_u64_e64 s0, v[8:9], v[4:5]
	s_or_b32 s0, vcc_lo, s0
	s_delay_alu instid0(SALU_CYCLE_1) | instskip(NEXT) | instid1(SALU_CYCLE_1)
	s_and_b32 s0, exec_lo, s0
	s_or_b32 s33, s0, s33
	s_delay_alu instid0(SALU_CYCLE_1)
	s_and_not1_b32 exec_lo, exec_lo, s33
	s_cbranch_execnz .LBB5_60
; %bb.61:                               ;   in Loop: Header=BB5_58 Depth=1
	s_set_inst_prefetch_distance 0x2
	s_or_b32 exec_lo, exec_lo, s33
.LBB5_62:                               ;   in Loop: Header=BB5_58 Depth=1
	s_delay_alu instid0(VALU_DEP_1) | instskip(SKIP_2) | instid1(VALU_DEP_3)
	v_lshlrev_b64 v[4:5], 3, v[10:11]
	v_lshlrev_b64 v[12:13], 2, v[6:7]
	v_cmp_le_i64_e64 s0, s[36:37], v[6:7]
	v_add_co_u32 v4, vcc_lo, s8, v4
	s_delay_alu instid0(VALU_DEP_4) | instskip(NEXT) | instid1(VALU_DEP_4)
	v_add_co_ci_u32_e32 v5, vcc_lo, s9, v5, vcc_lo
	v_add_co_u32 v12, vcc_lo, s10, v12
	v_add_co_ci_u32_e32 v13, vcc_lo, s11, v13, vcc_lo
	global_load_b64 v[4:5], v[4:5], off
	global_load_b32 v14, v[12:13], off
	s_waitcnt vmcnt(1)
	v_sub_co_u32 v12, vcc_lo, v4, s24
	v_subrev_co_ci_u32_e32 v13, vcc_lo, 0, v5, vcc_lo
	s_waitcnt vmcnt(0)
	v_subrev_nc_u32_e32 v4, s24, v14
	s_delay_alu instid0(VALU_DEP_2) | instskip(NEXT) | instid1(VALU_DEP_2)
	v_cmp_gt_i64_e32 vcc_lo, v[12:13], v[6:7]
	v_ashrrev_i32_e32 v5, 31, v4
	v_dual_cndmask_b32 v9, v11, v9 :: v_dual_cndmask_b32 v8, v10, v8
	v_add_co_u32 v10, null, s38, v0
                                        ; implicit-def: $vgpr11
	s_delay_alu instid0(VALU_DEP_2) | instskip(NEXT) | instid1(VALU_DEP_2)
	v_cmp_eq_u64_e32 vcc_lo, v[8:9], v[4:5]
	v_lshlrev_b32_e32 v12, 2, v10
	s_or_b32 s0, vcc_lo, s0
	s_delay_alu instid0(SALU_CYCLE_1) | instskip(NEXT) | instid1(SALU_CYCLE_1)
	s_and_saveexec_b32 s33, s0
	s_xor_b32 s0, exec_lo, s33
	s_cbranch_execz .LBB5_64
; %bb.63:                               ;   in Loop: Header=BB5_58 Depth=1
	ds_load_b32 v11, v12
                                        ; implicit-def: $vgpr12
                                        ; implicit-def: $vgpr8_vgpr9
.LBB5_64:                               ;   in Loop: Header=BB5_58 Depth=1
	s_and_not1_saveexec_b32 s33, s0
	s_cbranch_execz .LBB5_57
; %bb.65:                               ;   in Loop: Header=BB5_58 Depth=1
	v_cmp_gt_i64_e32 vcc_lo, s[12:13], v[4:5]
	v_cmp_le_i64_e64 s0, s[18:19], v[4:5]
	v_lshlrev_b64 v[6:7], 2, v[8:9]
                                        ; implicit-def: $vgpr11
	s_delay_alu instid0(VALU_DEP_2) | instskip(NEXT) | instid1(SALU_CYCLE_1)
	s_or_b32 s0, vcc_lo, s0
	s_and_saveexec_b32 s40, s0
	s_delay_alu instid0(SALU_CYCLE_1)
	s_xor_b32 s0, exec_lo, s40
	s_cbranch_execz .LBB5_69
; %bb.66:                               ;   in Loop: Header=BB5_58 Depth=1
	v_lshlrev_b64 v[8:9], 2, v[4:5]
	v_add_co_u32 v13, vcc_lo, s14, v6
	v_add_co_ci_u32_e32 v14, vcc_lo, s15, v7, vcc_lo
	s_mov_b32 s40, 0
	s_delay_alu instid0(VALU_DEP_3) | instskip(NEXT) | instid1(VALU_DEP_4)
	v_add_co_u32 v6, vcc_lo, s20, v8
	v_add_co_ci_u32_e32 v7, vcc_lo, s21, v9, vcc_lo
	global_load_b32 v8, v[13:14], off
	global_load_b32 v9, v[6:7], off
	s_waitcnt lgkmcnt(0)
	ds_load_b32 v11, v12
	s_waitcnt vmcnt(1) lgkmcnt(0)
	v_mul_f32_e32 v12, v11, v8
.LBB5_67:                               ;   Parent Loop BB5_58 Depth=1
                                        ; =>  This Inner Loop Header: Depth=2
	s_waitcnt vmcnt(0)
	s_delay_alu instid0(VALU_DEP_1)
	v_add_f32_e32 v8, v9, v12
	global_atomic_cmpswap_b32 v8, v[6:7], v[8:9], off glc
	s_waitcnt vmcnt(0)
	v_cmp_eq_u32_e32 vcc_lo, v8, v9
	v_mov_b32_e32 v9, v8
	s_or_b32 s40, vcc_lo, s40
	s_delay_alu instid0(SALU_CYCLE_1)
	s_and_not1_b32 exec_lo, exec_lo, s40
	s_cbranch_execnz .LBB5_67
; %bb.68:                               ;   in Loop: Header=BB5_58 Depth=1
	s_or_b32 exec_lo, exec_lo, s40
                                        ; implicit-def: $vgpr12
                                        ; implicit-def: $vgpr6_vgpr7
.LBB5_69:                               ;   in Loop: Header=BB5_58 Depth=1
	s_and_not1_saveexec_b32 s0, s0
	s_cbranch_execz .LBB5_56
; %bb.70:                               ;   in Loop: Header=BB5_58 Depth=1
	v_add_co_u32 v6, vcc_lo, s14, v6
	v_add_co_ci_u32_e32 v7, vcc_lo, s15, v7, vcc_lo
	s_waitcnt lgkmcnt(0)
	ds_load_b32 v11, v12
	global_load_b32 v6, v[6:7], off
	v_subrev_nc_u32_e32 v7, s12, v4
	s_delay_alu instid0(VALU_DEP_1)
	v_lshl_add_u32 v7, v7, 2, 0x1000
	s_waitcnt vmcnt(0) lgkmcnt(0)
	v_mul_f32_e32 v6, v11, v6
	ds_add_f32 v7, v6
	s_branch .LBB5_56
.LBB5_71:
	s_or_b32 exec_lo, exec_lo, s25
                                        ; implicit-def: $vgpr4_vgpr5
                                        ; implicit-def: $vgpr2
                                        ; implicit-def: $vgpr6_vgpr7
.LBB5_72:
	s_and_not1_saveexec_b32 s1, s7
	s_cbranch_execz .LBB5_122
; %bb.73:
	s_add_u32 s30, s18, -1
	s_addc_u32 s31, s19, -1
	s_add_u32 s34, s18, -2
	v_cmp_le_i64_e64 s0, s[30:31], s[16:17]
	s_addc_u32 s35, s19, -1
	v_dual_mov_b32 v9, s16 :: v_dual_mov_b32 v10, s17
	s_cmp_eq_u64 s[34:35], s[16:17]
	v_dual_mov_b32 v11, s30 :: v_dual_mov_b32 v12, s31
	s_cselect_b32 s7, -1, 0
	s_delay_alu instid0(SALU_CYCLE_1) | instskip(NEXT) | instid1(SALU_CYCLE_1)
	s_or_b32 s7, s0, s7
	s_and_b32 vcc_lo, exec_lo, s7
	s_cbranch_vccnz .LBB5_77
; %bb.74:
	v_dual_mov_b32 v9, s16 :: v_dual_mov_b32 v10, s17
	v_dual_mov_b32 v11, s30 :: v_dual_mov_b32 v12, s31
	s_mov_b32 s25, 0
	s_set_inst_prefetch_distance 0x1
	.p2align	6
.LBB5_75:                               ; =>This Inner Loop Header: Depth=1
	s_delay_alu instid0(VALU_DEP_1) | instskip(NEXT) | instid1(VALU_DEP_2)
	v_add_co_u32 v8, vcc_lo, v11, v9
	v_add_co_ci_u32_e32 v14, vcc_lo, v12, v10, vcc_lo
	s_delay_alu instid0(VALU_DEP_1) | instskip(NEXT) | instid1(VALU_DEP_1)
	v_lshrrev_b32_e32 v13, 31, v14
	v_add_co_u32 v13, vcc_lo, v8, v13
	v_add_co_ci_u32_e32 v14, vcc_lo, 0, v14, vcc_lo
	s_delay_alu instid0(VALU_DEP_1) | instskip(NEXT) | instid1(VALU_DEP_1)
	v_ashrrev_i64 v[13:14], 1, v[13:14]
	v_lshlrev_b64 v[16:17], 3, v[13:14]
	s_delay_alu instid0(VALU_DEP_1) | instskip(NEXT) | instid1(VALU_DEP_2)
	v_add_co_u32 v16, vcc_lo, s8, v16
	v_add_co_ci_u32_e32 v17, vcc_lo, s9, v17, vcc_lo
	global_load_b64 v[16:17], v[16:17], off
	s_waitcnt vmcnt(0)
	v_sub_co_u32 v16, vcc_lo, v16, s24
	v_subrev_co_ci_u32_e32 v17, vcc_lo, 0, v17, vcc_lo
	s_delay_alu instid0(VALU_DEP_1) | instskip(SKIP_2) | instid1(VALU_DEP_2)
	v_cmp_gt_i64_e32 vcc_lo, v[16:17], v[2:3]
	v_dual_cndmask_b32 v12, v12, v14 :: v_dual_cndmask_b32 v11, v11, v13
	v_dual_cndmask_b32 v10, v14, v10 :: v_dual_cndmask_b32 v9, v13, v9
	v_add_co_u32 v13, vcc_lo, v11, -1
	s_delay_alu instid0(VALU_DEP_3) | instskip(NEXT) | instid1(VALU_DEP_3)
	v_add_co_ci_u32_e32 v14, vcc_lo, -1, v12, vcc_lo
	v_cmp_ge_i64_e32 vcc_lo, v[9:10], v[11:12]
	s_delay_alu instid0(VALU_DEP_2) | instskip(NEXT) | instid1(VALU_DEP_1)
	v_cmp_eq_u64_e64 s0, v[9:10], v[13:14]
	s_or_b32 s0, vcc_lo, s0
	s_delay_alu instid0(SALU_CYCLE_1) | instskip(NEXT) | instid1(SALU_CYCLE_1)
	s_and_b32 s0, exec_lo, s0
	s_or_b32 s25, s0, s25
	s_delay_alu instid0(SALU_CYCLE_1)
	s_and_not1_b32 exec_lo, exec_lo, s25
	s_cbranch_execnz .LBB5_75
; %bb.76:
	s_set_inst_prefetch_distance 0x2
	s_or_b32 exec_lo, exec_lo, s25
.LBB5_77:
	v_lshlrev_b64 v[13:14], 3, v[11:12]
	s_xor_b32 s7, s7, -1
	s_mov_b32 s25, exec_lo
	s_delay_alu instid0(VALU_DEP_1) | instskip(NEXT) | instid1(VALU_DEP_2)
	v_add_co_u32 v13, vcc_lo, s8, v13
	v_add_co_ci_u32_e32 v14, vcc_lo, s9, v14, vcc_lo
	v_add_co_u32 v6, vcc_lo, s10, v6
	v_add_co_ci_u32_e32 v7, vcc_lo, s11, v7, vcc_lo
	global_load_b64 v[13:14], v[13:14], off
	s_lshl_b64 s[10:11], s[18:19], 3
	global_load_b32 v8, v[6:7], off
	s_add_u32 s10, s8, s10
	s_addc_u32 s11, s9, s11
	s_waitcnt vmcnt(1)
	v_sub_co_u32 v13, vcc_lo, v13, s24
	v_subrev_co_ci_u32_e32 v14, vcc_lo, 0, v14, vcc_lo
	s_waitcnt vmcnt(0)
	v_subrev_nc_u32_e32 v8, s24, v8
	s_delay_alu instid0(VALU_DEP_2) | instskip(SKIP_1) | instid1(VALU_DEP_3)
	v_cmp_gt_i64_e32 vcc_lo, v[13:14], v[2:3]
	v_dual_cndmask_b32 v12, v12, v10 :: v_dual_cndmask_b32 v11, v11, v9
	v_ashrrev_i32_e32 v9, 31, v8
	s_delay_alu instid0(VALU_DEP_1)
	v_cmpx_ne_u64_e64 v[11:12], v[8:9]
	s_cbranch_execz .LBB5_85
; %bb.78:
	s_load_b64 s[34:35], s[10:11], 0x0
	s_waitcnt lgkmcnt(0)
	s_sub_u32 s34, s34, s24
	s_subb_u32 s35, s35, 0
	s_delay_alu instid0(SALU_CYCLE_1)
	v_cmp_gt_i64_e32 vcc_lo, s[34:35], v[2:3]
	s_and_b32 exec_lo, exec_lo, vcc_lo
	s_cbranch_execz .LBB5_85
; %bb.79:
	v_cmp_gt_i64_e32 vcc_lo, s[12:13], v[8:9]
	v_cmp_le_i64_e64 s0, s[18:19], v[8:9]
	v_lshlrev_b64 v[10:11], 2, v[11:12]
	s_delay_alu instid0(VALU_DEP_2) | instskip(NEXT) | instid1(SALU_CYCLE_1)
	s_or_b32 s0, vcc_lo, s0
	s_and_saveexec_b32 s29, s0
	s_delay_alu instid0(SALU_CYCLE_1)
	s_xor_b32 s0, exec_lo, s29
	s_cbranch_execz .LBB5_83
; %bb.80:
	v_lshlrev_b64 v[12:13], 2, v[8:9]
	v_add_co_u32 v16, vcc_lo, s14, v10
	v_add_co_ci_u32_e32 v17, vcc_lo, s15, v11, vcc_lo
	s_mov_b32 s29, 0
	s_delay_alu instid0(VALU_DEP_3) | instskip(NEXT) | instid1(VALU_DEP_4)
	v_add_co_u32 v10, vcc_lo, s20, v12
	v_add_co_ci_u32_e32 v11, vcc_lo, s21, v13, vcc_lo
	global_load_b32 v12, v[16:17], off
	global_load_b32 v13, v[10:11], off
	ds_load_b32 v14, v15
	s_waitcnt vmcnt(1) lgkmcnt(0)
	v_mul_f32_e32 v14, v14, v12
.LBB5_81:                               ; =>This Inner Loop Header: Depth=1
	s_waitcnt vmcnt(0)
	s_delay_alu instid0(VALU_DEP_1)
	v_add_f32_e32 v12, v13, v14
	global_atomic_cmpswap_b32 v12, v[10:11], v[12:13], off glc
	s_waitcnt vmcnt(0)
	v_cmp_eq_u32_e32 vcc_lo, v12, v13
	v_mov_b32_e32 v13, v12
	s_or_b32 s29, vcc_lo, s29
	s_delay_alu instid0(SALU_CYCLE_1)
	s_and_not1_b32 exec_lo, exec_lo, s29
	s_cbranch_execnz .LBB5_81
; %bb.82:
	s_or_b32 exec_lo, exec_lo, s29
                                        ; implicit-def: $vgpr10_vgpr11
.LBB5_83:
	s_and_not1_saveexec_b32 s0, s0
	s_cbranch_execz .LBB5_85
; %bb.84:
	v_add_co_u32 v10, vcc_lo, s14, v10
	v_add_co_ci_u32_e32 v11, vcc_lo, s15, v11, vcc_lo
	v_subrev_nc_u32_e32 v12, s12, v8
	global_load_b32 v10, v[10:11], off
	ds_load_b32 v11, v15
	v_lshl_add_u32 v12, v12, 2, 0x1000
	s_waitcnt vmcnt(0) lgkmcnt(0)
	v_mul_f32_e32 v10, v11, v10
	ds_add_f32 v12, v10
.LBB5_85:
	s_or_b32 exec_lo, exec_lo, s25
	v_lshlrev_b64 v[8:9], 2, v[8:9]
	ds_load_b32 v11, v15
	v_cndmask_b32_e64 v16, 0, 1, s7
	v_dual_mov_b32 v13, s30 :: v_dual_mov_b32 v14, s31
	v_add_co_u32 v8, vcc_lo, s14, v8
	v_add_co_ci_u32_e32 v9, vcc_lo, s15, v9, vcc_lo
	global_load_b32 v10, v[8:9], off
	v_add_co_u32 v8, vcc_lo, 0x100, v2
	v_add_co_ci_u32_e32 v9, vcc_lo, 0, v3, vcc_lo
	s_and_not1_b32 vcc_lo, exec_lo, s7
	s_waitcnt vmcnt(0) lgkmcnt(0)
	v_dual_mul_f32 v10, v10, v11 :: v_dual_mov_b32 v11, s16
	v_mov_b32_e32 v12, s17
	ds_store_b32 v15, v10
	s_cbranch_vccnz .LBB5_89
; %bb.86:
	v_dual_mov_b32 v11, s16 :: v_dual_mov_b32 v12, s17
	v_dual_mov_b32 v13, s30 :: v_dual_mov_b32 v14, s31
	s_mov_b32 s7, 0
	s_set_inst_prefetch_distance 0x1
	.p2align	6
.LBB5_87:                               ; =>This Inner Loop Header: Depth=1
	s_delay_alu instid0(VALU_DEP_1) | instskip(NEXT) | instid1(VALU_DEP_2)
	v_add_co_u32 v10, vcc_lo, v13, v11
	v_add_co_ci_u32_e32 v18, vcc_lo, v14, v12, vcc_lo
	s_delay_alu instid0(VALU_DEP_1) | instskip(NEXT) | instid1(VALU_DEP_1)
	v_lshrrev_b32_e32 v17, 31, v18
	v_add_co_u32 v17, vcc_lo, v10, v17
	v_add_co_ci_u32_e32 v18, vcc_lo, 0, v18, vcc_lo
	s_delay_alu instid0(VALU_DEP_1) | instskip(NEXT) | instid1(VALU_DEP_1)
	v_ashrrev_i64 v[17:18], 1, v[17:18]
	v_lshlrev_b64 v[19:20], 3, v[17:18]
	s_delay_alu instid0(VALU_DEP_1) | instskip(NEXT) | instid1(VALU_DEP_2)
	v_add_co_u32 v19, vcc_lo, s8, v19
	v_add_co_ci_u32_e32 v20, vcc_lo, s9, v20, vcc_lo
	global_load_b64 v[19:20], v[19:20], off
	s_waitcnt vmcnt(0)
	v_sub_co_u32 v19, vcc_lo, v19, s24
	v_subrev_co_ci_u32_e32 v20, vcc_lo, 0, v20, vcc_lo
	s_delay_alu instid0(VALU_DEP_1) | instskip(SKIP_2) | instid1(VALU_DEP_2)
	v_cmp_gt_i64_e32 vcc_lo, v[19:20], v[8:9]
	v_dual_cndmask_b32 v14, v14, v18 :: v_dual_cndmask_b32 v13, v13, v17
	v_dual_cndmask_b32 v12, v18, v12 :: v_dual_cndmask_b32 v11, v17, v11
	v_add_co_u32 v17, vcc_lo, v13, -1
	s_delay_alu instid0(VALU_DEP_3) | instskip(NEXT) | instid1(VALU_DEP_3)
	v_add_co_ci_u32_e32 v18, vcc_lo, -1, v14, vcc_lo
	v_cmp_ge_i64_e32 vcc_lo, v[11:12], v[13:14]
	s_delay_alu instid0(VALU_DEP_2) | instskip(NEXT) | instid1(VALU_DEP_1)
	v_cmp_eq_u64_e64 s0, v[11:12], v[17:18]
	s_or_b32 s0, vcc_lo, s0
	s_delay_alu instid0(SALU_CYCLE_1) | instskip(NEXT) | instid1(SALU_CYCLE_1)
	s_and_b32 s0, exec_lo, s0
	s_or_b32 s7, s0, s7
	s_delay_alu instid0(SALU_CYCLE_1)
	s_and_not1_b32 exec_lo, exec_lo, s7
	s_cbranch_execnz .LBB5_87
; %bb.88:
	s_set_inst_prefetch_distance 0x2
	s_or_b32 exec_lo, exec_lo, s7
.LBB5_89:
	v_lshlrev_b64 v[17:18], 3, v[13:14]
	s_mov_b32 s7, exec_lo
	s_delay_alu instid0(VALU_DEP_1) | instskip(NEXT) | instid1(VALU_DEP_2)
	v_add_co_u32 v17, vcc_lo, s8, v17
	v_add_co_ci_u32_e32 v18, vcc_lo, s9, v18, vcc_lo
	global_load_b64 v[17:18], v[17:18], off
	global_load_b32 v10, v[6:7], off offset:1024
	s_waitcnt vmcnt(1)
	v_sub_co_u32 v17, vcc_lo, v17, s24
	v_subrev_co_ci_u32_e32 v18, vcc_lo, 0, v18, vcc_lo
	s_waitcnt vmcnt(0)
	v_subrev_nc_u32_e32 v10, s24, v10
	s_delay_alu instid0(VALU_DEP_2) | instskip(SKIP_1) | instid1(VALU_DEP_3)
	v_cmp_gt_i64_e32 vcc_lo, v[17:18], v[8:9]
	v_dual_cndmask_b32 v14, v14, v12 :: v_dual_cndmask_b32 v13, v13, v11
	v_ashrrev_i32_e32 v11, 31, v10
	s_delay_alu instid0(VALU_DEP_1)
	v_cmpx_ne_u64_e64 v[13:14], v[10:11]
	s_cbranch_execz .LBB5_97
; %bb.90:
	s_load_b64 s[34:35], s[10:11], 0x0
	s_waitcnt lgkmcnt(0)
	s_sub_u32 s34, s34, s24
	s_subb_u32 s35, s35, 0
	s_delay_alu instid0(SALU_CYCLE_1)
	v_cmp_gt_i64_e32 vcc_lo, s[34:35], v[8:9]
	s_and_b32 exec_lo, exec_lo, vcc_lo
	s_cbranch_execz .LBB5_97
; %bb.91:
	v_cmp_gt_i64_e32 vcc_lo, s[12:13], v[10:11]
	v_cmp_le_i64_e64 s0, s[18:19], v[10:11]
	v_lshlrev_b64 v[8:9], 2, v[13:14]
	s_delay_alu instid0(VALU_DEP_2) | instskip(NEXT) | instid1(SALU_CYCLE_1)
	s_or_b32 s0, vcc_lo, s0
	s_and_saveexec_b32 s25, s0
	s_delay_alu instid0(SALU_CYCLE_1)
	s_xor_b32 s0, exec_lo, s25
	s_cbranch_execz .LBB5_95
; %bb.92:
	v_lshlrev_b64 v[12:13], 2, v[10:11]
	v_add_co_u32 v17, vcc_lo, s14, v8
	v_add_co_ci_u32_e32 v18, vcc_lo, s15, v9, vcc_lo
	s_mov_b32 s25, 0
	s_delay_alu instid0(VALU_DEP_3) | instskip(NEXT) | instid1(VALU_DEP_4)
	v_add_co_u32 v8, vcc_lo, s20, v12
	v_add_co_ci_u32_e32 v9, vcc_lo, s21, v13, vcc_lo
	global_load_b32 v12, v[17:18], off
	global_load_b32 v13, v[8:9], off
	ds_load_b32 v14, v15 offset:1024
	s_waitcnt vmcnt(1) lgkmcnt(0)
	v_mul_f32_e32 v14, v14, v12
.LBB5_93:                               ; =>This Inner Loop Header: Depth=1
	s_waitcnt vmcnt(0)
	s_delay_alu instid0(VALU_DEP_1)
	v_add_f32_e32 v12, v13, v14
	global_atomic_cmpswap_b32 v12, v[8:9], v[12:13], off glc
	s_waitcnt vmcnt(0)
	v_cmp_eq_u32_e32 vcc_lo, v12, v13
	v_mov_b32_e32 v13, v12
	s_or_b32 s25, vcc_lo, s25
	s_delay_alu instid0(SALU_CYCLE_1)
	s_and_not1_b32 exec_lo, exec_lo, s25
	s_cbranch_execnz .LBB5_93
; %bb.94:
	s_or_b32 exec_lo, exec_lo, s25
                                        ; implicit-def: $vgpr8_vgpr9
.LBB5_95:
	s_and_not1_saveexec_b32 s0, s0
	s_cbranch_execz .LBB5_97
; %bb.96:
	v_add_co_u32 v8, vcc_lo, s14, v8
	v_add_co_ci_u32_e32 v9, vcc_lo, s15, v9, vcc_lo
	v_subrev_nc_u32_e32 v12, s12, v10
	global_load_b32 v8, v[8:9], off
	ds_load_b32 v9, v15 offset:1024
	v_lshl_add_u32 v12, v12, 2, 0x1000
	s_waitcnt vmcnt(0) lgkmcnt(0)
	v_mul_f32_e32 v8, v9, v8
	ds_add_f32 v12, v8
.LBB5_97:
	s_or_b32 exec_lo, exec_lo, s7
	v_lshlrev_b64 v[8:9], 2, v[10:11]
	v_dual_mov_b32 v11, s30 :: v_dual_mov_b32 v12, s31
	s_delay_alu instid0(VALU_DEP_2) | instskip(NEXT) | instid1(VALU_DEP_3)
	v_add_co_u32 v8, vcc_lo, s14, v8
	v_add_co_ci_u32_e32 v9, vcc_lo, s15, v9, vcc_lo
	v_add_co_u32 v2, vcc_lo, 0x200, v2
	v_add_co_ci_u32_e32 v3, vcc_lo, 0, v3, vcc_lo
	global_load_b32 v8, v[8:9], off
	ds_load_b32 v9, v15 offset:1024
	v_cmp_ne_u32_e32 vcc_lo, 1, v16
	s_and_b32 vcc_lo, exec_lo, vcc_lo
	s_waitcnt vmcnt(0) lgkmcnt(0)
	v_dual_mul_f32 v8, v8, v9 :: v_dual_mov_b32 v9, s16
	v_mov_b32_e32 v10, s17
	ds_store_b32 v15, v8 offset:1024
	s_cbranch_vccnz .LBB5_101
; %bb.98:
	v_dual_mov_b32 v9, s16 :: v_dual_mov_b32 v10, s17
	v_dual_mov_b32 v11, s30 :: v_dual_mov_b32 v12, s31
	s_mov_b32 s7, 0
	s_set_inst_prefetch_distance 0x1
	.p2align	6
.LBB5_99:                               ; =>This Inner Loop Header: Depth=1
	s_delay_alu instid0(VALU_DEP_1) | instskip(NEXT) | instid1(VALU_DEP_2)
	v_add_co_u32 v8, vcc_lo, v11, v9
	v_add_co_ci_u32_e32 v14, vcc_lo, v12, v10, vcc_lo
	s_delay_alu instid0(VALU_DEP_1) | instskip(NEXT) | instid1(VALU_DEP_1)
	v_lshrrev_b32_e32 v13, 31, v14
	v_add_co_u32 v13, vcc_lo, v8, v13
	v_add_co_ci_u32_e32 v14, vcc_lo, 0, v14, vcc_lo
	s_delay_alu instid0(VALU_DEP_1) | instskip(NEXT) | instid1(VALU_DEP_1)
	v_ashrrev_i64 v[13:14], 1, v[13:14]
	v_lshlrev_b64 v[17:18], 3, v[13:14]
	s_delay_alu instid0(VALU_DEP_1) | instskip(NEXT) | instid1(VALU_DEP_2)
	v_add_co_u32 v17, vcc_lo, s8, v17
	v_add_co_ci_u32_e32 v18, vcc_lo, s9, v18, vcc_lo
	global_load_b64 v[17:18], v[17:18], off
	s_waitcnt vmcnt(0)
	v_sub_co_u32 v17, vcc_lo, v17, s24
	v_subrev_co_ci_u32_e32 v18, vcc_lo, 0, v18, vcc_lo
	s_delay_alu instid0(VALU_DEP_1) | instskip(SKIP_2) | instid1(VALU_DEP_2)
	v_cmp_gt_i64_e32 vcc_lo, v[17:18], v[2:3]
	v_dual_cndmask_b32 v12, v12, v14 :: v_dual_cndmask_b32 v11, v11, v13
	v_dual_cndmask_b32 v10, v14, v10 :: v_dual_cndmask_b32 v9, v13, v9
	v_add_co_u32 v13, vcc_lo, v11, -1
	s_delay_alu instid0(VALU_DEP_3) | instskip(NEXT) | instid1(VALU_DEP_3)
	v_add_co_ci_u32_e32 v14, vcc_lo, -1, v12, vcc_lo
	v_cmp_ge_i64_e32 vcc_lo, v[9:10], v[11:12]
	s_delay_alu instid0(VALU_DEP_2) | instskip(NEXT) | instid1(VALU_DEP_1)
	v_cmp_eq_u64_e64 s0, v[9:10], v[13:14]
	s_or_b32 s0, vcc_lo, s0
	s_delay_alu instid0(SALU_CYCLE_1) | instskip(NEXT) | instid1(SALU_CYCLE_1)
	s_and_b32 s0, exec_lo, s0
	s_or_b32 s7, s0, s7
	s_delay_alu instid0(SALU_CYCLE_1)
	s_and_not1_b32 exec_lo, exec_lo, s7
	s_cbranch_execnz .LBB5_99
; %bb.100:
	s_set_inst_prefetch_distance 0x2
	s_or_b32 exec_lo, exec_lo, s7
.LBB5_101:
	v_lshlrev_b64 v[13:14], 3, v[11:12]
	s_mov_b32 s7, exec_lo
	s_delay_alu instid0(VALU_DEP_1) | instskip(NEXT) | instid1(VALU_DEP_2)
	v_add_co_u32 v13, vcc_lo, s8, v13
	v_add_co_ci_u32_e32 v14, vcc_lo, s9, v14, vcc_lo
	global_load_b64 v[13:14], v[13:14], off
	global_load_b32 v8, v[6:7], off offset:2048
	s_waitcnt vmcnt(1)
	v_sub_co_u32 v13, vcc_lo, v13, s24
	v_subrev_co_ci_u32_e32 v14, vcc_lo, 0, v14, vcc_lo
	s_waitcnt vmcnt(0)
	v_subrev_nc_u32_e32 v8, s24, v8
	s_delay_alu instid0(VALU_DEP_2) | instskip(SKIP_1) | instid1(VALU_DEP_3)
	v_cmp_gt_i64_e32 vcc_lo, v[13:14], v[2:3]
	v_dual_cndmask_b32 v12, v12, v10 :: v_dual_cndmask_b32 v11, v11, v9
	v_ashrrev_i32_e32 v9, 31, v8
	s_delay_alu instid0(VALU_DEP_1)
	v_cmpx_ne_u64_e64 v[11:12], v[8:9]
	s_cbranch_execz .LBB5_109
; %bb.102:
	s_load_b64 s[34:35], s[10:11], 0x0
	s_waitcnt lgkmcnt(0)
	s_sub_u32 s34, s34, s24
	s_subb_u32 s35, s35, 0
	s_delay_alu instid0(SALU_CYCLE_1)
	v_cmp_gt_i64_e32 vcc_lo, s[34:35], v[2:3]
	s_and_b32 exec_lo, exec_lo, vcc_lo
	s_cbranch_execz .LBB5_109
; %bb.103:
	v_cmp_gt_i64_e32 vcc_lo, s[12:13], v[8:9]
	v_cmp_le_i64_e64 s0, s[18:19], v[8:9]
	v_lshlrev_b64 v[2:3], 2, v[11:12]
	s_delay_alu instid0(VALU_DEP_2) | instskip(NEXT) | instid1(SALU_CYCLE_1)
	s_or_b32 s0, vcc_lo, s0
	s_and_saveexec_b32 s25, s0
	s_delay_alu instid0(SALU_CYCLE_1)
	s_xor_b32 s0, exec_lo, s25
	s_cbranch_execz .LBB5_107
; %bb.104:
	v_lshlrev_b64 v[10:11], 2, v[8:9]
	v_add_co_u32 v12, vcc_lo, s14, v2
	v_add_co_ci_u32_e32 v13, vcc_lo, s15, v3, vcc_lo
	s_mov_b32 s25, 0
	s_delay_alu instid0(VALU_DEP_3) | instskip(NEXT) | instid1(VALU_DEP_4)
	v_add_co_u32 v2, vcc_lo, s20, v10
	v_add_co_ci_u32_e32 v3, vcc_lo, s21, v11, vcc_lo
	global_load_b32 v10, v[12:13], off
	global_load_b32 v11, v[2:3], off
	ds_load_b32 v12, v15 offset:2048
	s_waitcnt vmcnt(1) lgkmcnt(0)
	v_mul_f32_e32 v12, v12, v10
.LBB5_105:                              ; =>This Inner Loop Header: Depth=1
	s_waitcnt vmcnt(0)
	s_delay_alu instid0(VALU_DEP_1)
	v_add_f32_e32 v10, v11, v12
	global_atomic_cmpswap_b32 v10, v[2:3], v[10:11], off glc
	s_waitcnt vmcnt(0)
	v_cmp_eq_u32_e32 vcc_lo, v10, v11
	v_mov_b32_e32 v11, v10
	s_or_b32 s25, vcc_lo, s25
	s_delay_alu instid0(SALU_CYCLE_1)
	s_and_not1_b32 exec_lo, exec_lo, s25
	s_cbranch_execnz .LBB5_105
; %bb.106:
	s_or_b32 exec_lo, exec_lo, s25
                                        ; implicit-def: $vgpr2_vgpr3
.LBB5_107:
	s_and_not1_saveexec_b32 s0, s0
	s_cbranch_execz .LBB5_109
; %bb.108:
	v_add_co_u32 v2, vcc_lo, s14, v2
	v_add_co_ci_u32_e32 v3, vcc_lo, s15, v3, vcc_lo
	v_subrev_nc_u32_e32 v10, s12, v8
	global_load_b32 v2, v[2:3], off
	ds_load_b32 v3, v15 offset:2048
	v_lshl_add_u32 v10, v10, 2, 0x1000
	s_waitcnt vmcnt(0) lgkmcnt(0)
	v_mul_f32_e32 v2, v3, v2
	ds_add_f32 v10, v2
.LBB5_109:
	s_or_b32 exec_lo, exec_lo, s7
	v_lshlrev_b64 v[2:3], 2, v[8:9]
	v_mov_b32_e32 v8, s16
	v_dual_mov_b32 v10, s30 :: v_dual_mov_b32 v11, s31
	v_mov_b32_e32 v9, s17
	s_delay_alu instid0(VALU_DEP_4)
	v_add_co_u32 v2, vcc_lo, s14, v2
	v_add_co_ci_u32_e32 v3, vcc_lo, s15, v3, vcc_lo
	v_cmp_ne_u32_e32 vcc_lo, 1, v16
	global_load_b32 v2, v[2:3], off
	ds_load_b32 v3, v15 offset:2048
	s_waitcnt vmcnt(0) lgkmcnt(0)
	v_mul_f32_e32 v2, v2, v3
	ds_store_b32 v15, v2 offset:2048
	s_cbranch_vccnz .LBB5_113
; %bb.110:
	v_dual_mov_b32 v8, s16 :: v_dual_mov_b32 v9, s17
	v_dual_mov_b32 v10, s30 :: v_dual_mov_b32 v11, s31
	s_mov_b32 s7, 0
	s_set_inst_prefetch_distance 0x1
	.p2align	6
.LBB5_111:                              ; =>This Inner Loop Header: Depth=1
	s_delay_alu instid0(VALU_DEP_1) | instskip(NEXT) | instid1(VALU_DEP_2)
	v_add_co_u32 v2, vcc_lo, v10, v8
	v_add_co_ci_u32_e32 v3, vcc_lo, v11, v9, vcc_lo
	s_delay_alu instid0(VALU_DEP_1) | instskip(NEXT) | instid1(VALU_DEP_1)
	v_lshrrev_b32_e32 v12, 31, v3
	v_add_co_u32 v2, vcc_lo, v2, v12
	v_add_co_ci_u32_e32 v3, vcc_lo, 0, v3, vcc_lo
	s_delay_alu instid0(VALU_DEP_1) | instskip(NEXT) | instid1(VALU_DEP_1)
	v_ashrrev_i64 v[2:3], 1, v[2:3]
	v_lshlrev_b64 v[12:13], 3, v[2:3]
	s_delay_alu instid0(VALU_DEP_1) | instskip(NEXT) | instid1(VALU_DEP_2)
	v_add_co_u32 v12, vcc_lo, s8, v12
	v_add_co_ci_u32_e32 v13, vcc_lo, s9, v13, vcc_lo
	global_load_b64 v[12:13], v[12:13], off
	s_waitcnt vmcnt(0)
	v_sub_co_u32 v12, vcc_lo, v12, s24
	v_subrev_co_ci_u32_e32 v13, vcc_lo, 0, v13, vcc_lo
	s_delay_alu instid0(VALU_DEP_1) | instskip(SKIP_2) | instid1(VALU_DEP_2)
	v_cmp_gt_i64_e32 vcc_lo, v[12:13], v[4:5]
	v_dual_cndmask_b32 v11, v11, v3 :: v_dual_cndmask_b32 v10, v10, v2
	v_dual_cndmask_b32 v9, v3, v9 :: v_dual_cndmask_b32 v8, v2, v8
	v_add_co_u32 v2, vcc_lo, v10, -1
	s_delay_alu instid0(VALU_DEP_3) | instskip(NEXT) | instid1(VALU_DEP_3)
	v_add_co_ci_u32_e32 v3, vcc_lo, -1, v11, vcc_lo
	v_cmp_ge_i64_e32 vcc_lo, v[8:9], v[10:11]
	s_delay_alu instid0(VALU_DEP_2) | instskip(NEXT) | instid1(VALU_DEP_1)
	v_cmp_eq_u64_e64 s0, v[8:9], v[2:3]
	s_or_b32 s0, vcc_lo, s0
	s_delay_alu instid0(SALU_CYCLE_1) | instskip(NEXT) | instid1(SALU_CYCLE_1)
	s_and_b32 s0, exec_lo, s0
	s_or_b32 s7, s0, s7
	s_delay_alu instid0(SALU_CYCLE_1)
	s_and_not1_b32 exec_lo, exec_lo, s7
	s_cbranch_execnz .LBB5_111
; %bb.112:
	s_set_inst_prefetch_distance 0x2
	s_or_b32 exec_lo, exec_lo, s7
.LBB5_113:
	v_lshlrev_b64 v[2:3], 3, v[10:11]
	s_mov_b32 s7, exec_lo
	s_delay_alu instid0(VALU_DEP_1) | instskip(NEXT) | instid1(VALU_DEP_2)
	v_add_co_u32 v2, vcc_lo, s8, v2
	v_add_co_ci_u32_e32 v3, vcc_lo, s9, v3, vcc_lo
	global_load_b64 v[2:3], v[2:3], off
	global_load_b32 v6, v[6:7], off offset:3072
	s_waitcnt vmcnt(1)
	v_sub_co_u32 v2, vcc_lo, v2, s24
	v_subrev_co_ci_u32_e32 v3, vcc_lo, 0, v3, vcc_lo
	s_delay_alu instid0(VALU_DEP_1) | instskip(SKIP_2) | instid1(VALU_DEP_1)
	v_cmp_gt_i64_e32 vcc_lo, v[2:3], v[4:5]
	s_waitcnt vmcnt(0)
	v_subrev_nc_u32_e32 v2, s24, v6
	v_ashrrev_i32_e32 v3, 31, v2
	v_dual_cndmask_b32 v7, v11, v9 :: v_dual_cndmask_b32 v6, v10, v8
	s_delay_alu instid0(VALU_DEP_1)
	v_cmpx_ne_u64_e64 v[6:7], v[2:3]
	s_cbranch_execz .LBB5_121
; %bb.114:
	s_load_b64 s[10:11], s[10:11], 0x0
	s_waitcnt lgkmcnt(0)
	s_sub_u32 s10, s10, s24
	s_subb_u32 s11, s11, 0
	s_delay_alu instid0(SALU_CYCLE_1)
	v_cmp_gt_i64_e32 vcc_lo, s[10:11], v[4:5]
	s_and_b32 exec_lo, exec_lo, vcc_lo
	s_cbranch_execz .LBB5_121
; %bb.115:
	v_cmp_gt_i64_e32 vcc_lo, s[12:13], v[2:3]
	v_cmp_le_i64_e64 s0, s[18:19], v[2:3]
	v_lshlrev_b64 v[4:5], 2, v[6:7]
	s_delay_alu instid0(VALU_DEP_2) | instskip(NEXT) | instid1(SALU_CYCLE_1)
	s_or_b32 s0, vcc_lo, s0
	s_and_saveexec_b32 s10, s0
	s_delay_alu instid0(SALU_CYCLE_1)
	s_xor_b32 s0, exec_lo, s10
	s_cbranch_execz .LBB5_119
; %bb.116:
	v_lshlrev_b64 v[6:7], 2, v[2:3]
	v_add_co_u32 v8, vcc_lo, s14, v4
	v_add_co_ci_u32_e32 v9, vcc_lo, s15, v5, vcc_lo
	s_mov_b32 s10, 0
	s_delay_alu instid0(VALU_DEP_3) | instskip(NEXT) | instid1(VALU_DEP_4)
	v_add_co_u32 v4, vcc_lo, s20, v6
	v_add_co_ci_u32_e32 v5, vcc_lo, s21, v7, vcc_lo
	global_load_b32 v6, v[8:9], off
	global_load_b32 v7, v[4:5], off
	ds_load_b32 v8, v15 offset:3072
	s_waitcnt vmcnt(1) lgkmcnt(0)
	v_mul_f32_e32 v8, v8, v6
.LBB5_117:                              ; =>This Inner Loop Header: Depth=1
	s_waitcnt vmcnt(0)
	s_delay_alu instid0(VALU_DEP_1)
	v_add_f32_e32 v6, v7, v8
	global_atomic_cmpswap_b32 v6, v[4:5], v[6:7], off glc
	s_waitcnt vmcnt(0)
	v_cmp_eq_u32_e32 vcc_lo, v6, v7
	v_mov_b32_e32 v7, v6
	s_or_b32 s10, vcc_lo, s10
	s_delay_alu instid0(SALU_CYCLE_1)
	s_and_not1_b32 exec_lo, exec_lo, s10
	s_cbranch_execnz .LBB5_117
; %bb.118:
	s_or_b32 exec_lo, exec_lo, s10
                                        ; implicit-def: $vgpr4_vgpr5
.LBB5_119:
	s_and_not1_saveexec_b32 s0, s0
	s_cbranch_execz .LBB5_121
; %bb.120:
	v_add_co_u32 v4, vcc_lo, s14, v4
	v_add_co_ci_u32_e32 v5, vcc_lo, s15, v5, vcc_lo
	v_subrev_nc_u32_e32 v6, s12, v2
	global_load_b32 v4, v[4:5], off
	ds_load_b32 v5, v15 offset:3072
	v_lshl_add_u32 v6, v6, 2, 0x1000
	s_waitcnt vmcnt(0) lgkmcnt(0)
	v_mul_f32_e32 v4, v5, v4
	ds_add_f32 v6, v4
.LBB5_121:
	s_or_b32 exec_lo, exec_lo, s7
	v_lshlrev_b64 v[2:3], 2, v[2:3]
	s_delay_alu instid0(VALU_DEP_1) | instskip(NEXT) | instid1(VALU_DEP_2)
	v_add_co_u32 v2, vcc_lo, s14, v2
	v_add_co_ci_u32_e32 v3, vcc_lo, s15, v3, vcc_lo
	global_load_b32 v2, v[2:3], off
	ds_load_b32 v3, v15 offset:3072
	s_waitcnt vmcnt(0) lgkmcnt(0)
	v_mul_f32_e32 v2, v2, v3
	ds_store_b32 v15, v2 offset:3072
.LBB5_122:
	s_or_b32 exec_lo, exec_lo, s1
	v_cmp_lt_i64_e64 s0, s[18:19], s[2:3]
	s_waitcnt lgkmcnt(0)
	s_barrier
	buffer_gl0_inv
	s_and_b32 s0, s0, exec_lo
	s_cselect_b32 s1, s18, s2
	s_cselect_b32 s0, s19, s3
	s_sub_u32 s2, s1, s22
	s_subb_u32 s3, s0, s23
	s_mov_b32 s0, exec_lo
	v_cmpx_gt_i64_e64 s[2:3], v[0:1]
	s_cbranch_execz .LBB5_127
; %bb.123:
	s_lshl_b64 s[10:11], s[12:13], 2
	v_dual_mov_b32 v3, v1 :: v_dual_mov_b32 v2, v0
	s_add_u32 s7, s20, s10
	s_addc_u32 s10, s21, s11
	s_mov_b32 s11, 0
	.p2align	6
.LBB5_124:                              ; =>This Loop Header: Depth=1
                                        ;     Child Loop BB5_125 Depth 2
	s_delay_alu instid0(VALU_DEP_1)
	v_lshlrev_b64 v[4:5], 2, v[2:3]
	v_lshl_add_u32 v6, v2, 2, 0x1000
	s_mov_b32 s12, 0
	ds_load_b32 v8, v6
	v_add_co_u32 v4, vcc_lo, s7, v4
	v_add_co_ci_u32_e32 v5, vcc_lo, s10, v5, vcc_lo
	global_load_b32 v7, v[4:5], off
.LBB5_125:                              ;   Parent Loop BB5_124 Depth=1
                                        ; =>  This Inner Loop Header: Depth=2
	s_waitcnt vmcnt(0) lgkmcnt(0)
	v_add_f32_e32 v6, v7, v8
	global_atomic_cmpswap_b32 v6, v[4:5], v[6:7], off glc
	s_waitcnt vmcnt(0)
	v_cmp_eq_u32_e32 vcc_lo, v6, v7
	v_mov_b32_e32 v7, v6
	s_or_b32 s12, vcc_lo, s12
	s_delay_alu instid0(SALU_CYCLE_1)
	s_and_not1_b32 exec_lo, exec_lo, s12
	s_cbranch_execnz .LBB5_125
; %bb.126:                              ;   in Loop: Header=BB5_124 Depth=1
	s_or_b32 exec_lo, exec_lo, s12
	v_add_co_u32 v2, vcc_lo, 0x100, v2
	v_add_co_ci_u32_e32 v3, vcc_lo, 0, v3, vcc_lo
	s_delay_alu instid0(VALU_DEP_1) | instskip(SKIP_1) | instid1(SALU_CYCLE_1)
	v_cmp_le_i64_e32 vcc_lo, s[2:3], v[2:3]
	s_or_b32 s11, vcc_lo, s11
	s_and_not1_b32 exec_lo, exec_lo, s11
	s_cbranch_execnz .LBB5_124
.LBB5_127:
	s_or_b32 exec_lo, exec_lo, s0
	s_add_i32 s0, s28, -1
	v_add_co_u32 v6, s10, s16, v0
	s_ashr_i32 s3, s0, 1
	v_add_co_ci_u32_e64 v7, null, s17, 0, s10
	s_or_b32 s0, s3, s0
	s_delay_alu instid0(SALU_CYCLE_1) | instskip(SKIP_4) | instid1(SALU_CYCLE_1)
	s_ashr_i32 s3, s0, 2
	s_barrier
	s_or_b32 s0, s3, s0
	buffer_gl0_inv
	s_ashr_i32 s3, s0, 4
	s_or_b32 s0, s3, s0
	s_delay_alu instid0(SALU_CYCLE_1) | instskip(NEXT) | instid1(SALU_CYCLE_1)
	s_ashr_i32 s3, s0, 8
	s_or_b32 s0, s3, s0
	s_delay_alu instid0(SALU_CYCLE_1) | instskip(NEXT) | instid1(SALU_CYCLE_1)
	s_ashr_i32 s3, s0, 16
	s_or_b32 s3, s3, s0
	s_mov_b32 s0, -1
	s_add_i32 s3, s3, 1
	s_delay_alu instid0(SALU_CYCLE_1) | instskip(NEXT) | instid1(SALU_CYCLE_1)
	s_ashr_i32 s7, s3, 1
	s_cmp_gt_i32 s7, 1
	s_cbranch_scc1 .LBB5_138
; %bb.128:
	s_mov_b32 s0, exec_lo
	v_cmpx_gt_i64_e64 s[18:19], v[6:7]
	s_cbranch_execz .LBB5_137
; %bb.129:
	s_sub_i32 s1, s1, s18
	v_dual_mov_b32 v9, v7 :: v_dual_mov_b32 v8, v6
	s_lshl_b32 s11, s4, 2
	s_lshl_b32 s1, s1, 2
	s_mov_b32 s10, 0
	s_addk_i32 s1, 0x1000
	s_sub_i32 s11, 0, s11
.LBB5_130:                              ; =>This Loop Header: Depth=1
                                        ;     Child Loop BB5_132 Depth 2
                                        ;     Child Loop BB5_135 Depth 2
	v_lshlrev_b64 v[2:3], 3, v[8:9]
	v_mov_b32_e32 v12, 0
	s_mov_b32 s12, exec_lo
	s_delay_alu instid0(VALU_DEP_2) | instskip(NEXT) | instid1(VALU_DEP_3)
	v_add_co_u32 v2, vcc_lo, s8, v2
	v_add_co_ci_u32_e32 v3, vcc_lo, s9, v3, vcc_lo
	global_load_b128 v[2:5], v[2:3], off
	s_waitcnt vmcnt(0)
	v_cmpx_lt_i64_e64 v[2:3], v[4:5]
	s_cbranch_execz .LBB5_134
; %bb.131:                              ;   in Loop: Header=BB5_130 Depth=1
	v_sub_co_u32 v4, vcc_lo, v4, s4
	v_subrev_co_ci_u32_e32 v5, vcc_lo, s5, v5, vcc_lo
	v_sub_co_u32 v10, vcc_lo, v2, s4
	v_subrev_co_ci_u32_e32 v11, vcc_lo, s5, v3, vcc_lo
	v_lshl_add_u32 v2, v2, 2, s11
	v_mov_b32_e32 v12, 0
	s_mov_b32 s13, 0
.LBB5_132:                              ;   Parent Loop BB5_130 Depth=1
                                        ; =>  This Inner Loop Header: Depth=2
	ds_load_b32 v3, v2
	v_add_co_u32 v10, vcc_lo, v10, 1
	v_add_co_ci_u32_e32 v11, vcc_lo, 0, v11, vcc_lo
	v_add_nc_u32_e32 v2, 4, v2
	s_delay_alu instid0(VALU_DEP_2)
	v_cmp_ge_i64_e32 vcc_lo, v[10:11], v[4:5]
	s_or_b32 s13, vcc_lo, s13
	s_waitcnt lgkmcnt(0)
	v_add_f32_e32 v12, v12, v3
	s_and_not1_b32 exec_lo, exec_lo, s13
	s_cbranch_execnz .LBB5_132
; %bb.133:                              ;   in Loop: Header=BB5_130 Depth=1
	s_or_b32 exec_lo, exec_lo, s13
.LBB5_134:                              ;   in Loop: Header=BB5_130 Depth=1
	s_delay_alu instid0(SALU_CYCLE_1)
	s_or_b32 exec_lo, exec_lo, s12
	v_lshlrev_b64 v[2:3], 2, v[8:9]
	v_lshl_add_u32 v4, v8, 2, s1
	s_mov_b32 s12, 0
	ds_load_b32 v4, v4
	v_add_co_u32 v2, vcc_lo, s20, v2
	v_add_co_ci_u32_e32 v3, vcc_lo, s21, v3, vcc_lo
	global_load_b32 v5, v[2:3], off
	s_waitcnt lgkmcnt(0)
	v_add_f32_e32 v10, v12, v4
.LBB5_135:                              ;   Parent Loop BB5_130 Depth=1
                                        ; =>  This Inner Loop Header: Depth=2
	s_waitcnt vmcnt(0)
	s_delay_alu instid0(VALU_DEP_1)
	v_add_f32_e32 v4, v5, v10
	global_atomic_cmpswap_b32 v4, v[2:3], v[4:5], off glc
	s_waitcnt vmcnt(0)
	v_cmp_eq_u32_e32 vcc_lo, v4, v5
	v_mov_b32_e32 v5, v4
	s_or_b32 s12, vcc_lo, s12
	s_delay_alu instid0(SALU_CYCLE_1)
	s_and_not1_b32 exec_lo, exec_lo, s12
	s_cbranch_execnz .LBB5_135
; %bb.136:                              ;   in Loop: Header=BB5_130 Depth=1
	s_or_b32 exec_lo, exec_lo, s12
	v_add_co_u32 v8, vcc_lo, v8, s6
	v_add_co_ci_u32_e32 v9, vcc_lo, 0, v9, vcc_lo
	s_delay_alu instid0(VALU_DEP_1) | instskip(SKIP_1) | instid1(SALU_CYCLE_1)
	v_cmp_le_i64_e32 vcc_lo, s[18:19], v[8:9]
	s_or_b32 s10, vcc_lo, s10
	s_and_not1_b32 exec_lo, exec_lo, s10
	s_cbranch_execnz .LBB5_130
.LBB5_137:
	s_or_b32 exec_lo, exec_lo, s0
	s_mov_b32 s0, 0
.LBB5_138:
	s_delay_alu instid0(SALU_CYCLE_1)
	s_and_not1_b32 vcc_lo, exec_lo, s0
	s_cbranch_vccnz .LBB5_167
; %bb.139:
	v_cvt_f32_u32_e32 v13, s7
	s_sub_i32 s1, 0, s7
	v_mov_b32_e32 v11, 0
	s_delay_alu instid0(VALU_DEP_2) | instskip(SKIP_2) | instid1(VALU_DEP_1)
	v_rcp_iflag_f32_e32 v2, v13
	s_waitcnt_depctr 0xfff
	v_mul_f32_e32 v2, 0x4f7ffffe, v2
	v_cvt_u32_f32_e32 v2, v2
	s_delay_alu instid0(VALU_DEP_1) | instskip(NEXT) | instid1(VALU_DEP_1)
	v_mul_lo_u32 v3, s1, v2
	v_mul_hi_u32 v3, v2, v3
	s_delay_alu instid0(VALU_DEP_1) | instskip(NEXT) | instid1(VALU_DEP_1)
	v_add_nc_u32_e32 v2, v2, v3
	v_mul_hi_u32 v2, v0, v2
	s_delay_alu instid0(VALU_DEP_1) | instskip(SKIP_1) | instid1(VALU_DEP_2)
	v_mul_lo_u32 v3, v2, s7
	v_add_nc_u32_e32 v4, 1, v2
	v_sub_nc_u32_e32 v3, v0, v3
	s_delay_alu instid0(VALU_DEP_1) | instskip(SKIP_1) | instid1(VALU_DEP_2)
	v_subrev_nc_u32_e32 v5, s7, v3
	v_cmp_le_u32_e32 vcc_lo, s7, v3
	v_dual_cndmask_b32 v2, v2, v4 :: v_dual_cndmask_b32 v3, v3, v5
	s_delay_alu instid0(VALU_DEP_1) | instskip(NEXT) | instid1(VALU_DEP_2)
	v_add_nc_u32_e32 v4, 1, v2
	v_cmp_le_u32_e32 vcc_lo, s7, v3
	s_delay_alu instid0(VALU_DEP_2) | instskip(NEXT) | instid1(VALU_DEP_1)
	v_cndmask_b32_e32 v10, v2, v4, vcc_lo
	v_lshlrev_b64 v[2:3], 3, v[10:11]
	s_delay_alu instid0(VALU_DEP_1) | instskip(NEXT) | instid1(VALU_DEP_2)
	v_add_co_u32 v2, vcc_lo, s26, v2
	v_add_co_ci_u32_e32 v3, vcc_lo, s27, v3, vcc_lo
	global_load_b128 v[2:5], v[2:3], off
	s_waitcnt vmcnt(0)
	v_sub_co_u32 v8, vcc_lo, v2, s4
	v_subrev_co_ci_u32_e32 v9, vcc_lo, s5, v3, vcc_lo
	v_sub_co_u32 v14, vcc_lo, v4, s4
	v_subrev_co_ci_u32_e32 v16, vcc_lo, s5, v5, vcc_lo
	v_mov_b32_e32 v4, v11
	s_delay_alu instid0(VALU_DEP_3) | instskip(NEXT) | instid1(VALU_DEP_3)
	v_sub_co_u32 v12, vcc_lo, v14, v8
	v_sub_co_ci_u32_e32 v5, vcc_lo, v16, v9, vcc_lo
	s_delay_alu instid0(VALU_DEP_1) | instskip(SKIP_1) | instid1(SALU_CYCLE_1)
	v_cmp_ne_u64_e32 vcc_lo, 0, v[4:5]
                                        ; implicit-def: $vgpr3_vgpr4
	s_and_saveexec_b32 s0, vcc_lo
	s_xor_b32 s5, exec_lo, s0
	s_cbranch_execz .LBB5_141
; %bb.140:
	v_cvt_f32_ubyte0_e32 v3, 0
	s_sub_u32 s0, 0, s7
	s_subb_u32 s6, 0, 0
	s_delay_alu instid0(VALU_DEP_1) | instskip(NEXT) | instid1(VALU_DEP_1)
	v_fmamk_f32 v3, v3, 0x4f800000, v13
	v_rcp_f32_e32 v3, v3
	s_waitcnt_depctr 0xfff
	v_mul_f32_e32 v3, 0x5f7ffffc, v3
	s_delay_alu instid0(VALU_DEP_1) | instskip(NEXT) | instid1(VALU_DEP_1)
	v_mul_f32_e32 v4, 0x2f800000, v3
	v_trunc_f32_e32 v4, v4
	s_delay_alu instid0(VALU_DEP_1) | instskip(SKIP_1) | instid1(VALU_DEP_2)
	v_fmamk_f32 v3, v4, 0xcf800000, v3
	v_cvt_u32_f32_e32 v4, v4
	v_cvt_u32_f32_e32 v3, v3
	s_delay_alu instid0(VALU_DEP_2) | instskip(NEXT) | instid1(VALU_DEP_2)
	v_mul_lo_u32 v13, s0, v4
	v_mul_hi_u32 v17, s0, v3
	v_mul_lo_u32 v18, s6, v3
	s_delay_alu instid0(VALU_DEP_2) | instskip(SKIP_1) | instid1(VALU_DEP_2)
	v_add_nc_u32_e32 v13, v17, v13
	v_mul_lo_u32 v17, s0, v3
	v_add_nc_u32_e32 v13, v13, v18
	s_delay_alu instid0(VALU_DEP_2) | instskip(NEXT) | instid1(VALU_DEP_2)
	v_mul_hi_u32 v18, v3, v17
	v_mul_lo_u32 v19, v3, v13
	v_mul_hi_u32 v20, v3, v13
	v_mul_hi_u32 v21, v4, v17
	v_mul_lo_u32 v17, v4, v17
	v_mul_hi_u32 v22, v4, v13
	v_mul_lo_u32 v13, v4, v13
	v_add_co_u32 v18, vcc_lo, v18, v19
	v_add_co_ci_u32_e32 v19, vcc_lo, 0, v20, vcc_lo
	s_delay_alu instid0(VALU_DEP_2) | instskip(NEXT) | instid1(VALU_DEP_2)
	v_add_co_u32 v17, vcc_lo, v18, v17
	v_add_co_ci_u32_e32 v17, vcc_lo, v19, v21, vcc_lo
	v_add_co_ci_u32_e32 v18, vcc_lo, 0, v22, vcc_lo
	v_ashrrev_i32_e32 v21, 31, v5
	s_delay_alu instid0(VALU_DEP_3) | instskip(NEXT) | instid1(VALU_DEP_3)
	v_add_co_u32 v13, vcc_lo, v17, v13
	v_add_co_ci_u32_e32 v17, vcc_lo, 0, v18, vcc_lo
	s_delay_alu instid0(VALU_DEP_2) | instskip(NEXT) | instid1(VALU_DEP_2)
	v_add_co_u32 v3, vcc_lo, v3, v13
	v_add_co_ci_u32_e32 v4, vcc_lo, v4, v17, vcc_lo
	s_delay_alu instid0(VALU_DEP_2) | instskip(SKIP_1) | instid1(VALU_DEP_3)
	v_mul_hi_u32 v13, s0, v3
	v_mul_lo_u32 v18, s6, v3
	v_mul_lo_u32 v17, s0, v4
	s_delay_alu instid0(VALU_DEP_1) | instskip(SKIP_1) | instid1(VALU_DEP_2)
	v_add_nc_u32_e32 v13, v13, v17
	v_mul_lo_u32 v17, s0, v3
	v_add_nc_u32_e32 v13, v13, v18
	s_delay_alu instid0(VALU_DEP_2) | instskip(NEXT) | instid1(VALU_DEP_2)
	v_mul_hi_u32 v18, v3, v17
	v_mul_lo_u32 v19, v3, v13
	v_mul_hi_u32 v20, v3, v13
	v_mul_hi_u32 v22, v4, v17
	v_mul_lo_u32 v17, v4, v17
	v_mul_hi_u32 v23, v4, v13
	v_mul_lo_u32 v13, v4, v13
	v_add_co_u32 v18, vcc_lo, v18, v19
	v_add_co_ci_u32_e32 v19, vcc_lo, 0, v20, vcc_lo
	s_delay_alu instid0(VALU_DEP_2) | instskip(NEXT) | instid1(VALU_DEP_2)
	v_add_co_u32 v17, vcc_lo, v18, v17
	v_add_co_ci_u32_e32 v17, vcc_lo, v19, v22, vcc_lo
	v_add_co_ci_u32_e32 v18, vcc_lo, 0, v23, vcc_lo
	v_add_co_u32 v12, vcc_lo, v12, v21
	v_add_co_ci_u32_e32 v5, vcc_lo, v5, v21, vcc_lo
	s_delay_alu instid0(VALU_DEP_4) | instskip(NEXT) | instid1(VALU_DEP_4)
	v_add_co_u32 v13, vcc_lo, v17, v13
	v_add_co_ci_u32_e32 v17, vcc_lo, 0, v18, vcc_lo
	s_delay_alu instid0(VALU_DEP_4) | instskip(NEXT) | instid1(VALU_DEP_3)
	v_xor_b32_e32 v19, v12, v21
	v_add_co_u32 v18, vcc_lo, v3, v13
	s_delay_alu instid0(VALU_DEP_3) | instskip(SKIP_1) | instid1(VALU_DEP_3)
	v_add_co_ci_u32_e32 v20, vcc_lo, v4, v17, vcc_lo
	v_xor_b32_e32 v5, v5, v21
	v_mul_hi_u32 v22, v19, v18
	s_delay_alu instid0(VALU_DEP_3) | instskip(NEXT) | instid1(VALU_DEP_3)
	v_mad_u64_u32 v[3:4], null, v19, v20, 0
	v_mad_u64_u32 v[12:13], null, v5, v18, 0
	;; [unrolled: 1-line block ×3, first 2 shown]
	s_delay_alu instid0(VALU_DEP_3) | instskip(NEXT) | instid1(VALU_DEP_4)
	v_add_co_u32 v3, vcc_lo, v22, v3
	v_add_co_ci_u32_e32 v4, vcc_lo, 0, v4, vcc_lo
	s_delay_alu instid0(VALU_DEP_2) | instskip(NEXT) | instid1(VALU_DEP_2)
	v_add_co_u32 v3, vcc_lo, v3, v12
	v_add_co_ci_u32_e32 v3, vcc_lo, v4, v13, vcc_lo
	v_add_co_ci_u32_e32 v4, vcc_lo, 0, v18, vcc_lo
	s_delay_alu instid0(VALU_DEP_2) | instskip(NEXT) | instid1(VALU_DEP_2)
	v_add_co_u32 v17, vcc_lo, v3, v17
	v_add_co_ci_u32_e32 v18, vcc_lo, 0, v4, vcc_lo
	s_delay_alu instid0(VALU_DEP_2) | instskip(NEXT) | instid1(VALU_DEP_1)
	v_mad_u64_u32 v[3:4], null, s7, v17, 0
	v_mad_u64_u32 v[12:13], null, s7, v18, v[4:5]
	s_delay_alu instid0(VALU_DEP_2) | instskip(NEXT) | instid1(VALU_DEP_2)
	v_sub_co_u32 v3, vcc_lo, v19, v3
	v_sub_co_ci_u32_e32 v4, vcc_lo, v5, v12, vcc_lo
	s_delay_alu instid0(VALU_DEP_2) | instskip(NEXT) | instid1(VALU_DEP_2)
	v_sub_co_u32 v5, vcc_lo, v3, s7
	v_subrev_co_ci_u32_e32 v12, vcc_lo, 0, v4, vcc_lo
	s_delay_alu instid0(VALU_DEP_2)
	v_cmp_le_u32_e32 vcc_lo, s7, v5
	v_cmp_eq_u32_e64 s0, 0, v4
	v_cndmask_b32_e64 v5, 0, -1, vcc_lo
	v_add_co_u32 v13, vcc_lo, v17, 2
	v_add_co_ci_u32_e32 v19, vcc_lo, 0, v18, vcc_lo
	v_cmp_le_u32_e32 vcc_lo, s7, v3
	v_cndmask_b32_e64 v3, 0, -1, vcc_lo
	v_cmp_eq_u32_e32 vcc_lo, 0, v12
	s_delay_alu instid0(VALU_DEP_2) | instskip(SKIP_3) | instid1(VALU_DEP_3)
	v_cndmask_b32_e64 v3, -1, v3, s0
	v_cndmask_b32_e32 v5, -1, v5, vcc_lo
	v_add_co_u32 v12, vcc_lo, v17, 1
	v_add_co_ci_u32_e32 v20, vcc_lo, 0, v18, vcc_lo
	v_cmp_ne_u32_e32 vcc_lo, 0, v5
	s_delay_alu instid0(VALU_DEP_2) | instskip(NEXT) | instid1(VALU_DEP_4)
	v_cndmask_b32_e32 v4, v20, v19, vcc_lo
	v_cndmask_b32_e32 v5, v12, v13, vcc_lo
	v_cmp_ne_u32_e32 vcc_lo, 0, v3
                                        ; implicit-def: $vgpr12
	s_delay_alu instid0(VALU_DEP_2) | instskip(NEXT) | instid1(VALU_DEP_1)
	v_dual_cndmask_b32 v3, v18, v4 :: v_dual_cndmask_b32 v4, v17, v5
	v_xor_b32_e32 v5, v3, v21
	s_delay_alu instid0(VALU_DEP_2) | instskip(NEXT) | instid1(VALU_DEP_1)
	v_xor_b32_e32 v4, v4, v21
	v_sub_co_u32 v3, vcc_lo, v4, v21
	s_delay_alu instid0(VALU_DEP_3)
	v_sub_co_ci_u32_e32 v4, vcc_lo, v5, v21, vcc_lo
.LBB5_141:
	s_and_not1_saveexec_b32 s0, s5
	s_cbranch_execz .LBB5_143
; %bb.142:
	v_cvt_f32_u32_e32 v3, s7
	s_delay_alu instid0(VALU_DEP_1) | instskip(SKIP_2) | instid1(VALU_DEP_1)
	v_rcp_iflag_f32_e32 v3, v3
	s_waitcnt_depctr 0xfff
	v_mul_f32_e32 v3, 0x4f7ffffe, v3
	v_cvt_u32_f32_e32 v3, v3
	s_delay_alu instid0(VALU_DEP_1) | instskip(NEXT) | instid1(VALU_DEP_1)
	v_mul_lo_u32 v4, s1, v3
	v_mul_hi_u32 v4, v3, v4
	s_delay_alu instid0(VALU_DEP_1) | instskip(NEXT) | instid1(VALU_DEP_1)
	v_add_nc_u32_e32 v3, v3, v4
	v_mul_hi_u32 v3, v12, v3
	s_delay_alu instid0(VALU_DEP_1) | instskip(SKIP_1) | instid1(VALU_DEP_2)
	v_mul_lo_u32 v4, v3, s7
	v_add_nc_u32_e32 v5, 1, v3
	v_sub_nc_u32_e32 v4, v12, v4
	s_delay_alu instid0(VALU_DEP_1) | instskip(SKIP_1) | instid1(VALU_DEP_2)
	v_subrev_nc_u32_e32 v12, s7, v4
	v_cmp_le_u32_e32 vcc_lo, s7, v4
	v_dual_cndmask_b32 v4, v4, v12 :: v_dual_cndmask_b32 v3, v3, v5
	s_delay_alu instid0(VALU_DEP_1) | instskip(NEXT) | instid1(VALU_DEP_2)
	v_cmp_le_u32_e32 vcc_lo, s7, v4
	v_dual_mov_b32 v4, 0 :: v_dual_add_nc_u32 v5, 1, v3
	s_delay_alu instid0(VALU_DEP_1)
	v_cndmask_b32_e32 v3, v3, v5, vcc_lo
.LBB5_143:
	s_or_b32 exec_lo, exec_lo, s0
	v_mov_b32_e32 v5, 0
	s_mov_b32 s5, exec_lo
	v_cmpx_gt_i64_e64 s[22:23], v[10:11]
	s_cbranch_execz .LBB5_157
; %bb.144:
	s_add_i32 s0, s7, -1
	s_mov_b32 s6, exec_lo
	v_dual_mov_b32 v5, 0 :: v_dual_and_b32 v10, s0, v0
	v_cmpx_lt_i64_e32 0, v[3:4]
	s_cbranch_execz .LBB5_154
; %bb.145:
	v_mov_b32_e32 v11, 0
	v_dual_mov_b32 v12, 0 :: v_dual_mov_b32 v5, 0
	s_mov_b32 s8, exec_lo
	v_cmpx_lt_u64_e32 3, v[3:4]
	s_cbranch_execz .LBB5_149
; %bb.146:
	v_lshlrev_b32_e32 v5, 2, v2
	s_lshl_b32 s0, s7, 2
	s_lshl_b32 s1, s4, 2
	v_and_b32_e32 v12, 0x7fffffff, v4
	v_and_b32_e32 v11, -4, v3
	v_lshl_add_u32 v13, v10, 2, v5
	v_mov_b32_e32 v5, 0
	s_sub_i32 s9, s0, s1
	s_lshl_b32 s0, s7, 3
	s_mul_i32 s12, s7, 12
	s_lshl_b32 s10, s7, 4
	s_sub_i32 s11, s0, s1
	s_sub_i32 s12, s12, s1
	s_mov_b32 s13, 0
	s_sub_i32 s14, 0, s1
	s_mov_b64 s[0:1], 0
	.p2align	6
.LBB5_147:                              ; =>This Inner Loop Header: Depth=1
	v_add_nc_u32_e32 v17, s14, v13
	v_add_nc_u32_e32 v18, s9, v13
	;; [unrolled: 1-line block ×3, first 2 shown]
	s_add_u32 s0, s0, 4
	s_addc_u32 s1, s1, 0
	ds_load_b32 v17, v17
	ds_load_b32 v18, v18
	v_cmp_eq_u64_e32 vcc_lo, s[0:1], v[11:12]
	s_or_b32 s13, vcc_lo, s13
	s_waitcnt lgkmcnt(1)
	v_add_f32_e32 v5, v5, v17
	v_add_nc_u32_e32 v20, s12, v13
	v_add_nc_u32_e32 v13, s10, v13
	s_waitcnt lgkmcnt(0)
	s_delay_alu instid0(VALU_DEP_3)
	v_add_f32_e32 v5, v5, v18
	ds_load_b32 v19, v19
	ds_load_b32 v20, v20
	s_waitcnt lgkmcnt(1)
	v_add_f32_e32 v5, v5, v19
	s_waitcnt lgkmcnt(0)
	s_delay_alu instid0(VALU_DEP_1)
	v_add_f32_e32 v5, v5, v20
	s_and_not1_b32 exec_lo, exec_lo, s13
	s_cbranch_execnz .LBB5_147
; %bb.148:
	s_or_b32 exec_lo, exec_lo, s13
.LBB5_149:
	s_delay_alu instid0(SALU_CYCLE_1) | instskip(SKIP_2) | instid1(VALU_DEP_1)
	s_or_b32 exec_lo, exec_lo, s8
	v_dual_mov_b32 v13, 0 :: v_dual_and_b32 v12, 3, v3
	s_mov_b32 s0, exec_lo
	v_cmpx_ne_u64_e32 0, v[12:13]
	s_cbranch_execz .LBB5_153
; %bb.150:
	v_mul_lo_u32 v11, s7, v11
	s_mov_b32 s1, 0
	s_delay_alu instid0(VALU_DEP_1) | instskip(NEXT) | instid1(VALU_DEP_1)
	v_add3_u32 v2, v10, v11, v2
	v_subrev_nc_u32_e32 v2, s4, v2
	s_lshl_b32 s4, s7, 2
	s_delay_alu instid0(VALU_DEP_1)
	v_lshlrev_b32_e32 v2, 2, v2
.LBB5_151:                              ; =>This Inner Loop Header: Depth=1
	ds_load_b32 v11, v2
	v_add_co_u32 v12, vcc_lo, v12, -1
	v_add_co_ci_u32_e32 v13, vcc_lo, -1, v13, vcc_lo
	v_add_nc_u32_e32 v2, s4, v2
	s_delay_alu instid0(VALU_DEP_2)
	v_cmp_eq_u64_e32 vcc_lo, 0, v[12:13]
	s_or_b32 s1, vcc_lo, s1
	s_waitcnt lgkmcnt(0)
	v_add_f32_e32 v5, v5, v11
	s_and_not1_b32 exec_lo, exec_lo, s1
	s_cbranch_execnz .LBB5_151
; %bb.152:
	s_or_b32 exec_lo, exec_lo, s1
.LBB5_153:
	s_delay_alu instid0(SALU_CYCLE_1)
	s_or_b32 exec_lo, exec_lo, s0
.LBB5_154:
	s_delay_alu instid0(SALU_CYCLE_1) | instskip(SKIP_3) | instid1(VALU_DEP_2)
	s_or_b32 exec_lo, exec_lo, s6
	v_mad_u64_u32 v[12:13], null, v3, s7, v[8:9]
	v_mov_b32_e32 v11, 0
	s_mov_b32 s0, exec_lo
	v_mov_b32_e32 v2, v13
	s_delay_alu instid0(VALU_DEP_1) | instskip(NEXT) | instid1(VALU_DEP_4)
	v_mad_u64_u32 v[8:9], null, v4, s7, v[2:3]
	v_sub_co_u32 v2, vcc_lo, v14, v12
	s_delay_alu instid0(VALU_DEP_2) | instskip(NEXT) | instid1(VALU_DEP_1)
	v_mov_b32_e32 v3, v8
	v_sub_co_ci_u32_e32 v3, vcc_lo, v16, v3, vcc_lo
	s_delay_alu instid0(VALU_DEP_1)
	v_cmpx_gt_i64_e64 v[2:3], v[10:11]
	s_cbranch_execz .LBB5_156
; %bb.155:
	v_add_lshl_u32 v2, v10, v12, 2
	ds_load_b32 v2, v2
	s_waitcnt lgkmcnt(0)
	v_add_f32_e32 v5, v5, v2
.LBB5_156:
	s_or_b32 exec_lo, exec_lo, s0
.LBB5_157:
	s_delay_alu instid0(SALU_CYCLE_1)
	s_or_b32 exec_lo, exec_lo, s5
	s_barrier
	buffer_gl0_inv
	ds_store_b32 v15, v5
	s_waitcnt lgkmcnt(0)
	s_barrier
	buffer_gl0_inv
	s_mov_b32 s0, exec_lo
	v_cmpx_gt_i64_e64 s[22:23], v[0:1]
	s_cbranch_execz .LBB5_167
; %bb.158:
	v_mul_lo_u32 v1, s7, v0
	s_cmp_lt_u32 s7, 8
	s_cbranch_scc1 .LBB5_161
; %bb.159:
	s_delay_alu instid0(VALU_DEP_1)
	v_dual_mov_b32 v3, 0 :: v_dual_lshlrev_b32 v2, 2, v1
	s_and_b32 s0, s7, 0x7ffffff8
	s_mov_b32 s1, 0
	.p2align	6
.LBB5_160:                              ; =>This Inner Loop Header: Depth=1
	ds_load_2addr_b32 v[4:5], v2 offset1:1
	ds_load_2addr_b32 v[8:9], v2 offset0:2 offset1:3
	ds_load_2addr_b32 v[10:11], v2 offset0:4 offset1:5
	;; [unrolled: 1-line block ×3, first 2 shown]
	s_add_i32 s1, s1, 8
	v_add_nc_u32_e32 v2, 32, v2
	s_cmp_eq_u32 s0, s1
	s_waitcnt lgkmcnt(3)
	v_add_f32_e32 v3, v3, v4
	s_delay_alu instid0(VALU_DEP_1) | instskip(SKIP_1) | instid1(VALU_DEP_1)
	v_add_f32_e32 v3, v3, v5
	s_waitcnt lgkmcnt(2)
	v_add_f32_e32 v3, v3, v8
	s_delay_alu instid0(VALU_DEP_1) | instskip(SKIP_1) | instid1(VALU_DEP_1)
	v_add_f32_e32 v3, v3, v9
	s_waitcnt lgkmcnt(1)
	v_add_f32_e32 v3, v3, v10
	s_delay_alu instid0(VALU_DEP_1) | instskip(SKIP_1) | instid1(VALU_DEP_1)
	v_add_f32_e32 v3, v3, v11
	s_waitcnt lgkmcnt(0)
	v_add_f32_e32 v3, v3, v12
	s_delay_alu instid0(VALU_DEP_1)
	v_add_f32_e32 v3, v3, v13
	s_cbranch_scc0 .LBB5_160
	s_branch .LBB5_162
.LBB5_161:
	v_mov_b32_e32 v3, 0
	s_mov_b32 s0, 0
.LBB5_162:
	s_bfe_u32 s1, s3, 0x30001
	s_delay_alu instid0(SALU_CYCLE_1)
	s_cmp_eq_u32 s1, 0
	s_cbranch_scc1 .LBB5_165
; %bb.163:
	v_add_lshl_u32 v1, s0, v1, 2
.LBB5_164:                              ; =>This Inner Loop Header: Depth=1
	ds_load_b32 v2, v1
	v_add_nc_u32_e32 v1, 4, v1
	s_add_i32 s1, s1, -1
	s_delay_alu instid0(SALU_CYCLE_1)
	s_cmp_lg_u32 s1, 0
	s_waitcnt lgkmcnt(0)
	v_add_f32_e32 v3, v3, v2
	s_cbranch_scc1 .LBB5_164
.LBB5_165:
	v_lshlrev_b64 v[1:2], 2, v[6:7]
	v_lshlrev_b32_e32 v0, 2, v0
	s_lshl_b32 s0, s2, 2
	s_delay_alu instid0(VALU_DEP_1) | instid1(SALU_CYCLE_1)
	v_add3_u32 v0, 0x1000, s0, v0
	s_delay_alu instid0(VALU_DEP_3) | instskip(NEXT) | instid1(VALU_DEP_4)
	v_add_co_u32 v1, vcc_lo, s20, v1
	v_add_co_ci_u32_e32 v2, vcc_lo, s21, v2, vcc_lo
	ds_load_b32 v0, v0
	s_mov_b32 s0, 0
	global_load_b32 v4, v[1:2], off
	s_waitcnt lgkmcnt(0)
	v_add_f32_e32 v0, v3, v0
.LBB5_166:                              ; =>This Inner Loop Header: Depth=1
	s_waitcnt vmcnt(0)
	s_delay_alu instid0(VALU_DEP_1)
	v_add_f32_e32 v3, v4, v0
	global_atomic_cmpswap_b32 v3, v[1:2], v[3:4], off glc
	s_waitcnt vmcnt(0)
	v_cmp_eq_u32_e32 vcc_lo, v3, v4
	v_mov_b32_e32 v4, v3
	s_or_b32 s0, vcc_lo, s0
	s_delay_alu instid0(SALU_CYCLE_1)
	s_and_not1_b32 exec_lo, exec_lo, s0
	s_cbranch_execnz .LBB5_166
.LBB5_167:
	s_endpgm
	.section	.rodata,"a",@progbits
	.p2align	6, 0x0
	.amdhsa_kernel _ZN9rocsparseL27csrmvn_symm_adaptive_kernelIliffffEEvbT_S1_PKS1_NS_24const_host_device_scalarIT4_EES3_PKT0_PKT1_PKT2_S6_PT3_21rocsparse_index_base_b
		.amdhsa_group_segment_fixed_size 4096
		.amdhsa_private_segment_fixed_size 0
		.amdhsa_kernarg_size 352
		.amdhsa_user_sgpr_count 15
		.amdhsa_user_sgpr_dispatch_ptr 0
		.amdhsa_user_sgpr_queue_ptr 0
		.amdhsa_user_sgpr_kernarg_segment_ptr 1
		.amdhsa_user_sgpr_dispatch_id 0
		.amdhsa_user_sgpr_private_segment_size 0
		.amdhsa_wavefront_size32 1
		.amdhsa_uses_dynamic_stack 0
		.amdhsa_enable_private_segment 0
		.amdhsa_system_sgpr_workgroup_id_x 1
		.amdhsa_system_sgpr_workgroup_id_y 0
		.amdhsa_system_sgpr_workgroup_id_z 0
		.amdhsa_system_sgpr_workgroup_info 0
		.amdhsa_system_vgpr_workitem_id 0
		.amdhsa_next_free_vgpr 24
		.amdhsa_next_free_sgpr 41
		.amdhsa_reserve_vcc 1
		.amdhsa_float_round_mode_32 0
		.amdhsa_float_round_mode_16_64 0
		.amdhsa_float_denorm_mode_32 3
		.amdhsa_float_denorm_mode_16_64 3
		.amdhsa_dx10_clamp 1
		.amdhsa_ieee_mode 1
		.amdhsa_fp16_overflow 0
		.amdhsa_workgroup_processor_mode 1
		.amdhsa_memory_ordered 1
		.amdhsa_forward_progress 0
		.amdhsa_shared_vgpr_count 0
		.amdhsa_exception_fp_ieee_invalid_op 0
		.amdhsa_exception_fp_denorm_src 0
		.amdhsa_exception_fp_ieee_div_zero 0
		.amdhsa_exception_fp_ieee_overflow 0
		.amdhsa_exception_fp_ieee_underflow 0
		.amdhsa_exception_fp_ieee_inexact 0
		.amdhsa_exception_int_div_zero 0
	.end_amdhsa_kernel
	.section	.text._ZN9rocsparseL27csrmvn_symm_adaptive_kernelIliffffEEvbT_S1_PKS1_NS_24const_host_device_scalarIT4_EES3_PKT0_PKT1_PKT2_S6_PT3_21rocsparse_index_base_b,"axG",@progbits,_ZN9rocsparseL27csrmvn_symm_adaptive_kernelIliffffEEvbT_S1_PKS1_NS_24const_host_device_scalarIT4_EES3_PKT0_PKT1_PKT2_S6_PT3_21rocsparse_index_base_b,comdat
.Lfunc_end5:
	.size	_ZN9rocsparseL27csrmvn_symm_adaptive_kernelIliffffEEvbT_S1_PKS1_NS_24const_host_device_scalarIT4_EES3_PKT0_PKT1_PKT2_S6_PT3_21rocsparse_index_base_b, .Lfunc_end5-_ZN9rocsparseL27csrmvn_symm_adaptive_kernelIliffffEEvbT_S1_PKS1_NS_24const_host_device_scalarIT4_EES3_PKT0_PKT1_PKT2_S6_PT3_21rocsparse_index_base_b
                                        ; -- End function
	.section	.AMDGPU.csdata,"",@progbits
; Kernel info:
; codeLenInByte = 9204
; NumSgprs: 43
; NumVgprs: 24
; ScratchSize: 0
; MemoryBound: 0
; FloatMode: 240
; IeeeMode: 1
; LDSByteSize: 4096 bytes/workgroup (compile time only)
; SGPRBlocks: 5
; VGPRBlocks: 2
; NumSGPRsForWavesPerEU: 43
; NumVGPRsForWavesPerEU: 24
; Occupancy: 16
; WaveLimiterHint : 1
; COMPUTE_PGM_RSRC2:SCRATCH_EN: 0
; COMPUTE_PGM_RSRC2:USER_SGPR: 15
; COMPUTE_PGM_RSRC2:TRAP_HANDLER: 0
; COMPUTE_PGM_RSRC2:TGID_X_EN: 1
; COMPUTE_PGM_RSRC2:TGID_Y_EN: 0
; COMPUTE_PGM_RSRC2:TGID_Z_EN: 0
; COMPUTE_PGM_RSRC2:TIDIG_COMP_CNT: 0
	.section	.text._ZL33csrmvn_symm_large_adaptive_kernelIliffffEvbT_PKS0_N9rocsparse24const_host_device_scalarIT4_EES2_PKT0_PKT1_PKT2_S6_PT3_21rocsparse_index_base_b,"axG",@progbits,_ZL33csrmvn_symm_large_adaptive_kernelIliffffEvbT_PKS0_N9rocsparse24const_host_device_scalarIT4_EES2_PKT0_PKT1_PKT2_S6_PT3_21rocsparse_index_base_b,comdat
	.globl	_ZL33csrmvn_symm_large_adaptive_kernelIliffffEvbT_PKS0_N9rocsparse24const_host_device_scalarIT4_EES2_PKT0_PKT1_PKT2_S6_PT3_21rocsparse_index_base_b ; -- Begin function _ZL33csrmvn_symm_large_adaptive_kernelIliffffEvbT_PKS0_N9rocsparse24const_host_device_scalarIT4_EES2_PKT0_PKT1_PKT2_S6_PT3_21rocsparse_index_base_b
	.p2align	8
	.type	_ZL33csrmvn_symm_large_adaptive_kernelIliffffEvbT_PKS0_N9rocsparse24const_host_device_scalarIT4_EES2_PKT0_PKT1_PKT2_S6_PT3_21rocsparse_index_base_b,@function
_ZL33csrmvn_symm_large_adaptive_kernelIliffffEvbT_PKS0_N9rocsparse24const_host_device_scalarIT4_EES2_PKT0_PKT1_PKT2_S6_PT3_21rocsparse_index_base_b: ; @_ZL33csrmvn_symm_large_adaptive_kernelIliffffEvbT_PKS0_N9rocsparse24const_host_device_scalarIT4_EES2_PKT0_PKT1_PKT2_S6_PT3_21rocsparse_index_base_b
; %bb.0:
	s_clause 0x2
	s_load_b64 s[6:7], s[0:1], 0x50
	s_load_b64 s[20:21], s[0:1], 0x18
	;; [unrolled: 1-line block ×3, first 2 shown]
	s_mov_b32 s2, s15
	s_waitcnt lgkmcnt(0)
	s_bitcmp1_b32 s7, 0
	s_cselect_b32 s3, -1, 0
	s_delay_alu instid0(SALU_CYCLE_1)
	s_and_b32 vcc_lo, exec_lo, s3
	s_xor_b32 s3, s3, -1
	s_cbranch_vccnz .LBB6_2
; %bb.1:
	s_load_b32 s20, s[20:21], 0x0
.LBB6_2:
	s_and_not1_b32 vcc_lo, exec_lo, s3
	s_cbranch_vccnz .LBB6_4
; %bb.3:
	s_load_b32 s4, s[4:5], 0x0
.LBB6_4:
	s_waitcnt lgkmcnt(0)
	v_cmp_neq_f32_e64 s3, s20, 0
	v_cmp_neq_f32_e64 s4, s4, 1.0
	s_delay_alu instid0(VALU_DEP_1) | instskip(NEXT) | instid1(SALU_CYCLE_1)
	s_or_b32 s3, s3, s4
	s_and_not1_b32 vcc_lo, exec_lo, s3
	s_cbranch_vccnz .LBB6_38
; %bb.5:
	s_load_b64 s[4:5], s[0:1], 0x10
	s_ashr_i32 s3, s2, 31
	v_dual_mov_b32 v1, 0 :: v_dual_lshlrev_b32 v6, 2, v0
	s_lshl_b64 s[2:3], s[2:3], 3
	ds_store_2addr_stride64_b32 v6, v1, v1 offset1:4
	ds_store_2addr_stride64_b32 v6, v1, v1 offset0:8 offset1:12
	s_waitcnt lgkmcnt(0)
	s_barrier
	buffer_gl0_inv
	s_add_u32 s2, s4, s2
	s_addc_u32 s3, s5, s3
	s_load_b128 s[16:19], s[2:3], 0x0
	s_clause 0x1
	s_load_b256 s[8:15], s[0:1], 0x20
	s_load_b64 s[22:23], s[0:1], 0x48
	v_sub_co_u32 v7, s1, v0, s6
	s_delay_alu instid0(VALU_DEP_1) | instskip(SKIP_2) | instid1(VALU_DEP_1)
	v_sub_co_ci_u32_e64 v8, null, 0, 0, s1
	s_waitcnt lgkmcnt(0)
	v_cmp_lt_i64_e64 s0, s[16:17], s[18:19]
	s_and_b32 vcc_lo, exec_lo, s0
	s_cbranch_vccnz .LBB6_7
; %bb.6:
	s_lshl_b64 s[0:1], s[16:17], 3
	s_delay_alu instid0(SALU_CYCLE_1)
	s_add_u32 s0, s8, s0
	s_addc_u32 s1, s9, s1
	s_load_b64 s[24:25], s[0:1], 0x0
	s_cbranch_execz .LBB6_8
	s_branch .LBB6_28
.LBB6_7:
                                        ; implicit-def: $sgpr24_sgpr25
.LBB6_8:
	s_lshl_b64 s[0:1], s[16:17], 3
	v_cmp_gt_u32_e64 s2, 16, v0
	s_add_u32 s0, s8, s0
	s_addc_u32 s1, s9, s1
	v_cmp_gt_u32_e64 s3, 4, v0
	s_waitcnt lgkmcnt(0)
	s_load_b64 s[24:25], s[0:1], 0x0
	v_cmp_gt_u32_e64 s0, 0x100, v0
	v_cmp_gt_u32_e64 s1, 64, v0
	v_cmp_eq_u32_e64 s4, 0, v0
	v_mov_b32_e32 v9, 0
	s_add_u32 s7, s8, 8
	s_addc_u32 s21, s9, 0
	s_mov_b64 s[26:27], s[16:17]
	s_waitcnt lgkmcnt(0)
	s_mov_b64 s[28:29], s[24:25]
	s_branch .LBB6_10
.LBB6_9:                                ;   in Loop: Header=BB6_10 Depth=1
	s_or_b32 exec_lo, exec_lo, s5
	s_add_u32 s26, s26, 1
	s_addc_u32 s27, s27, 0
	s_delay_alu instid0(SALU_CYCLE_1) | instskip(NEXT) | instid1(VALU_DEP_1)
	v_cmp_ge_i64_e64 s5, s[26:27], s[18:19]
	s_and_b32 vcc_lo, exec_lo, s5
	s_cbranch_vccnz .LBB6_28
.LBB6_10:                               ; =>This Loop Header: Depth=1
                                        ;     Child Loop BB6_12 Depth 2
                                        ;     Child Loop BB6_27 Depth 2
	s_lshl_b64 s[30:31], s[26:27], 3
	s_mov_b64 s[34:35], s[28:29]
	s_add_u32 s30, s7, s30
	s_addc_u32 s31, s21, s31
	v_add_co_u32 v0, vcc_lo, s34, v7
	s_load_b64 s[28:29], s[30:31], 0x0
	v_add_co_ci_u32_e32 v1, vcc_lo, s35, v8, vcc_lo
	v_mov_b32_e32 v10, 0
	s_mov_b32 s33, exec_lo
	s_waitcnt lgkmcnt(0)
	s_sub_u32 s30, s28, s6
	s_subb_u32 s31, s29, 0
	s_delay_alu instid0(SALU_CYCLE_1)
	v_cmpx_gt_i64_e64 s[30:31], v[0:1]
	s_cbranch_execz .LBB6_14
; %bb.11:                               ;   in Loop: Header=BB6_10 Depth=1
	v_lshlrev_b64 v[4:5], 2, v[0:1]
	v_mov_b32_e32 v10, 0
	s_mov_b32 s34, 0
	s_delay_alu instid0(VALU_DEP_2) | instskip(NEXT) | instid1(VALU_DEP_3)
	v_add_co_u32 v2, vcc_lo, s10, v4
	v_add_co_ci_u32_e32 v3, vcc_lo, s11, v5, vcc_lo
	v_add_co_u32 v4, vcc_lo, s12, v4
	v_add_co_ci_u32_e32 v5, vcc_lo, s13, v5, vcc_lo
	.p2align	6
.LBB6_12:                               ;   Parent Loop BB6_10 Depth=1
                                        ; =>  This Inner Loop Header: Depth=2
	global_load_b32 v11, v[2:3], off
	s_waitcnt vmcnt(0)
	v_subrev_nc_u32_e32 v11, s6, v11
	s_delay_alu instid0(VALU_DEP_1) | instskip(NEXT) | instid1(VALU_DEP_1)
	v_ashrrev_i32_e32 v12, 31, v11
	v_lshlrev_b64 v[11:12], 2, v[11:12]
	s_delay_alu instid0(VALU_DEP_1) | instskip(NEXT) | instid1(VALU_DEP_2)
	v_add_co_u32 v11, vcc_lo, s14, v11
	v_add_co_ci_u32_e32 v12, vcc_lo, s15, v12, vcc_lo
	v_add_co_u32 v0, vcc_lo, 0x100, v0
	global_load_b32 v13, v[4:5], off
	global_load_b32 v11, v[11:12], off
	v_add_co_ci_u32_e32 v1, vcc_lo, 0, v1, vcc_lo
	v_add_co_u32 v2, vcc_lo, 0x400, v2
	v_add_co_ci_u32_e32 v3, vcc_lo, 0, v3, vcc_lo
	s_delay_alu instid0(VALU_DEP_3) | instskip(SKIP_1) | instid1(VALU_DEP_1)
	v_cmp_le_i64_e32 vcc_lo, s[30:31], v[0:1]
	v_add_co_u32 v4, s5, 0x400, v4
	v_add_co_ci_u32_e64 v5, s5, 0, v5, s5
	s_or_b32 s34, vcc_lo, s34
	s_waitcnt vmcnt(0)
	v_fmac_f32_e32 v10, v13, v11
	s_and_not1_b32 exec_lo, exec_lo, s34
	s_cbranch_execnz .LBB6_12
; %bb.13:                               ;   in Loop: Header=BB6_10 Depth=1
	s_or_b32 exec_lo, exec_lo, s34
.LBB6_14:                               ;   in Loop: Header=BB6_10 Depth=1
	s_delay_alu instid0(SALU_CYCLE_1)
	s_or_b32 exec_lo, exec_lo, s33
	ds_store_b32 v6, v10
	s_waitcnt lgkmcnt(0)
	s_barrier
	buffer_gl0_inv
	s_and_saveexec_b32 s5, s0
	s_cbranch_execz .LBB6_16
; %bb.15:                               ;   in Loop: Header=BB6_10 Depth=1
	ds_load_2addr_stride64_b32 v[0:1], v6 offset1:4
	ds_load_2addr_stride64_b32 v[2:3], v6 offset0:8 offset1:12
	s_waitcnt lgkmcnt(0)
	v_add_f32_e32 v1, v1, v2
	s_delay_alu instid0(VALU_DEP_1) | instskip(NEXT) | instid1(VALU_DEP_1)
	v_add_f32_e32 v1, v1, v3
	v_add_f32_e32 v0, v0, v1
	ds_store_b32 v6, v0
.LBB6_16:                               ;   in Loop: Header=BB6_10 Depth=1
	s_or_b32 exec_lo, exec_lo, s5
	s_waitcnt lgkmcnt(0)
	s_barrier
	buffer_gl0_inv
	s_and_saveexec_b32 s5, s1
	s_cbranch_execz .LBB6_18
; %bb.17:                               ;   in Loop: Header=BB6_10 Depth=1
	ds_load_2addr_stride64_b32 v[0:1], v6 offset1:1
	ds_load_2addr_stride64_b32 v[2:3], v6 offset0:2 offset1:3
	s_waitcnt lgkmcnt(0)
	v_add_f32_e32 v1, v1, v2
	s_delay_alu instid0(VALU_DEP_1) | instskip(NEXT) | instid1(VALU_DEP_1)
	v_add_f32_e32 v1, v1, v3
	v_add_f32_e32 v0, v0, v1
	ds_store_b32 v6, v0
.LBB6_18:                               ;   in Loop: Header=BB6_10 Depth=1
	s_or_b32 exec_lo, exec_lo, s5
	s_waitcnt lgkmcnt(0)
	s_barrier
	buffer_gl0_inv
	s_and_saveexec_b32 s5, s2
	s_cbranch_execz .LBB6_20
; %bb.19:                               ;   in Loop: Header=BB6_10 Depth=1
	ds_load_2addr_b32 v[0:1], v6 offset1:16
	ds_load_2addr_b32 v[2:3], v6 offset0:32 offset1:48
	s_waitcnt lgkmcnt(0)
	v_add_f32_e32 v1, v1, v2
	s_delay_alu instid0(VALU_DEP_1) | instskip(NEXT) | instid1(VALU_DEP_1)
	v_add_f32_e32 v1, v1, v3
	v_add_f32_e32 v0, v0, v1
	ds_store_b32 v6, v0
.LBB6_20:                               ;   in Loop: Header=BB6_10 Depth=1
	s_or_b32 exec_lo, exec_lo, s5
	s_waitcnt lgkmcnt(0)
	s_barrier
	buffer_gl0_inv
	s_and_saveexec_b32 s5, s3
	s_cbranch_execz .LBB6_22
; %bb.21:                               ;   in Loop: Header=BB6_10 Depth=1
	ds_load_2addr_b32 v[0:1], v6 offset1:4
	ds_load_2addr_b32 v[2:3], v6 offset0:8 offset1:12
	s_waitcnt lgkmcnt(0)
	v_add_f32_e32 v1, v1, v2
	s_delay_alu instid0(VALU_DEP_1) | instskip(NEXT) | instid1(VALU_DEP_1)
	v_add_f32_e32 v1, v1, v3
	v_add_f32_e32 v0, v0, v1
	ds_store_b32 v6, v0
.LBB6_22:                               ;   in Loop: Header=BB6_10 Depth=1
	s_or_b32 exec_lo, exec_lo, s5
	s_waitcnt lgkmcnt(0)
	s_barrier
	buffer_gl0_inv
	s_and_saveexec_b32 s5, s4
	s_cbranch_execz .LBB6_24
; %bb.23:                               ;   in Loop: Header=BB6_10 Depth=1
	ds_load_2addr_b32 v[0:1], v9 offset0:1 offset1:2
	ds_load_b32 v2, v9 offset:12
	ds_load_b32 v3, v6
	s_waitcnt lgkmcnt(2)
	v_add_f32_e32 v0, v0, v1
	s_waitcnt lgkmcnt(1)
	s_delay_alu instid0(VALU_DEP_1) | instskip(SKIP_1) | instid1(VALU_DEP_1)
	v_add_f32_e32 v0, v0, v2
	s_waitcnt lgkmcnt(0)
	v_add_f32_e32 v0, v3, v0
	ds_store_b32 v6, v0
.LBB6_24:                               ;   in Loop: Header=BB6_10 Depth=1
	s_or_b32 exec_lo, exec_lo, s5
	s_waitcnt lgkmcnt(0)
	s_barrier
	buffer_gl0_inv
	s_and_saveexec_b32 s5, s4
	s_cbranch_execz .LBB6_9
; %bb.25:                               ;   in Loop: Header=BB6_10 Depth=1
	s_mov_b32 s33, exec_lo
	s_delay_alu instid0(SALU_CYCLE_1) | instskip(NEXT) | instid1(VALU_DEP_1)
	v_mbcnt_lo_u32_b32 v0, s33, 0
	v_cmp_eq_u32_e32 vcc_lo, 0, v0
	s_and_b32 s30, exec_lo, vcc_lo
	s_delay_alu instid0(SALU_CYCLE_1)
	s_mov_b32 exec_lo, s30
	s_cbranch_execz .LBB6_9
; %bb.26:                               ;   in Loop: Header=BB6_10 Depth=1
	s_lshl_b64 s[30:31], s[26:27], 2
	ds_load_b32 v0, v9
	s_add_u32 s30, s22, s30
	s_addc_u32 s31, s23, s31
	s_bcnt1_i32_b32 s33, s33
	global_load_b32 v1, v9, s[30:31]
	v_cvt_f32_ubyte0_e32 v2, s33
	s_mov_b32 s33, 0
	s_waitcnt lgkmcnt(0)
	v_mul_f32_e32 v0, s20, v0
	s_delay_alu instid0(VALU_DEP_1)
	v_mul_f32_e32 v2, v0, v2
.LBB6_27:                               ;   Parent Loop BB6_10 Depth=1
                                        ; =>  This Inner Loop Header: Depth=2
	s_waitcnt vmcnt(0)
	s_delay_alu instid0(VALU_DEP_1)
	v_add_f32_e32 v0, v1, v2
	global_atomic_cmpswap_b32 v0, v9, v[0:1], s[30:31] glc
	s_waitcnt vmcnt(0)
	v_cmp_eq_u32_e32 vcc_lo, v0, v1
	v_mov_b32_e32 v1, v0
	s_or_b32 s33, vcc_lo, s33
	s_delay_alu instid0(SALU_CYCLE_1)
	s_and_not1_b32 exec_lo, exec_lo, s33
	s_cbranch_execnz .LBB6_27
	s_branch .LBB6_9
.LBB6_28:
	s_lshl_b64 s[0:1], s[18:19], 3
	s_waitcnt lgkmcnt(0)
	v_add_co_u32 v0, vcc_lo, s24, v7
	s_add_u32 s0, s8, s0
	s_addc_u32 s1, s9, s1
	v_add_co_ci_u32_e32 v1, vcc_lo, s25, v8, vcc_lo
	s_load_b64 s[0:1], s[0:1], 0x0
	s_waitcnt lgkmcnt(0)
	s_sub_u32 s2, s0, s6
	s_subb_u32 s3, s1, 0
	s_mov_b32 s0, exec_lo
	v_cmpx_gt_i64_e64 s[2:3], v[0:1]
	s_cbranch_execz .LBB6_38
; %bb.29:
	s_add_u32 s4, s18, -1
	s_addc_u32 s5, s19, -1
	s_add_u32 s0, s18, -2
	v_cmp_gt_i64_e64 s7, s[4:5], s[16:17]
	s_addc_u32 s1, s19, -1
	s_delay_alu instid0(SALU_CYCLE_1)
	s_cmp_lg_u64 s[0:1], s[16:17]
	s_cselect_b32 s0, -1, 0
	s_delay_alu instid0(VALU_DEP_1) | instid1(SALU_CYCLE_1)
	s_and_b32 s1, s7, s0
	s_mov_b32 s7, 0
	s_branch .LBB6_31
.LBB6_30:                               ;   in Loop: Header=BB6_31 Depth=1
	s_or_b32 exec_lo, exec_lo, s0
	v_add_co_u32 v0, vcc_lo, 0x100, v0
	v_add_co_ci_u32_e32 v1, vcc_lo, 0, v1, vcc_lo
	s_delay_alu instid0(VALU_DEP_1) | instskip(SKIP_1) | instid1(SALU_CYCLE_1)
	v_cmp_le_i64_e32 vcc_lo, s[2:3], v[0:1]
	s_or_b32 s7, vcc_lo, s7
	s_and_not1_b32 exec_lo, exec_lo, s7
	s_cbranch_execz .LBB6_38
.LBB6_31:                               ; =>This Loop Header: Depth=1
                                        ;     Child Loop BB6_33 Depth 2
                                        ;     Child Loop BB6_37 Depth 2
	v_dual_mov_b32 v2, s16 :: v_dual_mov_b32 v3, s17
	v_dual_mov_b32 v4, s4 :: v_dual_mov_b32 v5, s5
	s_and_not1_b32 vcc_lo, exec_lo, s1
	s_cbranch_vccnz .LBB6_35
; %bb.32:                               ;   in Loop: Header=BB6_31 Depth=1
	v_dual_mov_b32 v2, s16 :: v_dual_mov_b32 v3, s17
	v_dual_mov_b32 v4, s4 :: v_dual_mov_b32 v5, s5
	s_mov_b32 s18, 0
	s_set_inst_prefetch_distance 0x1
	.p2align	6
.LBB6_33:                               ;   Parent Loop BB6_31 Depth=1
                                        ; =>  This Inner Loop Header: Depth=2
	s_delay_alu instid0(VALU_DEP_1) | instskip(NEXT) | instid1(VALU_DEP_2)
	v_add_co_u32 v6, vcc_lo, v4, v2
	v_add_co_ci_u32_e32 v7, vcc_lo, v5, v3, vcc_lo
	s_delay_alu instid0(VALU_DEP_1) | instskip(NEXT) | instid1(VALU_DEP_1)
	v_lshrrev_b32_e32 v8, 31, v7
	v_add_co_u32 v6, vcc_lo, v6, v8
	v_add_co_ci_u32_e32 v7, vcc_lo, 0, v7, vcc_lo
	s_delay_alu instid0(VALU_DEP_1) | instskip(NEXT) | instid1(VALU_DEP_1)
	v_ashrrev_i64 v[6:7], 1, v[6:7]
	v_lshlrev_b64 v[8:9], 3, v[6:7]
	s_delay_alu instid0(VALU_DEP_1) | instskip(NEXT) | instid1(VALU_DEP_2)
	v_add_co_u32 v8, vcc_lo, s8, v8
	v_add_co_ci_u32_e32 v9, vcc_lo, s9, v9, vcc_lo
	global_load_b64 v[8:9], v[8:9], off
	s_waitcnt vmcnt(0)
	v_sub_co_u32 v8, vcc_lo, v8, s6
	v_subrev_co_ci_u32_e32 v9, vcc_lo, 0, v9, vcc_lo
	s_delay_alu instid0(VALU_DEP_1) | instskip(SKIP_2) | instid1(VALU_DEP_2)
	v_cmp_gt_i64_e32 vcc_lo, v[8:9], v[0:1]
	v_dual_cndmask_b32 v5, v5, v7 :: v_dual_cndmask_b32 v4, v4, v6
	v_dual_cndmask_b32 v3, v7, v3 :: v_dual_cndmask_b32 v2, v6, v2
	v_add_co_u32 v6, vcc_lo, v4, -1
	s_delay_alu instid0(VALU_DEP_3) | instskip(NEXT) | instid1(VALU_DEP_3)
	v_add_co_ci_u32_e32 v7, vcc_lo, -1, v5, vcc_lo
	v_cmp_ge_i64_e32 vcc_lo, v[2:3], v[4:5]
	s_delay_alu instid0(VALU_DEP_2) | instskip(NEXT) | instid1(VALU_DEP_1)
	v_cmp_eq_u64_e64 s0, v[2:3], v[6:7]
	s_or_b32 s0, vcc_lo, s0
	s_delay_alu instid0(SALU_CYCLE_1) | instskip(NEXT) | instid1(SALU_CYCLE_1)
	s_and_b32 s0, exec_lo, s0
	s_or_b32 s18, s0, s18
	s_delay_alu instid0(SALU_CYCLE_1)
	s_and_not1_b32 exec_lo, exec_lo, s18
	s_cbranch_execnz .LBB6_33
; %bb.34:                               ;   in Loop: Header=BB6_31 Depth=1
	s_set_inst_prefetch_distance 0x2
	s_or_b32 exec_lo, exec_lo, s18
.LBB6_35:                               ;   in Loop: Header=BB6_31 Depth=1
	s_delay_alu instid0(VALU_DEP_1) | instskip(SKIP_1) | instid1(VALU_DEP_1)
	v_lshlrev_b64 v[6:7], 3, v[4:5]
	s_mov_b32 s0, exec_lo
	v_add_co_u32 v8, vcc_lo, s8, v6
	s_delay_alu instid0(VALU_DEP_2)
	v_add_co_ci_u32_e32 v9, vcc_lo, s9, v7, vcc_lo
	v_lshlrev_b64 v[6:7], 2, v[0:1]
	global_load_b64 v[8:9], v[8:9], off
	v_add_co_u32 v10, vcc_lo, s10, v6
	v_add_co_ci_u32_e32 v11, vcc_lo, s11, v7, vcc_lo
	global_load_b32 v10, v[10:11], off
	s_waitcnt vmcnt(1)
	v_sub_co_u32 v8, vcc_lo, v8, s6
	v_subrev_co_ci_u32_e32 v9, vcc_lo, 0, v9, vcc_lo
	s_delay_alu instid0(VALU_DEP_1) | instskip(SKIP_3) | instid1(VALU_DEP_2)
	v_cmp_gt_i64_e32 vcc_lo, v[8:9], v[0:1]
	s_waitcnt vmcnt(0)
	v_subrev_nc_u32_e32 v8, s6, v10
	v_dual_cndmask_b32 v3, v5, v3 :: v_dual_cndmask_b32 v2, v4, v2
	v_ashrrev_i32_e32 v9, 31, v8
	s_delay_alu instid0(VALU_DEP_1)
	v_cmpx_ne_u64_e64 v[2:3], v[8:9]
	s_cbranch_execz .LBB6_30
; %bb.36:                               ;   in Loop: Header=BB6_31 Depth=1
	v_add_co_u32 v4, vcc_lo, s12, v6
	v_lshlrev_b64 v[2:3], 2, v[2:3]
	v_add_co_ci_u32_e32 v5, vcc_lo, s13, v7, vcc_lo
	v_lshlrev_b64 v[6:7], 2, v[8:9]
	s_mov_b32 s18, 0
	global_load_b32 v8, v[4:5], off
	v_add_co_u32 v4, vcc_lo, s14, v2
	v_add_co_ci_u32_e32 v5, vcc_lo, s15, v3, vcc_lo
	v_add_co_u32 v2, vcc_lo, s22, v6
	v_add_co_ci_u32_e32 v3, vcc_lo, s23, v7, vcc_lo
	global_load_b32 v4, v[4:5], off
	global_load_b32 v5, v[2:3], off
	s_waitcnt vmcnt(2)
	v_mul_f32_e32 v6, s20, v8
	s_waitcnt vmcnt(1)
	s_delay_alu instid0(VALU_DEP_1)
	v_mul_f32_e32 v6, v6, v4
.LBB6_37:                               ;   Parent Loop BB6_31 Depth=1
                                        ; =>  This Inner Loop Header: Depth=2
	s_waitcnt vmcnt(0)
	s_delay_alu instid0(VALU_DEP_1)
	v_add_f32_e32 v4, v5, v6
	global_atomic_cmpswap_b32 v4, v[2:3], v[4:5], off glc
	s_waitcnt vmcnt(0)
	v_cmp_eq_u32_e32 vcc_lo, v4, v5
	v_mov_b32_e32 v5, v4
	s_or_b32 s18, vcc_lo, s18
	s_delay_alu instid0(SALU_CYCLE_1)
	s_and_not1_b32 exec_lo, exec_lo, s18
	s_cbranch_execnz .LBB6_37
	s_branch .LBB6_30
.LBB6_38:
	s_endpgm
	.section	.rodata,"a",@progbits
	.p2align	6, 0x0
	.amdhsa_kernel _ZL33csrmvn_symm_large_adaptive_kernelIliffffEvbT_PKS0_N9rocsparse24const_host_device_scalarIT4_EES2_PKT0_PKT1_PKT2_S6_PT3_21rocsparse_index_base_b
		.amdhsa_group_segment_fixed_size 4096
		.amdhsa_private_segment_fixed_size 0
		.amdhsa_kernarg_size 88
		.amdhsa_user_sgpr_count 15
		.amdhsa_user_sgpr_dispatch_ptr 0
		.amdhsa_user_sgpr_queue_ptr 0
		.amdhsa_user_sgpr_kernarg_segment_ptr 1
		.amdhsa_user_sgpr_dispatch_id 0
		.amdhsa_user_sgpr_private_segment_size 0
		.amdhsa_wavefront_size32 1
		.amdhsa_uses_dynamic_stack 0
		.amdhsa_enable_private_segment 0
		.amdhsa_system_sgpr_workgroup_id_x 1
		.amdhsa_system_sgpr_workgroup_id_y 0
		.amdhsa_system_sgpr_workgroup_id_z 0
		.amdhsa_system_sgpr_workgroup_info 0
		.amdhsa_system_vgpr_workitem_id 0
		.amdhsa_next_free_vgpr 14
		.amdhsa_next_free_sgpr 36
		.amdhsa_reserve_vcc 1
		.amdhsa_float_round_mode_32 0
		.amdhsa_float_round_mode_16_64 0
		.amdhsa_float_denorm_mode_32 3
		.amdhsa_float_denorm_mode_16_64 3
		.amdhsa_dx10_clamp 1
		.amdhsa_ieee_mode 1
		.amdhsa_fp16_overflow 0
		.amdhsa_workgroup_processor_mode 1
		.amdhsa_memory_ordered 1
		.amdhsa_forward_progress 0
		.amdhsa_shared_vgpr_count 0
		.amdhsa_exception_fp_ieee_invalid_op 0
		.amdhsa_exception_fp_denorm_src 0
		.amdhsa_exception_fp_ieee_div_zero 0
		.amdhsa_exception_fp_ieee_overflow 0
		.amdhsa_exception_fp_ieee_underflow 0
		.amdhsa_exception_fp_ieee_inexact 0
		.amdhsa_exception_int_div_zero 0
	.end_amdhsa_kernel
	.section	.text._ZL33csrmvn_symm_large_adaptive_kernelIliffffEvbT_PKS0_N9rocsparse24const_host_device_scalarIT4_EES2_PKT0_PKT1_PKT2_S6_PT3_21rocsparse_index_base_b,"axG",@progbits,_ZL33csrmvn_symm_large_adaptive_kernelIliffffEvbT_PKS0_N9rocsparse24const_host_device_scalarIT4_EES2_PKT0_PKT1_PKT2_S6_PT3_21rocsparse_index_base_b,comdat
.Lfunc_end6:
	.size	_ZL33csrmvn_symm_large_adaptive_kernelIliffffEvbT_PKS0_N9rocsparse24const_host_device_scalarIT4_EES2_PKT0_PKT1_PKT2_S6_PT3_21rocsparse_index_base_b, .Lfunc_end6-_ZL33csrmvn_symm_large_adaptive_kernelIliffffEvbT_PKS0_N9rocsparse24const_host_device_scalarIT4_EES2_PKT0_PKT1_PKT2_S6_PT3_21rocsparse_index_base_b
                                        ; -- End function
	.section	.AMDGPU.csdata,"",@progbits
; Kernel info:
; codeLenInByte = 1912
; NumSgprs: 38
; NumVgprs: 14
; ScratchSize: 0
; MemoryBound: 0
; FloatMode: 240
; IeeeMode: 1
; LDSByteSize: 4096 bytes/workgroup (compile time only)
; SGPRBlocks: 4
; VGPRBlocks: 1
; NumSGPRsForWavesPerEU: 38
; NumVGPRsForWavesPerEU: 14
; Occupancy: 16
; WaveLimiterHint : 1
; COMPUTE_PGM_RSRC2:SCRATCH_EN: 0
; COMPUTE_PGM_RSRC2:USER_SGPR: 15
; COMPUTE_PGM_RSRC2:TRAP_HANDLER: 0
; COMPUTE_PGM_RSRC2:TGID_X_EN: 1
; COMPUTE_PGM_RSRC2:TGID_Y_EN: 0
; COMPUTE_PGM_RSRC2:TGID_Z_EN: 0
; COMPUTE_PGM_RSRC2:TIDIG_COMP_CNT: 0
	.section	.text._ZN9rocsparseL22csrmvn_adaptive_kernelIllffffEEvbT_PKS1_PjPKT0_NS_24const_host_device_scalarIT4_EES3_S7_PKT1_PKT2_SA_PT3_21rocsparse_index_base_b,"axG",@progbits,_ZN9rocsparseL22csrmvn_adaptive_kernelIllffffEEvbT_PKS1_PjPKT0_NS_24const_host_device_scalarIT4_EES3_S7_PKT1_PKT2_SA_PT3_21rocsparse_index_base_b,comdat
	.globl	_ZN9rocsparseL22csrmvn_adaptive_kernelIllffffEEvbT_PKS1_PjPKT0_NS_24const_host_device_scalarIT4_EES3_S7_PKT1_PKT2_SA_PT3_21rocsparse_index_base_b ; -- Begin function _ZN9rocsparseL22csrmvn_adaptive_kernelIllffffEEvbT_PKS1_PjPKT0_NS_24const_host_device_scalarIT4_EES3_S7_PKT1_PKT2_SA_PT3_21rocsparse_index_base_b
	.p2align	8
	.type	_ZN9rocsparseL22csrmvn_adaptive_kernelIllffffEEvbT_PKS1_PjPKT0_NS_24const_host_device_scalarIT4_EES3_S7_PKT1_PKT2_SA_PT3_21rocsparse_index_base_b,@function
_ZN9rocsparseL22csrmvn_adaptive_kernelIllffffEEvbT_PKS1_PjPKT0_NS_24const_host_device_scalarIT4_EES3_S7_PKT1_PKT2_SA_PT3_21rocsparse_index_base_b: ; @_ZN9rocsparseL22csrmvn_adaptive_kernelIllffffEEvbT_PKS1_PjPKT0_NS_24const_host_device_scalarIT4_EES3_S7_PKT1_PKT2_SA_PT3_21rocsparse_index_base_b
; %bb.0:
	s_clause 0x2
	s_load_b64 s[38:39], s[0:1], 0x60
	s_load_b64 s[36:37], s[0:1], 0x28
	;; [unrolled: 1-line block ×3, first 2 shown]
	s_mov_b32 s40, s15
	s_waitcnt lgkmcnt(0)
	s_bitcmp1_b32 s39, 0
	s_cselect_b32 s2, -1, 0
	s_delay_alu instid0(SALU_CYCLE_1)
	s_and_b32 vcc_lo, exec_lo, s2
	s_xor_b32 s2, s2, -1
	s_cbranch_vccnz .LBB7_2
; %bb.1:
	s_load_b32 s36, s[36:37], 0x0
.LBB7_2:
	s_and_not1_b32 vcc_lo, exec_lo, s2
	s_cbranch_vccnz .LBB7_4
; %bb.3:
	s_load_b32 s24, s[24:25], 0x0
.LBB7_4:
	s_waitcnt lgkmcnt(0)
	v_cmp_neq_f32_e64 s2, s36, 0
	v_cmp_neq_f32_e64 s3, s24, 1.0
	s_delay_alu instid0(VALU_DEP_1) | instskip(NEXT) | instid1(SALU_CYCLE_1)
	s_or_b32 s2, s2, s3
	s_and_not1_b32 vcc_lo, exec_lo, s2
	s_cbranch_vccnz .LBB7_116
; %bb.5:
	s_clause 0x2
	s_load_b64 s[2:3], s[0:1], 0x10
	s_load_b64 s[6:7], s[0:1], 0x20
	;; [unrolled: 1-line block ×3, first 2 shown]
	s_ashr_i32 s41, s40, 31
	s_delay_alu instid0(SALU_CYCLE_1)
	s_lshl_b64 s[4:5], s[40:41], 3
	s_waitcnt lgkmcnt(0)
	s_add_u32 s2, s2, s4
	s_addc_u32 s3, s3, s5
	s_load_b128 s[20:23], s[2:3], 0x0
	s_load_b256 s[12:19], s[0:1], 0x30
	s_waitcnt lgkmcnt(0)
	s_sub_u32 s2, s22, s20
	s_subb_u32 s3, s23, s21
	s_add_u32 s4, s6, s4
	s_addc_u32 s5, s7, s5
	s_lshl_b64 s[6:7], s[20:21], 3
	s_delay_alu instid0(SALU_CYCLE_1) | instskip(SKIP_4) | instid1(VALU_DEP_1)
	s_add_u32 s34, s12, s6
	s_addc_u32 s35, s13, s7
	s_load_b64 s[28:29], s[4:5], 0x0
	s_load_b64 s[30:31], s[34:35], 0x0
	v_cmp_lt_i64_e64 s4, s[2:3], 2
	s_and_b32 vcc_lo, exec_lo, s4
	s_mov_b32 s4, -1
	s_cbranch_vccz .LBB7_72
; %bb.6:
	s_cmp_lg_u64 s[2:3], 1
	s_cselect_b32 s2, -1, 0
	s_waitcnt lgkmcnt(0)
	s_cmp_lg_u64 s[28:29], 0
	s_cselect_b32 s3, -1, 0
	s_delay_alu instid0(SALU_CYCLE_1) | instskip(NEXT) | instid1(SALU_CYCLE_1)
	s_or_b32 s2, s2, s3
	s_and_b32 vcc_lo, exec_lo, s2
	s_mov_b32 s2, -1
	s_cbranch_vccnz .LBB7_35
; %bb.7:
	v_cmp_le_i64_e64 s2, s[22:23], s[20:21]
	s_delay_alu instid0(VALU_DEP_1)
	s_and_b32 vcc_lo, exec_lo, s2
	s_cbranch_vccnz .LBB7_34
; %bb.8:
	v_sub_co_u32 v7, s2, v0, s38
	s_delay_alu instid0(VALU_DEP_1)
	v_sub_co_ci_u32_e64 v8, null, 0, 0, s2
	v_dual_mov_b32 v10, 0 :: v_dual_lshlrev_b32 v9, 2, v0
	v_cmp_gt_u32_e64 s2, 0x80, v0
	v_cmp_gt_u32_e64 s3, 64, v0
	;; [unrolled: 1-line block ×7, first 2 shown]
	v_cmp_eq_u32_e64 s9, 0, v0
	v_cmp_neq_f32_e64 s25, s24, 0
	s_add_u32 s11, s12, 8
	s_addc_u32 s33, s13, 0
	s_mov_b64 s[44:45], s[30:31]
	s_mov_b64 s[42:43], s[20:21]
	s_branch .LBB7_11
.LBB7_9:                                ;   in Loop: Header=BB7_11 Depth=1
	s_lshl_b64 s[46:47], s[42:43], 2
	s_delay_alu instid0(SALU_CYCLE_1)
	s_add_u32 s46, s26, s46
	s_addc_u32 s47, s27, s47
	s_waitcnt lgkmcnt(0)
	global_store_b32 v10, v1, s[46:47]
.LBB7_10:                               ;   in Loop: Header=BB7_11 Depth=1
	s_or_b32 exec_lo, exec_lo, s10
	s_add_u32 s42, s42, 1
	s_addc_u32 s43, s43, 0
	s_delay_alu instid0(SALU_CYCLE_1) | instskip(NEXT) | instid1(VALU_DEP_1)
	v_cmp_ge_i64_e64 s10, s[42:43], s[22:23]
	s_and_b32 vcc_lo, exec_lo, s10
	s_cbranch_vccnz .LBB7_34
.LBB7_11:                               ; =>This Loop Header: Depth=1
                                        ;     Child Loop BB7_13 Depth 2
	s_lshl_b64 s[46:47], s[42:43], 3
	s_mov_b64 s[48:49], s[44:45]
	s_add_u32 s46, s11, s46
	s_addc_u32 s47, s33, s47
	v_add_co_u32 v1, vcc_lo, s48, v7
	s_load_b64 s[44:45], s[46:47], 0x0
	v_add_co_ci_u32_e32 v2, vcc_lo, s49, v8, vcc_lo
	v_mov_b32_e32 v11, 0
	s_mov_b32 s37, exec_lo
	s_waitcnt lgkmcnt(0)
	s_sub_u32 s46, s44, s38
	s_subb_u32 s47, s45, 0
	s_delay_alu instid0(SALU_CYCLE_1)
	v_cmpx_gt_i64_e64 s[46:47], v[1:2]
	s_cbranch_execz .LBB7_15
; %bb.12:                               ;   in Loop: Header=BB7_11 Depth=1
	v_lshlrev_b64 v[3:4], 2, v[1:2]
	v_lshlrev_b64 v[5:6], 3, v[1:2]
	v_mov_b32_e32 v11, 0
	s_mov_b32 s39, 0
	s_delay_alu instid0(VALU_DEP_3) | instskip(NEXT) | instid1(VALU_DEP_4)
	v_add_co_u32 v3, vcc_lo, s16, v3
	v_add_co_ci_u32_e32 v4, vcc_lo, s17, v4, vcc_lo
	s_delay_alu instid0(VALU_DEP_4)
	v_add_co_u32 v5, vcc_lo, s14, v5
	v_add_co_ci_u32_e32 v6, vcc_lo, s15, v6, vcc_lo
	s_set_inst_prefetch_distance 0x1
	.p2align	6
.LBB7_13:                               ;   Parent Loop BB7_11 Depth=1
                                        ; =>  This Inner Loop Header: Depth=2
	global_load_b64 v[12:13], v[5:6], off
	global_load_b32 v14, v[3:4], off
	v_add_co_u32 v5, s10, 0x800, v5
	s_delay_alu instid0(VALU_DEP_1) | instskip(SKIP_3) | instid1(VALU_DEP_1)
	v_add_co_ci_u32_e64 v6, s10, 0, v6, s10
	s_waitcnt vmcnt(1)
	v_sub_co_u32 v12, vcc_lo, v12, s38
	v_subrev_co_ci_u32_e32 v13, vcc_lo, 0, v13, vcc_lo
	v_lshlrev_b64 v[12:13], 2, v[12:13]
	s_delay_alu instid0(VALU_DEP_1) | instskip(NEXT) | instid1(VALU_DEP_2)
	v_add_co_u32 v12, vcc_lo, s18, v12
	v_add_co_ci_u32_e32 v13, vcc_lo, s19, v13, vcc_lo
	v_add_co_u32 v1, vcc_lo, 0x100, v1
	v_add_co_ci_u32_e32 v2, vcc_lo, 0, v2, vcc_lo
	global_load_b32 v12, v[12:13], off
	v_add_co_u32 v3, vcc_lo, 0x400, v3
	s_waitcnt vmcnt(1)
	v_mul_f32_e32 v13, s36, v14
	v_add_co_ci_u32_e32 v4, vcc_lo, 0, v4, vcc_lo
	v_cmp_le_i64_e32 vcc_lo, s[46:47], v[1:2]
	s_or_b32 s39, vcc_lo, s39
	s_waitcnt vmcnt(0)
	v_fmac_f32_e32 v11, v13, v12
	s_and_not1_b32 exec_lo, exec_lo, s39
	s_cbranch_execnz .LBB7_13
; %bb.14:                               ;   in Loop: Header=BB7_11 Depth=1
	s_set_inst_prefetch_distance 0x2
	s_or_b32 exec_lo, exec_lo, s39
.LBB7_15:                               ;   in Loop: Header=BB7_11 Depth=1
	s_delay_alu instid0(SALU_CYCLE_1)
	s_or_b32 exec_lo, exec_lo, s37
	ds_store_b32 v9, v11
	s_waitcnt lgkmcnt(0)
	s_waitcnt_vscnt null, 0x0
	s_barrier
	buffer_gl0_inv
	s_and_saveexec_b32 s10, s2
	s_cbranch_execz .LBB7_17
; %bb.16:                               ;   in Loop: Header=BB7_11 Depth=1
	ds_load_2addr_stride64_b32 v[1:2], v9 offset1:2
	s_waitcnt lgkmcnt(0)
	v_add_f32_e32 v1, v1, v2
	ds_store_b32 v9, v1
.LBB7_17:                               ;   in Loop: Header=BB7_11 Depth=1
	s_or_b32 exec_lo, exec_lo, s10
	s_waitcnt lgkmcnt(0)
	s_barrier
	buffer_gl0_inv
	s_and_saveexec_b32 s10, s3
	s_cbranch_execz .LBB7_19
; %bb.18:                               ;   in Loop: Header=BB7_11 Depth=1
	ds_load_2addr_stride64_b32 v[1:2], v9 offset1:1
	s_waitcnt lgkmcnt(0)
	v_add_f32_e32 v1, v1, v2
	ds_store_b32 v9, v1
.LBB7_19:                               ;   in Loop: Header=BB7_11 Depth=1
	s_or_b32 exec_lo, exec_lo, s10
	s_waitcnt lgkmcnt(0)
	s_barrier
	buffer_gl0_inv
	s_and_saveexec_b32 s10, s4
	s_cbranch_execz .LBB7_21
; %bb.20:                               ;   in Loop: Header=BB7_11 Depth=1
	ds_load_2addr_b32 v[1:2], v9 offset1:32
	s_waitcnt lgkmcnt(0)
	v_add_f32_e32 v1, v1, v2
	ds_store_b32 v9, v1
.LBB7_21:                               ;   in Loop: Header=BB7_11 Depth=1
	s_or_b32 exec_lo, exec_lo, s10
	s_waitcnt lgkmcnt(0)
	s_barrier
	buffer_gl0_inv
	s_and_saveexec_b32 s10, s5
	s_cbranch_execz .LBB7_23
; %bb.22:                               ;   in Loop: Header=BB7_11 Depth=1
	ds_load_2addr_b32 v[1:2], v9 offset1:16
	s_waitcnt lgkmcnt(0)
	v_add_f32_e32 v1, v1, v2
	ds_store_b32 v9, v1
.LBB7_23:                               ;   in Loop: Header=BB7_11 Depth=1
	;; [unrolled: 12-line block ×5, first 2 shown]
	s_or_b32 exec_lo, exec_lo, s10
	s_waitcnt lgkmcnt(0)
	s_barrier
	buffer_gl0_inv
	s_and_saveexec_b32 s10, s9
	s_cbranch_execz .LBB7_31
; %bb.30:                               ;   in Loop: Header=BB7_11 Depth=1
	ds_load_b64 v[1:2], v10
	s_waitcnt lgkmcnt(0)
	v_add_f32_e32 v1, v1, v2
	ds_store_b32 v10, v1
.LBB7_31:                               ;   in Loop: Header=BB7_11 Depth=1
	s_or_b32 exec_lo, exec_lo, s10
	s_waitcnt lgkmcnt(0)
	s_barrier
	buffer_gl0_inv
	s_and_saveexec_b32 s10, s9
	s_cbranch_execz .LBB7_10
; %bb.32:                               ;   in Loop: Header=BB7_11 Depth=1
	ds_load_b32 v1, v10
	s_and_not1_b32 vcc_lo, exec_lo, s25
	s_cbranch_vccnz .LBB7_9
; %bb.33:                               ;   in Loop: Header=BB7_11 Depth=1
	s_lshl_b64 s[46:47], s[42:43], 2
	s_delay_alu instid0(SALU_CYCLE_1)
	s_add_u32 s46, s26, s46
	s_addc_u32 s47, s27, s47
	global_load_b32 v2, v10, s[46:47]
	s_waitcnt vmcnt(0) lgkmcnt(0)
	v_fmac_f32_e32 v1, s24, v2
	s_branch .LBB7_9
.LBB7_34:
	s_mov_b32 s2, 0
.LBB7_35:
	s_delay_alu instid0(SALU_CYCLE_1)
	s_and_not1_b32 vcc_lo, exec_lo, s2
	s_cbranch_vccnz .LBB7_71
; %bb.36:
	s_load_b64 s[6:7], s[0:1], 0x18
	s_sub_u32 s8, s40, s28
	s_subb_u32 s9, s41, s29
	s_lshl_b64 s[2:3], s[40:41], 2
	v_cmp_eq_u32_e32 vcc_lo, 0, v0
	v_mov_b32_e32 v7, 0
	s_waitcnt lgkmcnt(0)
	s_add_u32 s4, s6, s2
	s_addc_u32 s5, s7, s3
	s_cmp_eq_u64 s[28:29], 0
	s_load_b32 s25, s[4:5], 0x0
	s_cselect_b32 s2, -1, 0
	s_cmp_lg_u64 s[28:29], 0
	s_cselect_b32 s33, -1, 0
	s_and_b32 s2, vcc_lo, s2
	s_delay_alu instid0(SALU_CYCLE_1)
	s_and_saveexec_b32 s3, s2
	s_cbranch_execz .LBB7_40
; %bb.37:
	s_lshl_b64 s[40:41], s[20:21], 2
	s_mov_b32 s11, exec_lo
	s_add_u32 s40, s26, s40
	s_addc_u32 s41, s27, s41
	v_mbcnt_lo_u32_b32 v2, s11, 0
	s_load_b32 s10, s[40:41], 0x0
	v_add_f32_e64 v1, s24, -1.0
	s_mov_b32 s37, exec_lo
	s_waitcnt vmcnt(0) expcnt(0) lgkmcnt(0)
	s_waitcnt_vscnt null, 0x0
	v_cmpx_eq_u32_e32 0, v2
	s_cbranch_execz .LBB7_39
; %bb.38:
	s_lshl_b64 s[40:41], s[8:9], 2
	s_delay_alu instid0(SALU_CYCLE_1) | instskip(SKIP_2) | instid1(SALU_CYCLE_1)
	s_add_u32 s40, s6, s40
	s_addc_u32 s41, s7, s41
	s_bcnt1_i32_b32 s2, s11
	s_and_b32 s2, s2, 1
	s_delay_alu instid0(SALU_CYCLE_1)
	v_dual_mov_b32 v2, 0 :: v_dual_mov_b32 v3, s2
	global_atomic_xor_b32 v2, v3, s[40:41]
.LBB7_39:
	s_or_b32 exec_lo, exec_lo, s37
	v_mul_f32_e32 v7, s10, v1
.LBB7_40:
	s_or_b32 exec_lo, exec_lo, s3
	s_load_b64 s[10:11], s[34:35], 0x8
	s_mul_i32 s2, s29, 0xc00
	s_mul_hi_u32 s3, s28, 0xc00
	s_delay_alu instid0(SALU_CYCLE_1)
	s_add_i32 s3, s3, s2
	s_mul_i32 s2, s28, 0xc00
	s_sub_u32 s37, s30, s38
	s_subb_u32 s40, s31, 0
	s_add_u32 s39, s37, s2
	s_addc_u32 s3, s40, s3
	v_add_co_u32 v1, s2, s39, v0
	s_delay_alu instid0(VALU_DEP_1) | instskip(SKIP_4) | instid1(SALU_CYCLE_1)
	v_add_co_ci_u32_e64 v2, null, s3, 0, s2
	s_mov_b32 s37, exec_lo
	s_waitcnt lgkmcnt(0)
	s_sub_u32 s10, s10, s38
	s_subb_u32 s11, s11, 0
	v_cmpx_gt_i64_e64 s[10:11], v[1:2]
	s_cbranch_execz .LBB7_44
; %bb.41:
	s_add_u32 s40, s39, 0xc00
	v_lshlrev_b64 v[3:4], 2, v[1:2]
	s_addc_u32 s41, s3, 0
	v_lshlrev_b64 v[5:6], 3, v[1:2]
	v_cmp_lt_i64_e64 s3, s[40:41], s[10:11]
	s_mov_b32 s39, 0
	s_delay_alu instid0(VALU_DEP_3) | instskip(NEXT) | instid1(VALU_DEP_1)
	v_add_co_u32 v3, s2, s16, v3
	v_add_co_ci_u32_e64 v4, s2, s17, v4, s2
	s_delay_alu instid0(VALU_DEP_3) | instskip(SKIP_1) | instid1(VALU_DEP_1)
	s_and_b32 s2, s3, exec_lo
	v_add_co_u32 v5, s2, s14, v5
	v_add_co_ci_u32_e64 v6, s2, s15, v6, s2
	s_cselect_b32 s11, s41, s11
	s_cselect_b32 s10, s40, s10
	s_set_inst_prefetch_distance 0x1
	.p2align	6
.LBB7_42:                               ; =>This Inner Loop Header: Depth=1
	global_load_b64 v[8:9], v[5:6], off
	global_load_b32 v10, v[3:4], off
	v_add_co_u32 v5, s3, 0x800, v5
	s_delay_alu instid0(VALU_DEP_1) | instskip(SKIP_2) | instid1(VALU_DEP_1)
	v_add_co_ci_u32_e64 v6, s3, 0, v6, s3
	s_waitcnt vmcnt(1)
	v_sub_co_u32 v8, s2, v8, s38
	v_subrev_co_ci_u32_e64 v9, s2, 0, v9, s2
	s_delay_alu instid0(VALU_DEP_1) | instskip(NEXT) | instid1(VALU_DEP_1)
	v_lshlrev_b64 v[8:9], 2, v[8:9]
	v_add_co_u32 v8, s2, s18, v8
	s_delay_alu instid0(VALU_DEP_1) | instskip(SKIP_1) | instid1(VALU_DEP_1)
	v_add_co_ci_u32_e64 v9, s2, s19, v9, s2
	v_add_co_u32 v1, s2, 0x100, v1
	v_add_co_ci_u32_e64 v2, s2, 0, v2, s2
	global_load_b32 v8, v[8:9], off
	v_add_co_u32 v3, s2, 0x400, v3
	s_waitcnt vmcnt(1)
	v_mul_f32_e32 v9, s36, v10
	v_add_co_ci_u32_e64 v4, s2, 0, v4, s2
	v_cmp_le_i64_e64 s2, s[10:11], v[1:2]
	s_delay_alu instid0(VALU_DEP_1)
	s_or_b32 s39, s2, s39
	s_waitcnt vmcnt(0)
	v_fmac_f32_e32 v7, v9, v8
	s_and_not1_b32 exec_lo, exec_lo, s39
	s_cbranch_execnz .LBB7_42
; %bb.43:
	s_set_inst_prefetch_distance 0x2
	s_or_b32 exec_lo, exec_lo, s39
.LBB7_44:
	s_delay_alu instid0(SALU_CYCLE_1)
	s_or_b32 exec_lo, exec_lo, s37
	v_lshlrev_b32_e32 v1, 2, v0
	s_mov_b32 s3, exec_lo
	ds_store_b32 v1, v7
	s_waitcnt lgkmcnt(0)
	s_waitcnt_vscnt null, 0x0
	s_barrier
	buffer_gl0_inv
	v_cmpx_gt_u32_e32 0x80, v0
	s_cbranch_execz .LBB7_46
; %bb.45:
	ds_load_2addr_stride64_b32 v[2:3], v1 offset1:2
	s_waitcnt lgkmcnt(0)
	v_add_f32_e32 v2, v2, v3
	ds_store_b32 v1, v2
.LBB7_46:
	s_or_b32 exec_lo, exec_lo, s3
	s_delay_alu instid0(SALU_CYCLE_1)
	s_mov_b32 s3, exec_lo
	s_waitcnt lgkmcnt(0)
	s_barrier
	buffer_gl0_inv
	v_cmpx_gt_u32_e32 64, v0
	s_cbranch_execz .LBB7_48
; %bb.47:
	ds_load_2addr_stride64_b32 v[2:3], v1 offset1:1
	s_waitcnt lgkmcnt(0)
	v_add_f32_e32 v2, v2, v3
	ds_store_b32 v1, v2
.LBB7_48:
	s_or_b32 exec_lo, exec_lo, s3
	s_delay_alu instid0(SALU_CYCLE_1)
	s_mov_b32 s3, exec_lo
	s_waitcnt lgkmcnt(0)
	s_barrier
	buffer_gl0_inv
	v_cmpx_gt_u32_e32 32, v0
	s_cbranch_execz .LBB7_50
; %bb.49:
	ds_load_2addr_b32 v[2:3], v1 offset1:32
	s_waitcnt lgkmcnt(0)
	v_add_f32_e32 v2, v2, v3
	ds_store_b32 v1, v2
.LBB7_50:
	s_or_b32 exec_lo, exec_lo, s3
	s_delay_alu instid0(SALU_CYCLE_1)
	s_mov_b32 s3, exec_lo
	s_waitcnt lgkmcnt(0)
	s_barrier
	buffer_gl0_inv
	v_cmpx_gt_u32_e32 16, v0
	s_cbranch_execz .LBB7_52
; %bb.51:
	ds_load_2addr_b32 v[2:3], v1 offset1:16
	s_waitcnt lgkmcnt(0)
	v_add_f32_e32 v2, v2, v3
	ds_store_b32 v1, v2
.LBB7_52:
	;; [unrolled: 14-line block ×5, first 2 shown]
	s_or_b32 exec_lo, exec_lo, s3
	s_waitcnt lgkmcnt(0)
	s_barrier
	buffer_gl0_inv
	s_and_saveexec_b32 s2, vcc_lo
	s_cbranch_execz .LBB7_60
; %bb.59:
	v_mov_b32_e32 v3, 0
	ds_load_b64 v[1:2], v3
	s_waitcnt lgkmcnt(0)
	v_add_f32_e32 v1, v1, v2
	ds_store_b32 v3, v1
.LBB7_60:
	s_or_b32 exec_lo, exec_lo, s2
	s_waitcnt lgkmcnt(0)
	s_barrier
	buffer_gl0_inv
	s_and_saveexec_b32 s10, vcc_lo
	s_cbranch_execz .LBB7_70
; %bb.61:
	s_and_not1_b32 vcc_lo, exec_lo, s33
	s_cbranch_vccnz .LBB7_67
; %bb.62:
	s_lshl_b64 s[2:3], s[8:9], 2
	v_mov_b32_e32 v1, 0
	s_add_u32 s2, s6, s2
	s_addc_u32 s3, s7, s3
	s_branch .LBB7_64
.LBB7_63:                               ;   in Loop: Header=BB7_64 Depth=1
	s_or_b32 exec_lo, exec_lo, s6
	s_waitcnt vmcnt(0)
	v_readfirstlane_b32 s6, v2
	s_delay_alu instid0(VALU_DEP_1)
	s_cmp_eq_u32 s6, s25
	s_cbranch_scc0 .LBB7_66
.LBB7_64:                               ; =>This Inner Loop Header: Depth=1
	v_mbcnt_lo_u32_b32 v2, exec_lo, 0
	s_delay_alu instid0(VALU_DEP_1)
	v_cmp_eq_u32_e32 vcc_lo, 0, v2
                                        ; implicit-def: $vgpr2
	s_and_saveexec_b32 s6, vcc_lo
	s_cbranch_execz .LBB7_63
; %bb.65:                               ;   in Loop: Header=BB7_64 Depth=1
	global_load_b32 v2, v1, s[2:3] glc
	s_branch .LBB7_63
.LBB7_66:
	v_mov_b32_e32 v1, 0
	global_load_b32 v2, v1, s[4:5]
	s_waitcnt vmcnt(0)
	v_xor_b32_e32 v2, 1, v2
	global_store_b32 v1, v2, s[4:5]
.LBB7_67:
	s_mov_b32 s5, exec_lo
	s_mov_b32 s4, 0
	v_mbcnt_lo_u32_b32 v1, s5, 0
	s_delay_alu instid0(VALU_DEP_1) | instskip(SKIP_1) | instid1(SALU_CYCLE_1)
	v_cmp_eq_u32_e32 vcc_lo, 0, v1
	s_and_b32 s2, exec_lo, vcc_lo
	s_mov_b32 exec_lo, s2
	s_cbranch_execz .LBB7_70
; %bb.68:
	s_lshl_b64 s[2:3], s[20:21], 2
	s_delay_alu instid0(SALU_CYCLE_1) | instskip(SKIP_2) | instid1(SALU_CYCLE_1)
	s_add_u32 s2, s26, s2
	s_addc_u32 s3, s27, s3
	s_bcnt1_i32_b32 s5, s5
	v_cvt_f32_ubyte0_e32 v4, s5
	v_mov_b32_e32 v3, 0
	global_load_b32 v2, v3, s[2:3]
	ds_load_b32 v1, v3
	s_waitcnt lgkmcnt(0)
	v_mul_f32_e32 v4, v1, v4
.LBB7_69:                               ; =>This Inner Loop Header: Depth=1
	s_waitcnt vmcnt(0)
	s_delay_alu instid0(VALU_DEP_1)
	v_add_f32_e32 v1, v2, v4
	global_atomic_cmpswap_b32 v1, v3, v[1:2], s[2:3] glc
	s_waitcnt vmcnt(0)
	v_cmp_eq_u32_e32 vcc_lo, v1, v2
	v_mov_b32_e32 v2, v1
	s_or_b32 s4, vcc_lo, s4
	s_delay_alu instid0(SALU_CYCLE_1)
	s_and_not1_b32 exec_lo, exec_lo, s4
	s_cbranch_execnz .LBB7_69
.LBB7_70:
	s_or_b32 exec_lo, exec_lo, s10
.LBB7_71:
	s_mov_b32 s4, 0
.LBB7_72:
	s_delay_alu instid0(SALU_CYCLE_1)
	s_and_not1_b32 vcc_lo, exec_lo, s4
	s_cbranch_vccnz .LBB7_116
; %bb.73:
	s_load_b64 s[0:1], s[0:1], 0x8
	v_sub_co_u32 v1, s2, v0, s38
	s_delay_alu instid0(VALU_DEP_1) | instskip(SKIP_1) | instid1(VALU_DEP_2)
	v_sub_co_ci_u32_e64 v2, null, 0, 0, s2
	s_waitcnt lgkmcnt(0)
	v_add_co_u32 v1, vcc_lo, s30, v1
	s_delay_alu instid0(VALU_DEP_2) | instskip(NEXT) | instid1(VALU_DEP_2)
	v_add_co_ci_u32_e32 v2, vcc_lo, s31, v2, vcc_lo
	v_add_co_u32 v3, vcc_lo, 0x300, v1
	s_delay_alu instid0(VALU_DEP_2) | instskip(NEXT) | instid1(VALU_DEP_1)
	v_add_co_ci_u32_e32 v4, vcc_lo, 0, v2, vcc_lo
	v_cmp_le_i64_e32 vcc_lo, s[0:1], v[3:4]
	s_and_saveexec_b32 s0, vcc_lo
	s_delay_alu instid0(SALU_CYCLE_1)
	s_xor_b32 s1, exec_lo, s0
	s_cbranch_execz .LBB7_78
; %bb.74:
	s_lshl_b64 s[2:3], s[22:23], 3
	s_mov_b32 s4, exec_lo
	s_add_u32 s2, s12, s2
	s_addc_u32 s3, s13, s3
	s_load_b64 s[2:3], s[2:3], 0x0
	s_waitcnt lgkmcnt(0)
	s_sub_u32 s2, s2, s38
	s_subb_u32 s3, s3, 0
	s_delay_alu instid0(SALU_CYCLE_1)
	v_cmpx_gt_i64_e64 s[2:3], v[1:2]
	s_cbranch_execz .LBB7_77
; %bb.75:
	v_lshlrev_b64 v[3:4], 2, v[1:2]
	v_lshlrev_b64 v[5:6], 3, v[1:2]
	v_lshlrev_b32_e32 v7, 2, v0
	s_mov_b32 s5, 0
	s_delay_alu instid0(VALU_DEP_3) | instskip(NEXT) | instid1(VALU_DEP_4)
	v_add_co_u32 v3, vcc_lo, s16, v3
	v_add_co_ci_u32_e32 v4, vcc_lo, s17, v4, vcc_lo
	s_delay_alu instid0(VALU_DEP_4)
	v_add_co_u32 v5, vcc_lo, s14, v5
	v_add_co_ci_u32_e32 v6, vcc_lo, s15, v6, vcc_lo
	s_set_inst_prefetch_distance 0x1
	.p2align	6
.LBB7_76:                               ; =>This Inner Loop Header: Depth=1
	global_load_b64 v[8:9], v[5:6], off
	global_load_b32 v10, v[3:4], off
	s_waitcnt vmcnt(1)
	v_sub_co_u32 v8, vcc_lo, v8, s38
	v_subrev_co_ci_u32_e32 v9, vcc_lo, 0, v9, vcc_lo
	s_delay_alu instid0(VALU_DEP_1) | instskip(NEXT) | instid1(VALU_DEP_1)
	v_lshlrev_b64 v[8:9], 2, v[8:9]
	v_add_co_u32 v8, vcc_lo, s18, v8
	s_delay_alu instid0(VALU_DEP_2)
	v_add_co_ci_u32_e32 v9, vcc_lo, s19, v9, vcc_lo
	v_add_co_u32 v1, vcc_lo, 0x100, v1
	v_add_co_ci_u32_e32 v2, vcc_lo, 0, v2, vcc_lo
	global_load_b32 v8, v[8:9], off
	s_waitcnt vmcnt(1)
	v_mul_f32_e32 v9, s36, v10
	v_add_co_u32 v3, vcc_lo, 0x400, v3
	v_add_co_ci_u32_e32 v4, vcc_lo, 0, v4, vcc_lo
	v_cmp_le_i64_e64 s0, s[2:3], v[1:2]
	v_add_co_u32 v5, vcc_lo, 0x800, v5
	v_add_co_ci_u32_e32 v6, vcc_lo, 0, v6, vcc_lo
	s_delay_alu instid0(VALU_DEP_3)
	s_or_b32 s5, s0, s5
	s_waitcnt vmcnt(0)
	v_mul_f32_e32 v8, v9, v8
	ds_store_b32 v7, v8
	v_add_nc_u32_e32 v7, 0x400, v7
	s_and_not1_b32 exec_lo, exec_lo, s5
	s_cbranch_execnz .LBB7_76
.LBB7_77:
	s_set_inst_prefetch_distance 0x2
	s_or_b32 exec_lo, exec_lo, s4
                                        ; implicit-def: $vgpr1_vgpr2
.LBB7_78:
	s_or_saveexec_b32 s0, s1
	v_lshlrev_b32_e32 v9, 2, v0
	s_xor_b32 exec_lo, exec_lo, s0
	s_cbranch_execz .LBB7_80
; %bb.79:
	v_lshlrev_b64 v[3:4], 3, v[1:2]
	v_lshlrev_b64 v[1:2], 2, v[1:2]
	s_delay_alu instid0(VALU_DEP_2) | instskip(NEXT) | instid1(VALU_DEP_3)
	v_add_co_u32 v3, vcc_lo, s14, v3
	v_add_co_ci_u32_e32 v4, vcc_lo, s15, v4, vcc_lo
	s_delay_alu instid0(VALU_DEP_2)
	v_add_co_u32 v7, vcc_lo, 0x1000, v3
	global_load_b64 v[5:6], v[3:4], off
	v_add_co_ci_u32_e32 v8, vcc_lo, 0, v4, vcc_lo
	v_add_co_u32 v1, vcc_lo, s16, v1
	s_clause 0x2
	global_load_b64 v[3:4], v[3:4], off offset:2048
	global_load_b64 v[10:11], v[7:8], off
	global_load_b64 v[7:8], v[7:8], off offset:2048
	v_add_co_ci_u32_e32 v2, vcc_lo, s17, v2, vcc_lo
	s_clause 0x3
	global_load_b32 v12, v[1:2], off
	global_load_b32 v13, v[1:2], off offset:1024
	global_load_b32 v14, v[1:2], off offset:2048
	;; [unrolled: 1-line block ×3, first 2 shown]
	s_waitcnt vmcnt(7)
	v_sub_co_u32 v5, vcc_lo, v5, s38
	v_subrev_co_ci_u32_e32 v6, vcc_lo, 0, v6, vcc_lo
	s_waitcnt vmcnt(6)
	v_sub_co_u32 v3, vcc_lo, v3, s38
	v_subrev_co_ci_u32_e32 v4, vcc_lo, 0, v4, vcc_lo
	s_waitcnt vmcnt(5)
	v_sub_co_u32 v10, vcc_lo, v10, s38
	v_lshlrev_b64 v[5:6], 2, v[5:6]
	v_subrev_co_ci_u32_e32 v11, vcc_lo, 0, v11, vcc_lo
	s_waitcnt vmcnt(4)
	v_sub_co_u32 v7, vcc_lo, v7, s38
	v_lshlrev_b64 v[1:2], 2, v[3:4]
	v_subrev_co_ci_u32_e32 v8, vcc_lo, 0, v8, vcc_lo
	v_lshlrev_b64 v[3:4], 2, v[10:11]
	v_add_co_u32 v5, vcc_lo, s18, v5
	v_add_co_ci_u32_e32 v6, vcc_lo, s19, v6, vcc_lo
	s_delay_alu instid0(VALU_DEP_4)
	v_lshlrev_b64 v[7:8], 2, v[7:8]
	v_add_co_u32 v1, vcc_lo, s18, v1
	v_add_co_ci_u32_e32 v2, vcc_lo, s19, v2, vcc_lo
	v_add_co_u32 v3, vcc_lo, s18, v3
	v_add_co_ci_u32_e32 v4, vcc_lo, s19, v4, vcc_lo
	;; [unrolled: 2-line block ×3, first 2 shown]
	s_clause 0x3
	global_load_b32 v5, v[5:6], off
	global_load_b32 v1, v[1:2], off
	;; [unrolled: 1-line block ×4, first 2 shown]
	s_waitcnt vmcnt(5)
	v_dual_mul_f32 v4, s36, v12 :: v_dual_mul_f32 v7, s36, v14
	s_waitcnt vmcnt(4)
	v_mul_f32_e32 v8, s36, v15
	v_mul_f32_e32 v6, s36, v13
	s_waitcnt vmcnt(3)
	v_mul_f32_e32 v4, v4, v5
	s_waitcnt vmcnt(0)
	v_dual_mul_f32 v2, v7, v2 :: v_dual_mul_f32 v3, v8, v3
	v_mul_f32_e32 v1, v6, v1
	ds_store_2addr_stride64_b32 v9, v4, v1 offset1:4
	ds_store_2addr_stride64_b32 v9, v2, v3 offset0:8 offset1:12
.LBB7_80:
	s_or_b32 exec_lo, exec_lo, s0
	v_cmp_lt_i64_e64 s0, s[28:29], 2
	s_waitcnt lgkmcnt(0)
	s_waitcnt_vscnt null, 0x0
	s_barrier
	buffer_gl0_inv
	s_and_b32 vcc_lo, exec_lo, s0
	s_mov_b32 s0, -1
	s_cbranch_vccz .LBB7_91
; %bb.81:
	v_add_co_u32 v5, s0, s20, v0
	s_delay_alu instid0(VALU_DEP_1) | instskip(SKIP_1) | instid1(VALU_DEP_1)
	v_add_co_ci_u32_e64 v6, null, s21, 0, s0
	s_mov_b32 s1, exec_lo
	v_cmpx_gt_i64_e64 s[22:23], v[5:6]
	s_cbranch_execz .LBB7_90
; %bb.82:
	v_cmp_neq_f32_e64 s2, s24, 0
	s_lshl_b32 s0, s30, 2
	s_mov_b32 s3, 0
	s_sub_i32 s4, 0, s0
	s_branch .LBB7_84
.LBB7_83:                               ;   in Loop: Header=BB7_84 Depth=1
	v_add_co_u32 v5, vcc_lo, 0x100, v5
	v_add_co_ci_u32_e32 v6, vcc_lo, 0, v6, vcc_lo
	s_delay_alu instid0(VALU_DEP_3) | instskip(NEXT) | instid1(VALU_DEP_1)
	v_add_co_u32 v1, s0, s26, v1
	v_add_co_ci_u32_e64 v2, s0, s27, v2, s0
	s_delay_alu instid0(VALU_DEP_3) | instskip(SKIP_2) | instid1(SALU_CYCLE_1)
	v_cmp_le_i64_e32 vcc_lo, s[22:23], v[5:6]
	global_store_b32 v[1:2], v10, off
	s_or_b32 s3, vcc_lo, s3
	s_and_not1_b32 exec_lo, exec_lo, s3
	s_cbranch_execz .LBB7_90
.LBB7_84:                               ; =>This Loop Header: Depth=1
                                        ;     Child Loop BB7_86 Depth 2
	v_lshlrev_b64 v[1:2], 3, v[5:6]
	v_mov_b32_e32 v10, 0
	s_mov_b32 s0, exec_lo
	s_delay_alu instid0(VALU_DEP_2) | instskip(NEXT) | instid1(VALU_DEP_3)
	v_add_co_u32 v1, vcc_lo, s12, v1
	v_add_co_ci_u32_e32 v2, vcc_lo, s13, v2, vcc_lo
	global_load_b128 v[1:4], v[1:2], off
	s_waitcnt vmcnt(0)
	v_cmpx_lt_i64_e64 v[1:2], v[3:4]
	s_cbranch_execz .LBB7_88
; %bb.85:                               ;   in Loop: Header=BB7_84 Depth=1
	v_sub_co_u32 v3, vcc_lo, v3, s30
	v_subrev_co_ci_u32_e32 v4, vcc_lo, s31, v4, vcc_lo
	v_sub_co_u32 v7, vcc_lo, v1, s30
	v_subrev_co_ci_u32_e32 v8, vcc_lo, s31, v2, vcc_lo
	v_lshl_add_u32 v1, v1, 2, s4
	v_mov_b32_e32 v10, 0
	s_mov_b32 s5, 0
.LBB7_86:                               ;   Parent Loop BB7_84 Depth=1
                                        ; =>  This Inner Loop Header: Depth=2
	ds_load_b32 v2, v1
	v_add_co_u32 v7, vcc_lo, v7, 1
	v_add_co_ci_u32_e32 v8, vcc_lo, 0, v8, vcc_lo
	v_add_nc_u32_e32 v1, 4, v1
	s_delay_alu instid0(VALU_DEP_2)
	v_cmp_ge_i64_e32 vcc_lo, v[7:8], v[3:4]
	s_or_b32 s5, vcc_lo, s5
	s_waitcnt lgkmcnt(0)
	v_add_f32_e32 v10, v10, v2
	s_and_not1_b32 exec_lo, exec_lo, s5
	s_cbranch_execnz .LBB7_86
; %bb.87:                               ;   in Loop: Header=BB7_84 Depth=1
	s_or_b32 exec_lo, exec_lo, s5
.LBB7_88:                               ;   in Loop: Header=BB7_84 Depth=1
	s_delay_alu instid0(SALU_CYCLE_1)
	s_or_b32 exec_lo, exec_lo, s0
	v_lshlrev_b64 v[1:2], 2, v[5:6]
	s_and_b32 vcc_lo, exec_lo, s2
	s_cbranch_vccz .LBB7_83
; %bb.89:                               ;   in Loop: Header=BB7_84 Depth=1
	s_delay_alu instid0(VALU_DEP_1) | instskip(NEXT) | instid1(VALU_DEP_2)
	v_add_co_u32 v3, vcc_lo, s26, v1
	v_add_co_ci_u32_e32 v4, vcc_lo, s27, v2, vcc_lo
	global_load_b32 v3, v[3:4], off
	s_waitcnt vmcnt(0)
	v_fmac_f32_e32 v10, s24, v3
	s_branch .LBB7_83
.LBB7_90:
	s_or_b32 exec_lo, exec_lo, s1
	s_mov_b32 s0, 0
.LBB7_91:
	s_delay_alu instid0(SALU_CYCLE_1)
	s_and_not1_b32 vcc_lo, exec_lo, s0
	s_cbranch_vccnz .LBB7_116
; %bb.92:
	s_clz_i32_u32 s0, s28
	s_add_i32 s1, s28, -1
	s_min_u32 s0, s0, 32
	v_dual_mov_b32 v10, 0 :: v_dual_and_b32 v3, s1, v0
	s_sub_i32 s0, 31, s0
	s_mov_b32 s1, exec_lo
	v_lshrrev_b32_e32 v5, s0, v0
	s_delay_alu instid0(VALU_DEP_1) | instskip(NEXT) | instid1(VALU_DEP_1)
	v_add_co_u32 v1, s0, s20, v5
	v_add_co_ci_u32_e64 v2, null, s21, 0, s0
	v_and_b32_e64 v4, s0, 0
	s_delay_alu instid0(VALU_DEP_2)
	v_cmp_le_i64_e64 s0, s[22:23], v[1:2]
	v_cmpx_gt_i64_e64 s[22:23], v[1:2]
	s_cbranch_execz .LBB7_98
; %bb.93:
	v_lshlrev_b32_e32 v0, 3, v5
	s_mov_b32 s2, exec_lo
	global_load_b128 v[10:13], v0, s[34:35]
	v_sub_co_u32 v0, vcc_lo, v3, s30
	v_subrev_co_ci_u32_e32 v8, vcc_lo, s31, v4, vcc_lo
	s_waitcnt vmcnt(0)
	v_sub_co_u32 v5, vcc_lo, v12, s30
	v_subrev_co_ci_u32_e32 v6, vcc_lo, s31, v13, vcc_lo
	v_add_co_u32 v7, vcc_lo, v10, v0
	v_add_co_ci_u32_e32 v8, vcc_lo, v11, v8, vcc_lo
	v_mov_b32_e32 v10, 0
	s_delay_alu instid0(VALU_DEP_2)
	v_cmpx_lt_i64_e64 v[7:8], v[5:6]
	s_cbranch_execz .LBB7_97
; %bb.94:
	v_lshlrev_b32_e32 v0, 2, v7
	v_mov_b32_e32 v10, 0
	s_lshl_b32 s4, s28, 2
	s_mov_b32 s3, 0
.LBB7_95:                               ; =>This Inner Loop Header: Depth=1
	ds_load_b32 v11, v0
	v_add_co_u32 v7, vcc_lo, v7, s28
	v_add_co_ci_u32_e32 v8, vcc_lo, s29, v8, vcc_lo
	v_add_nc_u32_e32 v0, s4, v0
	s_delay_alu instid0(VALU_DEP_2)
	v_cmp_ge_i64_e32 vcc_lo, v[7:8], v[5:6]
	s_or_b32 s3, vcc_lo, s3
	s_waitcnt lgkmcnt(0)
	v_add_f32_e32 v10, v10, v11
	s_and_not1_b32 exec_lo, exec_lo, s3
	s_cbranch_execnz .LBB7_95
; %bb.96:
	s_or_b32 exec_lo, exec_lo, s3
.LBB7_97:
	s_delay_alu instid0(SALU_CYCLE_1)
	s_or_b32 exec_lo, exec_lo, s2
.LBB7_98:
	s_delay_alu instid0(SALU_CYCLE_1)
	s_or_b32 exec_lo, exec_lo, s1
	v_cmp_gt_i64_e64 s1, 0x81, s[28:29]
	s_waitcnt_vscnt null, 0x0
	s_barrier
	buffer_gl0_inv
	ds_store_b32 v9, v10
	s_waitcnt lgkmcnt(0)
	s_and_b32 vcc_lo, exec_lo, s1
	s_barrier
	buffer_gl0_inv
	s_cbranch_vccnz .LBB7_100
; %bb.99:
	ds_load_b32 v0, v9 offset:512
	s_waitcnt lgkmcnt(0)
	s_barrier
	buffer_gl0_inv
	v_add_f32_e32 v10, v10, v0
	ds_store_b32 v9, v10
.LBB7_100:
	v_cmp_gt_i64_e64 s1, 0x41, s[28:29]
	s_waitcnt lgkmcnt(0)
	s_barrier
	buffer_gl0_inv
	s_and_b32 vcc_lo, exec_lo, s1
	s_cbranch_vccnz .LBB7_102
; %bb.101:
	ds_load_b32 v0, v9 offset:256
	s_waitcnt lgkmcnt(0)
	s_barrier
	buffer_gl0_inv
	v_add_f32_e32 v10, v10, v0
	ds_store_b32 v9, v10
.LBB7_102:
	v_cmp_lt_i64_e64 s1, s[28:29], 33
	s_waitcnt lgkmcnt(0)
	s_barrier
	buffer_gl0_inv
	s_and_b32 vcc_lo, exec_lo, s1
	s_cbranch_vccnz .LBB7_104
; %bb.103:
	ds_load_b32 v0, v9 offset:128
	s_waitcnt lgkmcnt(0)
	s_barrier
	buffer_gl0_inv
	v_add_f32_e32 v10, v10, v0
	ds_store_b32 v9, v10
.LBB7_104:
	v_cmp_lt_i64_e64 s1, s[28:29], 17
	;; [unrolled: 14-line block ×4, first 2 shown]
	s_waitcnt lgkmcnt(0)
	s_barrier
	buffer_gl0_inv
	s_and_b32 vcc_lo, exec_lo, s1
	s_cbranch_vccnz .LBB7_110
; %bb.109:
	ds_load_b32 v0, v9 offset:16
	s_waitcnt lgkmcnt(0)
	s_barrier
	buffer_gl0_inv
	v_add_f32_e32 v10, v10, v0
	ds_store_b32 v9, v10
.LBB7_110:
	s_cmp_eq_u64 s[28:29], 2
	s_waitcnt lgkmcnt(0)
	s_barrier
	buffer_gl0_inv
	s_cbranch_scc1 .LBB7_112
; %bb.111:
	ds_load_b32 v0, v9 offset:8
	s_waitcnt lgkmcnt(0)
	s_barrier
	buffer_gl0_inv
	v_add_f32_e32 v10, v10, v0
	ds_store_b32 v9, v10
.LBB7_112:
	s_waitcnt lgkmcnt(0)
	s_barrier
	buffer_gl0_inv
	ds_load_b32 v0, v9 offset:4
	v_cmp_eq_u64_e32 vcc_lo, 0, v[3:4]
	s_xor_b32 s0, s0, -1
	s_waitcnt lgkmcnt(0)
	s_barrier
	buffer_gl0_inv
	s_and_b32 s0, vcc_lo, s0
	v_add_f32_e32 v3, v10, v0
	ds_store_b32 v9, v3
	s_and_saveexec_b32 s1, s0
	s_cbranch_execz .LBB7_116
; %bb.113:
	v_cmp_eq_f32_e64 s0, s24, 0
	v_lshlrev_b64 v[0:1], 2, v[1:2]
	s_delay_alu instid0(VALU_DEP_2)
	s_and_b32 vcc_lo, exec_lo, s0
	s_cbranch_vccnz .LBB7_115
; %bb.114:
	s_delay_alu instid0(VALU_DEP_1) | instskip(NEXT) | instid1(VALU_DEP_2)
	v_add_co_u32 v4, vcc_lo, s26, v0
	v_add_co_ci_u32_e32 v5, vcc_lo, s27, v1, vcc_lo
	global_load_b32 v2, v[4:5], off
	s_waitcnt vmcnt(0)
	v_fmac_f32_e32 v3, s24, v2
.LBB7_115:
	s_delay_alu instid0(VALU_DEP_1) | instskip(NEXT) | instid1(VALU_DEP_2)
	v_add_co_u32 v0, vcc_lo, s26, v0
	v_add_co_ci_u32_e32 v1, vcc_lo, s27, v1, vcc_lo
	global_store_b32 v[0:1], v3, off
.LBB7_116:
	s_nop 0
	s_sendmsg sendmsg(MSG_DEALLOC_VGPRS)
	s_endpgm
	.section	.rodata,"a",@progbits
	.p2align	6, 0x0
	.amdhsa_kernel _ZN9rocsparseL22csrmvn_adaptive_kernelIllffffEEvbT_PKS1_PjPKT0_NS_24const_host_device_scalarIT4_EES3_S7_PKT1_PKT2_SA_PT3_21rocsparse_index_base_b
		.amdhsa_group_segment_fixed_size 4096
		.amdhsa_private_segment_fixed_size 0
		.amdhsa_kernarg_size 104
		.amdhsa_user_sgpr_count 15
		.amdhsa_user_sgpr_dispatch_ptr 0
		.amdhsa_user_sgpr_queue_ptr 0
		.amdhsa_user_sgpr_kernarg_segment_ptr 1
		.amdhsa_user_sgpr_dispatch_id 0
		.amdhsa_user_sgpr_private_segment_size 0
		.amdhsa_wavefront_size32 1
		.amdhsa_uses_dynamic_stack 0
		.amdhsa_enable_private_segment 0
		.amdhsa_system_sgpr_workgroup_id_x 1
		.amdhsa_system_sgpr_workgroup_id_y 0
		.amdhsa_system_sgpr_workgroup_id_z 0
		.amdhsa_system_sgpr_workgroup_info 0
		.amdhsa_system_vgpr_workitem_id 0
		.amdhsa_next_free_vgpr 16
		.amdhsa_next_free_sgpr 50
		.amdhsa_reserve_vcc 1
		.amdhsa_float_round_mode_32 0
		.amdhsa_float_round_mode_16_64 0
		.amdhsa_float_denorm_mode_32 3
		.amdhsa_float_denorm_mode_16_64 3
		.amdhsa_dx10_clamp 1
		.amdhsa_ieee_mode 1
		.amdhsa_fp16_overflow 0
		.amdhsa_workgroup_processor_mode 1
		.amdhsa_memory_ordered 1
		.amdhsa_forward_progress 0
		.amdhsa_shared_vgpr_count 0
		.amdhsa_exception_fp_ieee_invalid_op 0
		.amdhsa_exception_fp_denorm_src 0
		.amdhsa_exception_fp_ieee_div_zero 0
		.amdhsa_exception_fp_ieee_overflow 0
		.amdhsa_exception_fp_ieee_underflow 0
		.amdhsa_exception_fp_ieee_inexact 0
		.amdhsa_exception_int_div_zero 0
	.end_amdhsa_kernel
	.section	.text._ZN9rocsparseL22csrmvn_adaptive_kernelIllffffEEvbT_PKS1_PjPKT0_NS_24const_host_device_scalarIT4_EES3_S7_PKT1_PKT2_SA_PT3_21rocsparse_index_base_b,"axG",@progbits,_ZN9rocsparseL22csrmvn_adaptive_kernelIllffffEEvbT_PKS1_PjPKT0_NS_24const_host_device_scalarIT4_EES3_S7_PKT1_PKT2_SA_PT3_21rocsparse_index_base_b,comdat
.Lfunc_end7:
	.size	_ZN9rocsparseL22csrmvn_adaptive_kernelIllffffEEvbT_PKS1_PjPKT0_NS_24const_host_device_scalarIT4_EES3_S7_PKT1_PKT2_SA_PT3_21rocsparse_index_base_b, .Lfunc_end7-_ZN9rocsparseL22csrmvn_adaptive_kernelIllffffEEvbT_PKS1_PjPKT0_NS_24const_host_device_scalarIT4_EES3_S7_PKT1_PKT2_SA_PT3_21rocsparse_index_base_b
                                        ; -- End function
	.section	.AMDGPU.csdata,"",@progbits
; Kernel info:
; codeLenInByte = 4800
; NumSgprs: 52
; NumVgprs: 16
; ScratchSize: 0
; MemoryBound: 0
; FloatMode: 240
; IeeeMode: 1
; LDSByteSize: 4096 bytes/workgroup (compile time only)
; SGPRBlocks: 6
; VGPRBlocks: 1
; NumSGPRsForWavesPerEU: 52
; NumVGPRsForWavesPerEU: 16
; Occupancy: 16
; WaveLimiterHint : 1
; COMPUTE_PGM_RSRC2:SCRATCH_EN: 0
; COMPUTE_PGM_RSRC2:USER_SGPR: 15
; COMPUTE_PGM_RSRC2:TRAP_HANDLER: 0
; COMPUTE_PGM_RSRC2:TGID_X_EN: 1
; COMPUTE_PGM_RSRC2:TGID_Y_EN: 0
; COMPUTE_PGM_RSRC2:TGID_Z_EN: 0
; COMPUTE_PGM_RSRC2:TIDIG_COMP_CNT: 0
	.section	.text._ZN9rocsparseL22partial_scale_y_kernelIlffEEvT_S1_S1_NS_24const_host_device_scalarIT1_EEPT0_b,"axG",@progbits,_ZN9rocsparseL22partial_scale_y_kernelIlffEEvT_S1_S1_NS_24const_host_device_scalarIT1_EEPT0_b,comdat
	.globl	_ZN9rocsparseL22partial_scale_y_kernelIlffEEvT_S1_S1_NS_24const_host_device_scalarIT1_EEPT0_b ; -- Begin function _ZN9rocsparseL22partial_scale_y_kernelIlffEEvT_S1_S1_NS_24const_host_device_scalarIT1_EEPT0_b
	.p2align	8
	.type	_ZN9rocsparseL22partial_scale_y_kernelIlffEEvT_S1_S1_NS_24const_host_device_scalarIT1_EEPT0_b,@function
_ZN9rocsparseL22partial_scale_y_kernelIlffEEvT_S1_S1_NS_24const_host_device_scalarIT1_EEPT0_b: ; @_ZN9rocsparseL22partial_scale_y_kernelIlffEEvT_S1_S1_NS_24const_host_device_scalarIT1_EEPT0_b
; %bb.0:
	s_clause 0x1
	s_load_b32 s2, s[0:1], 0x28
	s_load_b256 s[4:11], s[0:1], 0x0
	s_waitcnt lgkmcnt(0)
	s_bitcmp1_b32 s2, 0
	s_cselect_b32 s2, -1, 0
	s_delay_alu instid0(SALU_CYCLE_1)
	s_and_b32 vcc_lo, exec_lo, s2
	s_cbranch_vccnz .LBB8_2
; %bb.1:
	s_load_b32 s10, s[10:11], 0x0
.LBB8_2:
	s_waitcnt lgkmcnt(0)
	v_cmp_eq_f32_e64 s2, s10, 1.0
	s_delay_alu instid0(VALU_DEP_1)
	s_and_b32 vcc_lo, exec_lo, s2
	s_cbranch_vccnz .LBB8_12
; %bb.3:
	v_lshl_or_b32 v0, s15, 8, v0
	v_mov_b32_e32 v1, 0
	s_add_u32 s2, s6, s4
	s_addc_u32 s3, s7, s5
	s_sub_u32 s2, s2, s8
	s_subb_u32 s3, s3, s9
	s_delay_alu instid0(SALU_CYCLE_1)
	v_cmp_gt_i64_e32 vcc_lo, s[2:3], v[0:1]
	s_and_saveexec_b32 s2, vcc_lo
	s_cbranch_execz .LBB8_12
; %bb.4:
	s_load_b64 s[0:1], s[0:1], 0x20
	v_cmp_neq_f32_e64 s2, s10, 0
	s_mov_b32 s3, exec_lo
	v_cmpx_le_i64_e64 s[6:7], v[0:1]
	s_xor_b32 s3, exec_lo, s3
	s_cbranch_execz .LBB8_8
; %bb.5:
	v_sub_co_u32 v0, s4, v0, s6
	s_delay_alu instid0(VALU_DEP_1) | instskip(SKIP_3) | instid1(VALU_DEP_1)
	v_sub_co_ci_u32_e64 v1, null, 0, s7, s4
	s_lshl_b64 s[4:5], s[8:9], 2
	s_waitcnt lgkmcnt(0)
	s_add_u32 s4, s4, s0
	v_lshlrev_b64 v[0:1], 2, v[0:1]
	s_addc_u32 s5, s5, s1
	s_delay_alu instid0(VALU_DEP_1) | instskip(NEXT) | instid1(VALU_DEP_2)
	v_add_co_u32 v2, vcc_lo, s4, v0
	v_add_co_ci_u32_e32 v3, vcc_lo, s5, v1, vcc_lo
	s_and_b32 vcc_lo, exec_lo, s2
	s_cbranch_vccz .LBB8_13
; %bb.6:
	global_load_b32 v0, v[2:3], off
	s_waitcnt vmcnt(0)
	v_mul_f32_e32 v0, s10, v0
	global_store_b32 v[2:3], v0, off
                                        ; implicit-def: $vgpr0_vgpr1
	s_cbranch_execnz .LBB8_8
.LBB8_7:
	v_mov_b32_e32 v0, 0
	global_store_b32 v[2:3], v0, off
                                        ; implicit-def: $vgpr0_vgpr1
.LBB8_8:
	s_and_not1_saveexec_b32 s3, s3
	s_cbranch_execz .LBB8_12
; %bb.9:
	v_lshlrev_b64 v[0:1], 2, v[0:1]
	s_waitcnt lgkmcnt(0)
	s_delay_alu instid0(VALU_DEP_1) | instskip(NEXT) | instid1(VALU_DEP_2)
	v_add_co_u32 v0, vcc_lo, s0, v0
	v_add_co_ci_u32_e32 v1, vcc_lo, s1, v1, vcc_lo
	s_and_b32 vcc_lo, exec_lo, s2
	s_cbranch_vccz .LBB8_14
; %bb.10:
	global_load_b32 v2, v[0:1], off
	s_waitcnt vmcnt(0)
	v_mul_f32_e32 v2, s10, v2
	global_store_b32 v[0:1], v2, off
	s_cbranch_execnz .LBB8_12
.LBB8_11:
	v_mov_b32_e32 v2, 0
	global_store_b32 v[0:1], v2, off
.LBB8_12:
	s_nop 0
	s_sendmsg sendmsg(MSG_DEALLOC_VGPRS)
	s_endpgm
.LBB8_13:
                                        ; implicit-def: $vgpr0_vgpr1
	s_branch .LBB8_7
.LBB8_14:
	s_branch .LBB8_11
	.section	.rodata,"a",@progbits
	.p2align	6, 0x0
	.amdhsa_kernel _ZN9rocsparseL22partial_scale_y_kernelIlffEEvT_S1_S1_NS_24const_host_device_scalarIT1_EEPT0_b
		.amdhsa_group_segment_fixed_size 0
		.amdhsa_private_segment_fixed_size 0
		.amdhsa_kernarg_size 44
		.amdhsa_user_sgpr_count 15
		.amdhsa_user_sgpr_dispatch_ptr 0
		.amdhsa_user_sgpr_queue_ptr 0
		.amdhsa_user_sgpr_kernarg_segment_ptr 1
		.amdhsa_user_sgpr_dispatch_id 0
		.amdhsa_user_sgpr_private_segment_size 0
		.amdhsa_wavefront_size32 1
		.amdhsa_uses_dynamic_stack 0
		.amdhsa_enable_private_segment 0
		.amdhsa_system_sgpr_workgroup_id_x 1
		.amdhsa_system_sgpr_workgroup_id_y 0
		.amdhsa_system_sgpr_workgroup_id_z 0
		.amdhsa_system_sgpr_workgroup_info 0
		.amdhsa_system_vgpr_workitem_id 0
		.amdhsa_next_free_vgpr 4
		.amdhsa_next_free_sgpr 16
		.amdhsa_reserve_vcc 1
		.amdhsa_float_round_mode_32 0
		.amdhsa_float_round_mode_16_64 0
		.amdhsa_float_denorm_mode_32 3
		.amdhsa_float_denorm_mode_16_64 3
		.amdhsa_dx10_clamp 1
		.amdhsa_ieee_mode 1
		.amdhsa_fp16_overflow 0
		.amdhsa_workgroup_processor_mode 1
		.amdhsa_memory_ordered 1
		.amdhsa_forward_progress 0
		.amdhsa_shared_vgpr_count 0
		.amdhsa_exception_fp_ieee_invalid_op 0
		.amdhsa_exception_fp_denorm_src 0
		.amdhsa_exception_fp_ieee_div_zero 0
		.amdhsa_exception_fp_ieee_overflow 0
		.amdhsa_exception_fp_ieee_underflow 0
		.amdhsa_exception_fp_ieee_inexact 0
		.amdhsa_exception_int_div_zero 0
	.end_amdhsa_kernel
	.section	.text._ZN9rocsparseL22partial_scale_y_kernelIlffEEvT_S1_S1_NS_24const_host_device_scalarIT1_EEPT0_b,"axG",@progbits,_ZN9rocsparseL22partial_scale_y_kernelIlffEEvT_S1_S1_NS_24const_host_device_scalarIT1_EEPT0_b,comdat
.Lfunc_end8:
	.size	_ZN9rocsparseL22partial_scale_y_kernelIlffEEvT_S1_S1_NS_24const_host_device_scalarIT1_EEPT0_b, .Lfunc_end8-_ZN9rocsparseL22partial_scale_y_kernelIlffEEvT_S1_S1_NS_24const_host_device_scalarIT1_EEPT0_b
                                        ; -- End function
	.section	.AMDGPU.csdata,"",@progbits
; Kernel info:
; codeLenInByte = 368
; NumSgprs: 18
; NumVgprs: 4
; ScratchSize: 0
; MemoryBound: 0
; FloatMode: 240
; IeeeMode: 1
; LDSByteSize: 0 bytes/workgroup (compile time only)
; SGPRBlocks: 2
; VGPRBlocks: 0
; NumSGPRsForWavesPerEU: 18
; NumVGPRsForWavesPerEU: 4
; Occupancy: 16
; WaveLimiterHint : 0
; COMPUTE_PGM_RSRC2:SCRATCH_EN: 0
; COMPUTE_PGM_RSRC2:USER_SGPR: 15
; COMPUTE_PGM_RSRC2:TRAP_HANDLER: 0
; COMPUTE_PGM_RSRC2:TGID_X_EN: 1
; COMPUTE_PGM_RSRC2:TGID_Y_EN: 0
; COMPUTE_PGM_RSRC2:TGID_Z_EN: 0
; COMPUTE_PGM_RSRC2:TIDIG_COMP_CNT: 0
	.section	.text._ZN9rocsparseL27csrmvn_symm_adaptive_kernelIllffffEEvbT_S1_PKS1_NS_24const_host_device_scalarIT4_EES3_PKT0_PKT1_PKT2_S6_PT3_21rocsparse_index_base_b,"axG",@progbits,_ZN9rocsparseL27csrmvn_symm_adaptive_kernelIllffffEEvbT_S1_PKS1_NS_24const_host_device_scalarIT4_EES3_PKT0_PKT1_PKT2_S6_PT3_21rocsparse_index_base_b,comdat
	.globl	_ZN9rocsparseL27csrmvn_symm_adaptive_kernelIllffffEEvbT_S1_PKS1_NS_24const_host_device_scalarIT4_EES3_PKT0_PKT1_PKT2_S6_PT3_21rocsparse_index_base_b ; -- Begin function _ZN9rocsparseL27csrmvn_symm_adaptive_kernelIllffffEEvbT_S1_PKS1_NS_24const_host_device_scalarIT4_EES3_PKT0_PKT1_PKT2_S6_PT3_21rocsparse_index_base_b
	.p2align	8
	.type	_ZN9rocsparseL27csrmvn_symm_adaptive_kernelIllffffEEvbT_S1_PKS1_NS_24const_host_device_scalarIT4_EES3_PKT0_PKT1_PKT2_S6_PT3_21rocsparse_index_base_b,@function
_ZN9rocsparseL27csrmvn_symm_adaptive_kernelIllffffEEvbT_S1_PKS1_NS_24const_host_device_scalarIT4_EES3_PKT0_PKT1_PKT2_S6_PT3_21rocsparse_index_base_b: ; @_ZN9rocsparseL27csrmvn_symm_adaptive_kernelIllffffEEvbT_S1_PKS1_NS_24const_host_device_scalarIT4_EES3_PKT0_PKT1_PKT2_S6_PT3_21rocsparse_index_base_b
; %bb.0:
	s_clause 0x2
	s_load_b64 s[24:25], s[0:1], 0x58
	s_load_b64 s[30:31], s[0:1], 0x20
	;; [unrolled: 1-line block ×3, first 2 shown]
	s_mov_b32 s2, s15
	s_waitcnt lgkmcnt(0)
	s_bitcmp1_b32 s25, 0
	s_cselect_b32 s3, -1, 0
	s_delay_alu instid0(SALU_CYCLE_1)
	s_and_b32 vcc_lo, exec_lo, s3
	s_xor_b32 s3, s3, -1
	s_cbranch_vccnz .LBB9_2
; %bb.1:
	s_load_b32 s30, s[30:31], 0x0
.LBB9_2:
	s_and_not1_b32 vcc_lo, exec_lo, s3
	s_cbranch_vccnz .LBB9_4
; %bb.3:
	s_load_b32 s4, s[4:5], 0x0
.LBB9_4:
	s_waitcnt lgkmcnt(0)
	v_cmp_neq_f32_e64 s3, s30, 0
	v_cmp_neq_f32_e64 s4, s4, 1.0
	s_delay_alu instid0(VALU_DEP_1) | instskip(NEXT) | instid1(SALU_CYCLE_1)
	s_or_b32 s3, s3, s4
	s_and_not1_b32 vcc_lo, exec_lo, s3
	s_cbranch_vccnz .LBB9_167
; %bb.5:
	s_load_b64 s[4:5], s[0:1], 0x18
	s_ashr_i32 s3, s2, 31
	v_dual_mov_b32 v1, 0 :: v_dual_lshlrev_b32 v14, 2, v0
	s_lshl_b64 s[2:3], s[2:3], 3
	ds_store_2addr_stride64_b32 v14, v1, v1 offset1:4
	ds_store_2addr_stride64_b32 v14, v1, v1 offset0:8 offset1:12
	s_waitcnt lgkmcnt(0)
	s_barrier
	buffer_gl0_inv
	s_add_u32 s2, s4, s2
	s_addc_u32 s3, s5, s3
	s_load_b128 s[16:19], s[2:3], 0x0
	s_clause 0x1
	s_load_b256 s[8:15], s[0:1], 0x28
	s_load_b64 s[20:21], s[0:1], 0x50
	s_waitcnt lgkmcnt(0)
	s_sub_u32 s22, s18, s16
	s_subb_u32 s23, s19, s17
	s_delay_alu instid0(SALU_CYCLE_1) | instskip(NEXT) | instid1(VALU_DEP_1)
	v_cmp_gt_i64_e64 s2, s[22:23], 2
	s_and_b32 vcc_lo, exec_lo, s2
	s_mov_b32 s2, -1
	s_cbranch_vccnz .LBB9_40
; %bb.6:
	v_cmp_gt_i64_e64 s2, s[18:19], s[16:17]
	v_sub_co_u32 v7, s3, v0, s24
	s_delay_alu instid0(VALU_DEP_1) | instskip(NEXT) | instid1(VALU_DEP_3)
	v_sub_co_ci_u32_e64 v8, null, 0, 0, s3
	s_and_b32 vcc_lo, exec_lo, s2
	s_mov_b32 s2, 0
	s_cbranch_vccnz .LBB9_8
; %bb.7:
	s_lshl_b64 s[4:5], s[16:17], 3
	s_delay_alu instid0(SALU_CYCLE_1)
	s_add_u32 s4, s8, s4
	s_addc_u32 s5, s9, s5
	s_load_b64 s[26:27], s[4:5], 0x0
	s_and_not1_b32 vcc_lo, exec_lo, s2
	s_cbranch_vccz .LBB9_9
	s_branch .LBB9_29
.LBB9_8:
                                        ; implicit-def: $sgpr26_sgpr27
.LBB9_9:
	s_lshl_b64 s[2:3], s[16:17], 3
	v_cmp_gt_u32_e64 s4, 16, v0
	s_add_u32 s2, s8, s2
	s_addc_u32 s3, s9, s3
	v_cmp_gt_u32_e64 s5, 4, v0
	s_waitcnt lgkmcnt(0)
	s_load_b64 s[26:27], s[2:3], 0x0
	v_cmp_gt_u32_e64 s2, 0x100, v0
	v_cmp_gt_u32_e64 s3, 64, v0
	v_cmp_eq_u32_e64 s6, 0, v0
	v_mov_b32_e32 v9, 0
	s_add_u32 s25, s8, 8
	s_addc_u32 s31, s9, 0
	s_mov_b64 s[28:29], s[16:17]
	s_waitcnt lgkmcnt(0)
	s_mov_b64 s[34:35], s[26:27]
	s_branch .LBB9_11
.LBB9_10:                               ;   in Loop: Header=BB9_11 Depth=1
	s_or_b32 exec_lo, exec_lo, s7
	s_add_u32 s28, s28, 1
	s_addc_u32 s29, s29, 0
	s_delay_alu instid0(SALU_CYCLE_1) | instskip(NEXT) | instid1(VALU_DEP_1)
	v_cmp_ge_i64_e64 s7, s[28:29], s[18:19]
	s_and_b32 vcc_lo, exec_lo, s7
	s_cbranch_vccnz .LBB9_29
.LBB9_11:                               ; =>This Loop Header: Depth=1
                                        ;     Child Loop BB9_13 Depth 2
                                        ;     Child Loop BB9_28 Depth 2
	s_lshl_b64 s[36:37], s[28:29], 3
	s_mov_b64 s[38:39], s[34:35]
	s_add_u32 s36, s25, s36
	s_addc_u32 s37, s31, s37
	v_add_co_u32 v1, vcc_lo, s38, v7
	s_load_b64 s[34:35], s[36:37], 0x0
	v_add_co_ci_u32_e32 v2, vcc_lo, s39, v8, vcc_lo
	v_mov_b32_e32 v10, 0
	s_mov_b32 s33, exec_lo
	s_waitcnt lgkmcnt(0)
	s_sub_u32 s36, s34, s24
	s_subb_u32 s37, s35, 0
	s_delay_alu instid0(SALU_CYCLE_1)
	v_cmpx_gt_i64_e64 s[36:37], v[1:2]
	s_cbranch_execz .LBB9_15
; %bb.12:                               ;   in Loop: Header=BB9_11 Depth=1
	v_lshlrev_b64 v[3:4], 3, v[1:2]
	v_lshlrev_b64 v[5:6], 2, v[1:2]
	v_mov_b32_e32 v10, 0
	s_mov_b32 s38, 0
	s_delay_alu instid0(VALU_DEP_3) | instskip(NEXT) | instid1(VALU_DEP_4)
	v_add_co_u32 v3, vcc_lo, s10, v3
	v_add_co_ci_u32_e32 v4, vcc_lo, s11, v4, vcc_lo
	s_delay_alu instid0(VALU_DEP_4)
	v_add_co_u32 v5, vcc_lo, s12, v5
	v_add_co_ci_u32_e32 v6, vcc_lo, s13, v6, vcc_lo
	.p2align	6
.LBB9_13:                               ;   Parent Loop BB9_11 Depth=1
                                        ; =>  This Inner Loop Header: Depth=2
	global_load_b64 v[11:12], v[3:4], off
	s_waitcnt vmcnt(0)
	v_sub_co_u32 v11, vcc_lo, v11, s24
	v_subrev_co_ci_u32_e32 v12, vcc_lo, 0, v12, vcc_lo
	s_delay_alu instid0(VALU_DEP_1) | instskip(NEXT) | instid1(VALU_DEP_1)
	v_lshlrev_b64 v[11:12], 2, v[11:12]
	v_add_co_u32 v11, vcc_lo, s14, v11
	s_delay_alu instid0(VALU_DEP_2)
	v_add_co_ci_u32_e32 v12, vcc_lo, s15, v12, vcc_lo
	v_add_co_u32 v1, vcc_lo, 0x100, v1
	global_load_b32 v13, v[5:6], off
	global_load_b32 v11, v[11:12], off
	v_add_co_ci_u32_e32 v2, vcc_lo, 0, v2, vcc_lo
	v_add_co_u32 v3, vcc_lo, 0x800, v3
	v_add_co_ci_u32_e32 v4, vcc_lo, 0, v4, vcc_lo
	s_delay_alu instid0(VALU_DEP_3) | instskip(SKIP_1) | instid1(VALU_DEP_1)
	v_cmp_le_i64_e32 vcc_lo, s[36:37], v[1:2]
	v_add_co_u32 v5, s7, 0x400, v5
	v_add_co_ci_u32_e64 v6, s7, 0, v6, s7
	s_or_b32 s38, vcc_lo, s38
	s_waitcnt vmcnt(0)
	v_fmac_f32_e32 v10, v13, v11
	s_and_not1_b32 exec_lo, exec_lo, s38
	s_cbranch_execnz .LBB9_13
; %bb.14:                               ;   in Loop: Header=BB9_11 Depth=1
	s_or_b32 exec_lo, exec_lo, s38
.LBB9_15:                               ;   in Loop: Header=BB9_11 Depth=1
	s_delay_alu instid0(SALU_CYCLE_1)
	s_or_b32 exec_lo, exec_lo, s33
	ds_store_b32 v14, v10
	s_waitcnt lgkmcnt(0)
	s_barrier
	buffer_gl0_inv
	s_and_saveexec_b32 s7, s2
	s_cbranch_execz .LBB9_17
; %bb.16:                               ;   in Loop: Header=BB9_11 Depth=1
	ds_load_2addr_stride64_b32 v[1:2], v14 offset1:4
	ds_load_2addr_stride64_b32 v[3:4], v14 offset0:8 offset1:12
	s_waitcnt lgkmcnt(0)
	v_add_f32_e32 v2, v2, v3
	s_delay_alu instid0(VALU_DEP_1) | instskip(NEXT) | instid1(VALU_DEP_1)
	v_add_f32_e32 v2, v2, v4
	v_add_f32_e32 v1, v1, v2
	ds_store_b32 v14, v1
.LBB9_17:                               ;   in Loop: Header=BB9_11 Depth=1
	s_or_b32 exec_lo, exec_lo, s7
	s_waitcnt lgkmcnt(0)
	s_barrier
	buffer_gl0_inv
	s_and_saveexec_b32 s7, s3
	s_cbranch_execz .LBB9_19
; %bb.18:                               ;   in Loop: Header=BB9_11 Depth=1
	ds_load_2addr_stride64_b32 v[1:2], v14 offset1:1
	ds_load_2addr_stride64_b32 v[3:4], v14 offset0:2 offset1:3
	s_waitcnt lgkmcnt(0)
	v_add_f32_e32 v2, v2, v3
	s_delay_alu instid0(VALU_DEP_1) | instskip(NEXT) | instid1(VALU_DEP_1)
	v_add_f32_e32 v2, v2, v4
	v_add_f32_e32 v1, v1, v2
	ds_store_b32 v14, v1
.LBB9_19:                               ;   in Loop: Header=BB9_11 Depth=1
	s_or_b32 exec_lo, exec_lo, s7
	s_waitcnt lgkmcnt(0)
	s_barrier
	buffer_gl0_inv
	s_and_saveexec_b32 s7, s4
	s_cbranch_execz .LBB9_21
; %bb.20:                               ;   in Loop: Header=BB9_11 Depth=1
	ds_load_2addr_b32 v[1:2], v14 offset1:16
	ds_load_2addr_b32 v[3:4], v14 offset0:32 offset1:48
	s_waitcnt lgkmcnt(0)
	v_add_f32_e32 v2, v2, v3
	s_delay_alu instid0(VALU_DEP_1) | instskip(NEXT) | instid1(VALU_DEP_1)
	v_add_f32_e32 v2, v2, v4
	v_add_f32_e32 v1, v1, v2
	ds_store_b32 v14, v1
.LBB9_21:                               ;   in Loop: Header=BB9_11 Depth=1
	s_or_b32 exec_lo, exec_lo, s7
	s_waitcnt lgkmcnt(0)
	s_barrier
	buffer_gl0_inv
	s_and_saveexec_b32 s7, s5
	s_cbranch_execz .LBB9_23
; %bb.22:                               ;   in Loop: Header=BB9_11 Depth=1
	ds_load_2addr_b32 v[1:2], v14 offset1:4
	ds_load_2addr_b32 v[3:4], v14 offset0:8 offset1:12
	s_waitcnt lgkmcnt(0)
	v_add_f32_e32 v2, v2, v3
	s_delay_alu instid0(VALU_DEP_1) | instskip(NEXT) | instid1(VALU_DEP_1)
	v_add_f32_e32 v2, v2, v4
	v_add_f32_e32 v1, v1, v2
	ds_store_b32 v14, v1
.LBB9_23:                               ;   in Loop: Header=BB9_11 Depth=1
	s_or_b32 exec_lo, exec_lo, s7
	s_waitcnt lgkmcnt(0)
	s_barrier
	buffer_gl0_inv
	s_and_saveexec_b32 s7, s6
	s_cbranch_execz .LBB9_25
; %bb.24:                               ;   in Loop: Header=BB9_11 Depth=1
	ds_load_2addr_b32 v[1:2], v9 offset0:1 offset1:2
	ds_load_b32 v3, v9 offset:12
	ds_load_b32 v4, v14
	s_waitcnt lgkmcnt(2)
	v_add_f32_e32 v1, v1, v2
	s_waitcnt lgkmcnt(1)
	s_delay_alu instid0(VALU_DEP_1) | instskip(SKIP_1) | instid1(VALU_DEP_1)
	v_add_f32_e32 v1, v1, v3
	s_waitcnt lgkmcnt(0)
	v_add_f32_e32 v1, v4, v1
	ds_store_b32 v14, v1
.LBB9_25:                               ;   in Loop: Header=BB9_11 Depth=1
	s_or_b32 exec_lo, exec_lo, s7
	s_waitcnt lgkmcnt(0)
	s_barrier
	buffer_gl0_inv
	s_and_saveexec_b32 s7, s6
	s_cbranch_execz .LBB9_10
; %bb.26:                               ;   in Loop: Header=BB9_11 Depth=1
	s_mov_b32 s33, exec_lo
	s_delay_alu instid0(SALU_CYCLE_1) | instskip(NEXT) | instid1(VALU_DEP_1)
	v_mbcnt_lo_u32_b32 v1, s33, 0
	v_cmp_eq_u32_e32 vcc_lo, 0, v1
	s_and_b32 s36, exec_lo, vcc_lo
	s_delay_alu instid0(SALU_CYCLE_1)
	s_mov_b32 exec_lo, s36
	s_cbranch_execz .LBB9_10
; %bb.27:                               ;   in Loop: Header=BB9_11 Depth=1
	s_lshl_b64 s[36:37], s[28:29], 2
	ds_load_b32 v1, v9
	s_add_u32 s36, s20, s36
	s_addc_u32 s37, s21, s37
	s_bcnt1_i32_b32 s33, s33
	global_load_b32 v2, v9, s[36:37]
	v_cvt_f32_ubyte0_e32 v3, s33
	s_mov_b32 s33, 0
	s_waitcnt lgkmcnt(0)
	v_mul_f32_e32 v1, s30, v1
	s_delay_alu instid0(VALU_DEP_1)
	v_mul_f32_e32 v3, v1, v3
.LBB9_28:                               ;   Parent Loop BB9_11 Depth=1
                                        ; =>  This Inner Loop Header: Depth=2
	s_waitcnt vmcnt(0)
	s_delay_alu instid0(VALU_DEP_1)
	v_add_f32_e32 v1, v2, v3
	global_atomic_cmpswap_b32 v1, v9, v[1:2], s[36:37] glc
	s_waitcnt vmcnt(0)
	v_cmp_eq_u32_e32 vcc_lo, v1, v2
	v_mov_b32_e32 v2, v1
	s_or_b32 s33, vcc_lo, s33
	s_delay_alu instid0(SALU_CYCLE_1)
	s_and_not1_b32 exec_lo, exec_lo, s33
	s_cbranch_execnz .LBB9_28
	s_branch .LBB9_10
.LBB9_29:
	s_lshl_b64 s[2:3], s[18:19], 3
	s_waitcnt lgkmcnt(0)
	v_add_co_u32 v1, vcc_lo, s26, v7
	s_add_u32 s2, s8, s2
	s_addc_u32 s3, s9, s3
	v_add_co_ci_u32_e32 v2, vcc_lo, s27, v8, vcc_lo
	s_load_b64 s[2:3], s[2:3], 0x0
	s_waitcnt lgkmcnt(0)
	s_sub_u32 s4, s2, s24
	s_subb_u32 s5, s3, 0
	s_mov_b32 s3, exec_lo
	v_cmpx_gt_i64_e64 s[4:5], v[1:2]
	s_cbranch_execz .LBB9_39
; %bb.30:
	s_add_u32 s6, s18, -1
	s_addc_u32 s7, s19, -1
	s_add_u32 s26, s18, -2
	v_cmp_gt_i64_e64 s2, s[6:7], s[16:17]
	s_addc_u32 s27, s19, -1
	s_delay_alu instid0(SALU_CYCLE_1)
	s_cmp_lg_u64 s[26:27], s[16:17]
	s_mov_b32 s26, 0
	s_cselect_b32 s25, -1, 0
	s_delay_alu instid0(VALU_DEP_1) | instid1(SALU_CYCLE_1)
	s_and_b32 s25, s2, s25
	s_branch .LBB9_32
.LBB9_31:                               ;   in Loop: Header=BB9_32 Depth=1
	s_or_b32 exec_lo, exec_lo, s2
	v_add_co_u32 v1, vcc_lo, 0x100, v1
	v_add_co_ci_u32_e32 v2, vcc_lo, 0, v2, vcc_lo
	s_delay_alu instid0(VALU_DEP_1) | instskip(SKIP_1) | instid1(SALU_CYCLE_1)
	v_cmp_le_i64_e32 vcc_lo, s[4:5], v[1:2]
	s_or_b32 s26, vcc_lo, s26
	s_and_not1_b32 exec_lo, exec_lo, s26
	s_cbranch_execz .LBB9_39
.LBB9_32:                               ; =>This Loop Header: Depth=1
                                        ;     Child Loop BB9_34 Depth 2
                                        ;     Child Loop BB9_38 Depth 2
	v_dual_mov_b32 v3, s16 :: v_dual_mov_b32 v4, s17
	v_dual_mov_b32 v5, s6 :: v_dual_mov_b32 v6, s7
	s_and_not1_b32 vcc_lo, exec_lo, s25
	s_cbranch_vccnz .LBB9_36
; %bb.33:                               ;   in Loop: Header=BB9_32 Depth=1
	v_dual_mov_b32 v3, s16 :: v_dual_mov_b32 v4, s17
	v_dual_mov_b32 v5, s6 :: v_dual_mov_b32 v6, s7
	s_mov_b32 s27, 0
	s_set_inst_prefetch_distance 0x1
	.p2align	6
.LBB9_34:                               ;   Parent Loop BB9_32 Depth=1
                                        ; =>  This Inner Loop Header: Depth=2
	s_delay_alu instid0(VALU_DEP_1) | instskip(NEXT) | instid1(VALU_DEP_2)
	v_add_co_u32 v7, vcc_lo, v5, v3
	v_add_co_ci_u32_e32 v8, vcc_lo, v6, v4, vcc_lo
	s_delay_alu instid0(VALU_DEP_1) | instskip(NEXT) | instid1(VALU_DEP_1)
	v_lshrrev_b32_e32 v9, 31, v8
	v_add_co_u32 v7, vcc_lo, v7, v9
	v_add_co_ci_u32_e32 v8, vcc_lo, 0, v8, vcc_lo
	s_delay_alu instid0(VALU_DEP_1) | instskip(NEXT) | instid1(VALU_DEP_1)
	v_ashrrev_i64 v[7:8], 1, v[7:8]
	v_lshlrev_b64 v[9:10], 3, v[7:8]
	s_delay_alu instid0(VALU_DEP_1) | instskip(NEXT) | instid1(VALU_DEP_2)
	v_add_co_u32 v9, vcc_lo, s8, v9
	v_add_co_ci_u32_e32 v10, vcc_lo, s9, v10, vcc_lo
	global_load_b64 v[9:10], v[9:10], off
	s_waitcnt vmcnt(0)
	v_sub_co_u32 v9, vcc_lo, v9, s24
	v_subrev_co_ci_u32_e32 v10, vcc_lo, 0, v10, vcc_lo
	s_delay_alu instid0(VALU_DEP_1) | instskip(SKIP_2) | instid1(VALU_DEP_2)
	v_cmp_gt_i64_e32 vcc_lo, v[9:10], v[1:2]
	v_dual_cndmask_b32 v6, v6, v8 :: v_dual_cndmask_b32 v5, v5, v7
	v_dual_cndmask_b32 v4, v8, v4 :: v_dual_cndmask_b32 v3, v7, v3
	v_add_co_u32 v7, vcc_lo, v5, -1
	s_delay_alu instid0(VALU_DEP_3) | instskip(NEXT) | instid1(VALU_DEP_3)
	v_add_co_ci_u32_e32 v8, vcc_lo, -1, v6, vcc_lo
	v_cmp_ge_i64_e32 vcc_lo, v[3:4], v[5:6]
	s_delay_alu instid0(VALU_DEP_2) | instskip(NEXT) | instid1(VALU_DEP_1)
	v_cmp_eq_u64_e64 s2, v[3:4], v[7:8]
	s_or_b32 s2, vcc_lo, s2
	s_delay_alu instid0(SALU_CYCLE_1) | instskip(NEXT) | instid1(SALU_CYCLE_1)
	s_and_b32 s2, exec_lo, s2
	s_or_b32 s27, s2, s27
	s_delay_alu instid0(SALU_CYCLE_1)
	s_and_not1_b32 exec_lo, exec_lo, s27
	s_cbranch_execnz .LBB9_34
; %bb.35:                               ;   in Loop: Header=BB9_32 Depth=1
	s_set_inst_prefetch_distance 0x2
	s_or_b32 exec_lo, exec_lo, s27
.LBB9_36:                               ;   in Loop: Header=BB9_32 Depth=1
	s_delay_alu instid0(VALU_DEP_1) | instskip(SKIP_2) | instid1(VALU_DEP_2)
	v_lshlrev_b64 v[7:8], 3, v[5:6]
	v_lshlrev_b64 v[9:10], 3, v[1:2]
	s_mov_b32 s2, exec_lo
	v_add_co_u32 v7, vcc_lo, s8, v7
	s_delay_alu instid0(VALU_DEP_3) | instskip(NEXT) | instid1(VALU_DEP_3)
	v_add_co_ci_u32_e32 v8, vcc_lo, s9, v8, vcc_lo
	v_add_co_u32 v9, vcc_lo, s10, v9
	s_delay_alu instid0(VALU_DEP_4)
	v_add_co_ci_u32_e32 v10, vcc_lo, s11, v10, vcc_lo
	global_load_b64 v[7:8], v[7:8], off
	global_load_b64 v[9:10], v[9:10], off
	s_waitcnt vmcnt(1)
	v_sub_co_u32 v7, vcc_lo, v7, s24
	v_subrev_co_ci_u32_e32 v8, vcc_lo, 0, v8, vcc_lo
	s_delay_alu instid0(VALU_DEP_1) | instskip(SKIP_4) | instid1(VALU_DEP_1)
	v_cmp_gt_i64_e32 vcc_lo, v[7:8], v[1:2]
	v_dual_cndmask_b32 v4, v6, v4 :: v_dual_cndmask_b32 v3, v5, v3
	s_waitcnt vmcnt(0)
	v_sub_co_u32 v5, vcc_lo, v9, s24
	v_subrev_co_ci_u32_e32 v6, vcc_lo, 0, v10, vcc_lo
	v_cmpx_ne_u64_e64 v[5:6], v[3:4]
	s_cbranch_execz .LBB9_31
; %bb.37:                               ;   in Loop: Header=BB9_32 Depth=1
	v_lshlrev_b64 v[7:8], 2, v[1:2]
	v_lshlrev_b64 v[3:4], 2, v[3:4]
	;; [unrolled: 1-line block ×3, first 2 shown]
	s_mov_b32 s27, 0
	s_delay_alu instid0(VALU_DEP_3) | instskip(NEXT) | instid1(VALU_DEP_4)
	v_add_co_u32 v7, vcc_lo, s12, v7
	v_add_co_ci_u32_e32 v8, vcc_lo, s13, v8, vcc_lo
	global_load_b32 v9, v[7:8], off
	v_add_co_u32 v7, vcc_lo, s14, v3
	v_add_co_ci_u32_e32 v8, vcc_lo, s15, v4, vcc_lo
	v_add_co_u32 v3, vcc_lo, s20, v5
	v_add_co_ci_u32_e32 v4, vcc_lo, s21, v6, vcc_lo
	global_load_b32 v5, v[7:8], off
	global_load_b32 v6, v[3:4], off
	s_waitcnt vmcnt(2)
	v_mul_f32_e32 v7, s30, v9
	s_waitcnt vmcnt(1)
	s_delay_alu instid0(VALU_DEP_1)
	v_mul_f32_e32 v7, v7, v5
.LBB9_38:                               ;   Parent Loop BB9_32 Depth=1
                                        ; =>  This Inner Loop Header: Depth=2
	s_waitcnt vmcnt(0)
	s_delay_alu instid0(VALU_DEP_1)
	v_add_f32_e32 v5, v6, v7
	global_atomic_cmpswap_b32 v5, v[3:4], v[5:6], off glc
	s_waitcnt vmcnt(0)
	v_cmp_eq_u32_e32 vcc_lo, v5, v6
	v_mov_b32_e32 v6, v5
	s_or_b32 s27, vcc_lo, s27
	s_delay_alu instid0(SALU_CYCLE_1)
	s_and_not1_b32 exec_lo, exec_lo, s27
	s_cbranch_execnz .LBB9_38
	s_branch .LBB9_31
.LBB9_39:
	s_or_b32 exec_lo, exec_lo, s3
	s_mov_b32 s2, 0
.LBB9_40:
	s_delay_alu instid0(SALU_CYCLE_1)
	s_and_b32 vcc_lo, exec_lo, s2
	s_cbranch_vccz .LBB9_167
; %bb.41:
	s_load_b32 s2, s[0:1], 0x6c
	s_mov_b32 s7, 0
	s_mov_b64 s[28:29], 0
	s_waitcnt lgkmcnt(0)
	s_and_b32 s6, s2, 0xffff
	s_delay_alu instid0(SALU_CYCLE_1) | instskip(NEXT) | instid1(VALU_DEP_1)
	v_cmp_lt_u64_e64 s2, s[6:7], s[22:23]
	s_and_b32 vcc_lo, exec_lo, s2
	s_cbranch_vccnz .LBB9_43
; %bb.42:
	v_cvt_f32_u32_e32 v1, s22
	s_sub_i32 s3, 0, s22
	s_delay_alu instid0(VALU_DEP_1) | instskip(SKIP_2) | instid1(VALU_DEP_1)
	v_rcp_iflag_f32_e32 v1, v1
	s_waitcnt_depctr 0xfff
	v_mul_f32_e32 v1, 0x4f7ffffe, v1
	v_cvt_u32_f32_e32 v1, v1
	s_delay_alu instid0(VALU_DEP_1) | instskip(NEXT) | instid1(VALU_DEP_1)
	v_readfirstlane_b32 s2, v1
	s_mul_i32 s3, s3, s2
	s_delay_alu instid0(SALU_CYCLE_1) | instskip(NEXT) | instid1(SALU_CYCLE_1)
	s_mul_hi_u32 s3, s2, s3
	s_add_i32 s2, s2, s3
	s_delay_alu instid0(SALU_CYCLE_1) | instskip(NEXT) | instid1(SALU_CYCLE_1)
	s_mul_hi_u32 s2, s6, s2
	s_mul_i32 s3, s2, s22
	s_add_i32 s4, s2, 1
	s_sub_i32 s3, s6, s3
	s_delay_alu instid0(SALU_CYCLE_1)
	s_sub_i32 s5, s3, s22
	s_cmp_ge_u32 s3, s22
	s_cselect_b32 s2, s4, s2
	s_cselect_b32 s3, s5, s3
	s_add_i32 s4, s2, 1
	s_cmp_ge_u32 s3, s22
	s_cselect_b32 s28, s4, s2
.LBB9_43:
	s_lshl_b64 s[2:3], s[16:17], 3
	v_sub_co_u32 v1, s7, v0, s24
	s_add_u32 s26, s8, s2
	s_addc_u32 s27, s9, s3
	s_load_b64 s[4:5], s[26:27], 0x0
	s_load_b128 s[0:3], s[0:1], 0x8
	v_sub_co_ci_u32_e64 v3, null, 0, 0, s7
	s_waitcnt lgkmcnt(0)
	v_add_co_u32 v2, vcc_lo, s4, v1
	s_delay_alu instid0(VALU_DEP_2) | instskip(SKIP_1) | instid1(VALU_DEP_3)
	v_add_co_ci_u32_e32 v3, vcc_lo, s5, v3, vcc_lo
	v_mov_b32_e32 v1, 0
	v_add_co_u32 v4, vcc_lo, 0x300, v2
	s_delay_alu instid0(VALU_DEP_3) | instskip(NEXT) | instid1(VALU_DEP_1)
	v_add_co_ci_u32_e32 v5, vcc_lo, 0, v3, vcc_lo
	v_cmp_le_i64_e32 vcc_lo, s[0:1], v[4:5]
	s_and_saveexec_b32 s0, vcc_lo
	s_delay_alu instid0(SALU_CYCLE_1)
	s_xor_b32 s7, exec_lo, s0
	s_cbranch_execnz .LBB9_46
; %bb.44:
	s_and_not1_saveexec_b32 s1, s7
	s_cbranch_execnz .LBB9_50
.LBB9_45:
	s_or_b32 exec_lo, exec_lo, s1
	s_delay_alu instid0(SALU_CYCLE_1)
	s_mov_b32 s1, exec_lo
	v_cmpx_gt_i64_e64 s[2:3], v[0:1]
	s_cbranch_execnz .LBB9_51
	s_branch .LBB9_53
.LBB9_46:
	s_lshl_b64 s[0:1], s[18:19], 3
	s_mov_b32 s25, exec_lo
	s_add_u32 s0, s8, s0
	s_addc_u32 s1, s9, s1
	s_load_b64 s[0:1], s[0:1], 0x0
	s_waitcnt lgkmcnt(0)
	s_sub_u32 s34, s0, s4
	s_subb_u32 s35, s1, s5
	s_delay_alu instid0(SALU_CYCLE_1)
	v_cmpx_gt_i64_e64 s[34:35], v[0:1]
	s_cbranch_execz .LBB9_49
; %bb.47:
	v_lshlrev_b64 v[6:7], 2, v[2:3]
	v_dual_mov_b32 v10, v14 :: v_dual_mov_b32 v9, v1
	v_mov_b32_e32 v8, v0
	s_mov_b32 s29, 0
	s_delay_alu instid0(VALU_DEP_3) | instskip(NEXT) | instid1(VALU_DEP_1)
	v_add_co_u32 v6, s0, s12, v6
	v_add_co_ci_u32_e64 v7, s0, s13, v7, s0
	.p2align	6
.LBB9_48:                               ; =>This Inner Loop Header: Depth=1
	global_load_b32 v11, v[6:7], off
	v_add_co_u32 v8, s0, 0x100, v8
	s_delay_alu instid0(VALU_DEP_1) | instskip(SKIP_1) | instid1(VALU_DEP_1)
	v_add_co_ci_u32_e64 v9, s0, 0, v9, s0
	v_add_co_u32 v6, s0, 0x400, v6
	v_add_co_ci_u32_e64 v7, s0, 0, v7, s0
	s_delay_alu instid0(VALU_DEP_3) | instskip(NEXT) | instid1(VALU_DEP_1)
	v_cmp_le_i64_e64 s1, s[34:35], v[8:9]
	s_or_b32 s29, s1, s29
	s_waitcnt vmcnt(0)
	v_mul_f32_e32 v11, s30, v11
	ds_store_b32 v10, v11
	v_add_nc_u32_e32 v10, 0x400, v10
	s_and_not1_b32 exec_lo, exec_lo, s29
	s_cbranch_execnz .LBB9_48
.LBB9_49:
	s_or_b32 exec_lo, exec_lo, s25
	s_and_not1_saveexec_b32 s1, s7
	s_cbranch_execz .LBB9_45
.LBB9_50:
	v_lshlrev_b64 v[6:7], 2, v[2:3]
	s_delay_alu instid0(VALU_DEP_1) | instskip(NEXT) | instid1(VALU_DEP_1)
	v_add_co_u32 v6, s0, s12, v6
	v_add_co_ci_u32_e64 v7, s0, s13, v7, s0
	s_clause 0x3
	global_load_b32 v8, v[6:7], off
	global_load_b32 v9, v[6:7], off offset:1024
	global_load_b32 v10, v[6:7], off offset:2048
	;; [unrolled: 1-line block ×3, first 2 shown]
	s_waitcnt vmcnt(2)
	v_dual_mul_f32 v7, s30, v8 :: v_dual_mul_f32 v8, s30, v9
	s_waitcnt vmcnt(1)
	v_mul_f32_e32 v9, s30, v10
	s_waitcnt vmcnt(0)
	v_mul_f32_e32 v6, s30, v6
	ds_store_2addr_stride64_b32 v14, v7, v8 offset1:4
	ds_store_2addr_stride64_b32 v14, v9, v6 offset0:8 offset1:12
	s_or_b32 exec_lo, exec_lo, s1
	s_delay_alu instid0(SALU_CYCLE_1)
	s_mov_b32 s1, exec_lo
	v_cmpx_gt_i64_e64 s[2:3], v[0:1]
	s_cbranch_execz .LBB9_53
.LBB9_51:
	v_mov_b32_e32 v7, v1
	v_lshl_add_u32 v8, v0, 2, 0x1000
	v_dual_mov_b32 v9, 0 :: v_dual_mov_b32 v6, v0
	s_mov_b32 s7, 0
.LBB9_52:                               ; =>This Inner Loop Header: Depth=1
	s_delay_alu instid0(VALU_DEP_1) | instskip(NEXT) | instid1(VALU_DEP_1)
	v_add_co_u32 v6, s0, 0x100, v6
	v_add_co_ci_u32_e64 v7, s0, 0, v7, s0
	ds_store_b32 v8, v9
	v_add_nc_u32_e32 v8, 0x400, v8
	v_cmp_le_i64_e64 s0, s[2:3], v[6:7]
	s_delay_alu instid0(VALU_DEP_1) | instskip(NEXT) | instid1(SALU_CYCLE_1)
	s_or_b32 s7, s0, s7
	s_and_not1_b32 exec_lo, exec_lo, s7
	s_cbranch_execnz .LBB9_52
.LBB9_53:
	s_or_b32 exec_lo, exec_lo, s1
	v_cmp_ge_i64_e64 s0, s[18:19], s[2:3]
	s_sub_u32 s1, s18, s2
	s_subb_u32 s7, s19, s3
	s_waitcnt lgkmcnt(0)
	s_barrier
	buffer_gl0_inv
	s_and_b32 s0, s0, exec_lo
	s_cselect_b32 s13, s7, 0
	s_cselect_b32 s12, s1, 0
	s_and_saveexec_b32 s0, vcc_lo
	s_delay_alu instid0(SALU_CYCLE_1)
	s_xor_b32 s7, exec_lo, s0
	s_cbranch_execz .LBB9_72
; %bb.54:
	s_lshl_b64 s[0:1], s[18:19], 3
	s_mov_b32 s25, exec_lo
	s_add_u32 s0, s8, s0
	s_addc_u32 s1, s9, s1
	s_load_b64 s[0:1], s[0:1], 0x0
	s_waitcnt lgkmcnt(0)
	s_sub_u32 s30, s0, s4
	s_subb_u32 s31, s1, s5
	s_delay_alu instid0(SALU_CYCLE_1)
	v_cmpx_gt_i64_e64 s[30:31], v[0:1]
	s_cbranch_execz .LBB9_71
; %bb.55:
	s_add_u32 s34, s18, -1
	s_addc_u32 s35, s19, -1
	s_add_u32 s36, s18, -2
	v_cmp_gt_i64_e64 s29, s[34:35], s[16:17]
	s_addc_u32 s37, s19, -1
	s_mov_b64 s[38:39], 0
	s_cmp_lg_u64 s[36:37], s[16:17]
	s_cselect_b32 s33, -1, 0
	s_delay_alu instid0(VALU_DEP_1) | instid1(SALU_CYCLE_1)
	s_and_b32 s29, s29, s33
	s_sub_u32 s36, s0, s24
	s_subb_u32 s37, s1, 0
	s_mov_b32 s1, 0
	s_branch .LBB9_58
.LBB9_56:                               ;   in Loop: Header=BB9_58 Depth=1
	s_or_b32 exec_lo, exec_lo, s0
.LBB9_57:                               ;   in Loop: Header=BB9_58 Depth=1
	s_delay_alu instid0(SALU_CYCLE_1) | instskip(SKIP_3) | instid1(VALU_DEP_1)
	s_or_b32 exec_lo, exec_lo, s33
	v_lshlrev_b64 v[4:5], 2, v[4:5]
	s_add_u32 s38, s38, 0x100
	s_addc_u32 s39, s39, 0
	v_add_co_u32 v4, vcc_lo, s14, v4
	s_delay_alu instid0(VALU_DEP_2) | instskip(SKIP_2) | instid1(VALU_DEP_1)
	v_add_co_ci_u32_e32 v5, vcc_lo, s15, v5, vcc_lo
	global_load_b32 v6, v[4:5], off
	v_add_co_u32 v4, s0, s38, v0
	v_add_co_ci_u32_e64 v5, null, s39, 0, s0
	s_delay_alu instid0(VALU_DEP_1)
	v_cmp_le_i64_e32 vcc_lo, s[30:31], v[4:5]
	v_lshlrev_b32_e32 v4, 2, v10
	s_or_b32 s1, vcc_lo, s1
	s_waitcnt vmcnt(0) lgkmcnt(0)
	v_mul_f32_e32 v5, v6, v11
	ds_store_b32 v4, v5
	s_and_not1_b32 exec_lo, exec_lo, s1
	s_cbranch_execz .LBB9_71
.LBB9_58:                               ; =>This Loop Header: Depth=1
                                        ;     Child Loop BB9_60 Depth 2
                                        ;     Child Loop BB9_67 Depth 2
	v_add_co_u32 v6, vcc_lo, s38, v2
	v_add_co_ci_u32_e32 v7, vcc_lo, s39, v3, vcc_lo
	v_dual_mov_b32 v8, s16 :: v_dual_mov_b32 v9, s17
	v_dual_mov_b32 v10, s34 :: v_dual_mov_b32 v11, s35
	s_and_not1_b32 vcc_lo, exec_lo, s29
	s_cbranch_vccnz .LBB9_62
; %bb.59:                               ;   in Loop: Header=BB9_58 Depth=1
	v_dual_mov_b32 v8, s16 :: v_dual_mov_b32 v9, s17
	v_dual_mov_b32 v10, s34 :: v_dual_mov_b32 v11, s35
	s_mov_b32 s33, 0
	s_set_inst_prefetch_distance 0x1
	.p2align	6
.LBB9_60:                               ;   Parent Loop BB9_58 Depth=1
                                        ; =>  This Inner Loop Header: Depth=2
	s_delay_alu instid0(VALU_DEP_1) | instskip(NEXT) | instid1(VALU_DEP_2)
	v_add_co_u32 v4, vcc_lo, v10, v8
	v_add_co_ci_u32_e32 v5, vcc_lo, v11, v9, vcc_lo
	s_delay_alu instid0(VALU_DEP_1) | instskip(NEXT) | instid1(VALU_DEP_1)
	v_lshrrev_b32_e32 v12, 31, v5
	v_add_co_u32 v4, vcc_lo, v4, v12
	v_add_co_ci_u32_e32 v5, vcc_lo, 0, v5, vcc_lo
	s_delay_alu instid0(VALU_DEP_1) | instskip(NEXT) | instid1(VALU_DEP_1)
	v_ashrrev_i64 v[4:5], 1, v[4:5]
	v_lshlrev_b64 v[12:13], 3, v[4:5]
	s_delay_alu instid0(VALU_DEP_1) | instskip(NEXT) | instid1(VALU_DEP_2)
	v_add_co_u32 v12, vcc_lo, s8, v12
	v_add_co_ci_u32_e32 v13, vcc_lo, s9, v13, vcc_lo
	global_load_b64 v[12:13], v[12:13], off
	s_waitcnt vmcnt(0)
	v_sub_co_u32 v12, vcc_lo, v12, s24
	v_subrev_co_ci_u32_e32 v13, vcc_lo, 0, v13, vcc_lo
	s_delay_alu instid0(VALU_DEP_1) | instskip(SKIP_2) | instid1(VALU_DEP_2)
	v_cmp_gt_i64_e32 vcc_lo, v[12:13], v[6:7]
	v_dual_cndmask_b32 v11, v11, v5 :: v_dual_cndmask_b32 v10, v10, v4
	v_dual_cndmask_b32 v9, v5, v9 :: v_dual_cndmask_b32 v8, v4, v8
	v_add_co_u32 v4, vcc_lo, v10, -1
	s_delay_alu instid0(VALU_DEP_3) | instskip(NEXT) | instid1(VALU_DEP_3)
	v_add_co_ci_u32_e32 v5, vcc_lo, -1, v11, vcc_lo
	v_cmp_ge_i64_e32 vcc_lo, v[8:9], v[10:11]
	s_delay_alu instid0(VALU_DEP_2) | instskip(NEXT) | instid1(VALU_DEP_1)
	v_cmp_eq_u64_e64 s0, v[8:9], v[4:5]
	s_or_b32 s0, vcc_lo, s0
	s_delay_alu instid0(SALU_CYCLE_1) | instskip(NEXT) | instid1(SALU_CYCLE_1)
	s_and_b32 s0, exec_lo, s0
	s_or_b32 s33, s0, s33
	s_delay_alu instid0(SALU_CYCLE_1)
	s_and_not1_b32 exec_lo, exec_lo, s33
	s_cbranch_execnz .LBB9_60
; %bb.61:                               ;   in Loop: Header=BB9_58 Depth=1
	s_set_inst_prefetch_distance 0x2
	s_or_b32 exec_lo, exec_lo, s33
.LBB9_62:                               ;   in Loop: Header=BB9_58 Depth=1
	s_delay_alu instid0(VALU_DEP_1) | instskip(SKIP_1) | instid1(VALU_DEP_2)
	v_lshlrev_b64 v[4:5], 3, v[10:11]
	v_lshlrev_b64 v[12:13], 3, v[6:7]
	v_add_co_u32 v4, vcc_lo, s8, v4
	s_delay_alu instid0(VALU_DEP_3) | instskip(NEXT) | instid1(VALU_DEP_3)
	v_add_co_ci_u32_e32 v5, vcc_lo, s9, v5, vcc_lo
	v_add_co_u32 v12, vcc_lo, s10, v12
	s_delay_alu instid0(VALU_DEP_4)
	v_add_co_ci_u32_e32 v13, vcc_lo, s11, v13, vcc_lo
	global_load_b64 v[4:5], v[4:5], off
	global_load_b64 v[12:13], v[12:13], off
	s_waitcnt vmcnt(1)
	v_sub_co_u32 v4, vcc_lo, v4, s24
	v_subrev_co_ci_u32_e32 v5, vcc_lo, 0, v5, vcc_lo
	s_delay_alu instid0(VALU_DEP_1) | instskip(SKIP_2) | instid1(VALU_DEP_1)
	v_cmp_gt_i64_e32 vcc_lo, v[4:5], v[6:7]
	s_waitcnt vmcnt(0)
	v_sub_co_u32 v4, s0, v12, s24
	v_subrev_co_ci_u32_e64 v5, s0, 0, v13, s0
	v_cmp_le_i64_e64 s0, s[36:37], v[6:7]
	v_dual_cndmask_b32 v9, v11, v9 :: v_dual_cndmask_b32 v8, v10, v8
	v_add_co_u32 v10, null, s38, v0
                                        ; implicit-def: $vgpr11
	s_delay_alu instid0(VALU_DEP_2) | instskip(NEXT) | instid1(VALU_DEP_2)
	v_cmp_eq_u64_e32 vcc_lo, v[4:5], v[8:9]
	v_lshlrev_b32_e32 v12, 2, v10
	s_or_b32 s0, vcc_lo, s0
	s_delay_alu instid0(SALU_CYCLE_1) | instskip(NEXT) | instid1(SALU_CYCLE_1)
	s_and_saveexec_b32 s33, s0
	s_xor_b32 s0, exec_lo, s33
	s_cbranch_execz .LBB9_64
; %bb.63:                               ;   in Loop: Header=BB9_58 Depth=1
	ds_load_b32 v11, v12
                                        ; implicit-def: $vgpr12
                                        ; implicit-def: $vgpr8_vgpr9
.LBB9_64:                               ;   in Loop: Header=BB9_58 Depth=1
	s_and_not1_saveexec_b32 s33, s0
	s_cbranch_execz .LBB9_57
; %bb.65:                               ;   in Loop: Header=BB9_58 Depth=1
	v_cmp_gt_i64_e32 vcc_lo, s[12:13], v[4:5]
	v_cmp_le_i64_e64 s0, s[18:19], v[4:5]
	v_lshlrev_b64 v[6:7], 2, v[8:9]
                                        ; implicit-def: $vgpr11
	s_delay_alu instid0(VALU_DEP_2) | instskip(NEXT) | instid1(SALU_CYCLE_1)
	s_or_b32 s0, vcc_lo, s0
	s_and_saveexec_b32 s40, s0
	s_delay_alu instid0(SALU_CYCLE_1)
	s_xor_b32 s0, exec_lo, s40
	s_cbranch_execz .LBB9_69
; %bb.66:                               ;   in Loop: Header=BB9_58 Depth=1
	v_lshlrev_b64 v[8:9], 2, v[4:5]
	v_add_co_u32 v15, vcc_lo, s14, v6
	v_add_co_ci_u32_e32 v16, vcc_lo, s15, v7, vcc_lo
	s_mov_b32 s40, 0
	s_delay_alu instid0(VALU_DEP_3) | instskip(NEXT) | instid1(VALU_DEP_4)
	v_add_co_u32 v6, vcc_lo, s20, v8
	v_add_co_ci_u32_e32 v7, vcc_lo, s21, v9, vcc_lo
	global_load_b32 v8, v[15:16], off
	global_load_b32 v9, v[6:7], off
	s_waitcnt lgkmcnt(0)
	ds_load_b32 v11, v12
	s_waitcnt vmcnt(1) lgkmcnt(0)
	v_mul_f32_e32 v12, v11, v8
.LBB9_67:                               ;   Parent Loop BB9_58 Depth=1
                                        ; =>  This Inner Loop Header: Depth=2
	s_waitcnt vmcnt(0)
	s_delay_alu instid0(VALU_DEP_1)
	v_add_f32_e32 v8, v9, v12
	global_atomic_cmpswap_b32 v8, v[6:7], v[8:9], off glc
	s_waitcnt vmcnt(0)
	v_cmp_eq_u32_e32 vcc_lo, v8, v9
	v_mov_b32_e32 v9, v8
	s_or_b32 s40, vcc_lo, s40
	s_delay_alu instid0(SALU_CYCLE_1)
	s_and_not1_b32 exec_lo, exec_lo, s40
	s_cbranch_execnz .LBB9_67
; %bb.68:                               ;   in Loop: Header=BB9_58 Depth=1
	s_or_b32 exec_lo, exec_lo, s40
                                        ; implicit-def: $vgpr12
                                        ; implicit-def: $vgpr6_vgpr7
.LBB9_69:                               ;   in Loop: Header=BB9_58 Depth=1
	s_and_not1_saveexec_b32 s0, s0
	s_cbranch_execz .LBB9_56
; %bb.70:                               ;   in Loop: Header=BB9_58 Depth=1
	v_add_co_u32 v6, vcc_lo, s14, v6
	v_add_co_ci_u32_e32 v7, vcc_lo, s15, v7, vcc_lo
	s_waitcnt lgkmcnt(0)
	ds_load_b32 v11, v12
	global_load_b32 v6, v[6:7], off
	v_subrev_nc_u32_e32 v7, s12, v4
	s_delay_alu instid0(VALU_DEP_1)
	v_lshl_add_u32 v7, v7, 2, 0x1000
	s_waitcnt vmcnt(0) lgkmcnt(0)
	v_mul_f32_e32 v6, v11, v6
	ds_add_f32 v7, v6
	s_branch .LBB9_56
.LBB9_71:
	s_or_b32 exec_lo, exec_lo, s25
                                        ; implicit-def: $vgpr4_vgpr5
                                        ; implicit-def: $vgpr2
.LBB9_72:
	s_and_not1_saveexec_b32 s1, s7
	s_cbranch_execz .LBB9_122
; %bb.73:
	s_add_u32 s30, s18, -1
	s_addc_u32 s31, s19, -1
	s_add_u32 s34, s18, -2
	v_cmp_le_i64_e64 s0, s[30:31], s[16:17]
	s_addc_u32 s35, s19, -1
	v_dual_mov_b32 v8, s16 :: v_dual_mov_b32 v9, s17
	s_cmp_eq_u64 s[34:35], s[16:17]
	v_dual_mov_b32 v10, s30 :: v_dual_mov_b32 v11, s31
	s_cselect_b32 s7, -1, 0
	s_delay_alu instid0(SALU_CYCLE_1) | instskip(NEXT) | instid1(SALU_CYCLE_1)
	s_or_b32 s7, s0, s7
	s_and_b32 vcc_lo, exec_lo, s7
	s_cbranch_vccnz .LBB9_77
; %bb.74:
	v_dual_mov_b32 v8, s16 :: v_dual_mov_b32 v9, s17
	v_dual_mov_b32 v10, s30 :: v_dual_mov_b32 v11, s31
	s_mov_b32 s25, 0
	s_set_inst_prefetch_distance 0x1
	.p2align	6
.LBB9_75:                               ; =>This Inner Loop Header: Depth=1
	s_delay_alu instid0(VALU_DEP_1) | instskip(NEXT) | instid1(VALU_DEP_2)
	v_add_co_u32 v6, vcc_lo, v10, v8
	v_add_co_ci_u32_e32 v7, vcc_lo, v11, v9, vcc_lo
	s_delay_alu instid0(VALU_DEP_1) | instskip(NEXT) | instid1(VALU_DEP_1)
	v_lshrrev_b32_e32 v12, 31, v7
	v_add_co_u32 v6, vcc_lo, v6, v12
	v_add_co_ci_u32_e32 v7, vcc_lo, 0, v7, vcc_lo
	s_delay_alu instid0(VALU_DEP_1) | instskip(NEXT) | instid1(VALU_DEP_1)
	v_ashrrev_i64 v[6:7], 1, v[6:7]
	v_lshlrev_b64 v[12:13], 3, v[6:7]
	s_delay_alu instid0(VALU_DEP_1) | instskip(NEXT) | instid1(VALU_DEP_2)
	v_add_co_u32 v12, vcc_lo, s8, v12
	v_add_co_ci_u32_e32 v13, vcc_lo, s9, v13, vcc_lo
	global_load_b64 v[12:13], v[12:13], off
	s_waitcnt vmcnt(0)
	v_sub_co_u32 v12, vcc_lo, v12, s24
	v_subrev_co_ci_u32_e32 v13, vcc_lo, 0, v13, vcc_lo
	s_delay_alu instid0(VALU_DEP_1) | instskip(SKIP_2) | instid1(VALU_DEP_2)
	v_cmp_gt_i64_e32 vcc_lo, v[12:13], v[2:3]
	v_dual_cndmask_b32 v11, v11, v7 :: v_dual_cndmask_b32 v10, v10, v6
	v_dual_cndmask_b32 v9, v7, v9 :: v_dual_cndmask_b32 v8, v6, v8
	v_add_co_u32 v6, vcc_lo, v10, -1
	s_delay_alu instid0(VALU_DEP_3) | instskip(NEXT) | instid1(VALU_DEP_3)
	v_add_co_ci_u32_e32 v7, vcc_lo, -1, v11, vcc_lo
	v_cmp_ge_i64_e32 vcc_lo, v[8:9], v[10:11]
	s_delay_alu instid0(VALU_DEP_2) | instskip(NEXT) | instid1(VALU_DEP_1)
	v_cmp_eq_u64_e64 s0, v[8:9], v[6:7]
	s_or_b32 s0, vcc_lo, s0
	s_delay_alu instid0(SALU_CYCLE_1) | instskip(NEXT) | instid1(SALU_CYCLE_1)
	s_and_b32 s0, exec_lo, s0
	s_or_b32 s25, s0, s25
	s_delay_alu instid0(SALU_CYCLE_1)
	s_and_not1_b32 exec_lo, exec_lo, s25
	s_cbranch_execnz .LBB9_75
; %bb.76:
	s_set_inst_prefetch_distance 0x2
	s_or_b32 exec_lo, exec_lo, s25
.LBB9_77:
	v_lshlrev_b64 v[6:7], 3, v[10:11]
	s_xor_b32 s7, s7, -1
	s_mov_b32 s25, exec_lo
	s_delay_alu instid0(VALU_DEP_1) | instskip(NEXT) | instid1(VALU_DEP_2)
	v_add_co_u32 v6, vcc_lo, s8, v6
	v_add_co_ci_u32_e32 v7, vcc_lo, s9, v7, vcc_lo
	global_load_b64 v[12:13], v[6:7], off
	v_lshlrev_b64 v[6:7], 3, v[2:3]
	s_delay_alu instid0(VALU_DEP_1) | instskip(NEXT) | instid1(VALU_DEP_2)
	v_add_co_u32 v6, vcc_lo, s10, v6
	v_add_co_ci_u32_e32 v7, vcc_lo, s11, v7, vcc_lo
	s_lshl_b64 s[10:11], s[18:19], 3
	s_delay_alu instid0(SALU_CYCLE_1)
	s_add_u32 s10, s8, s10
	global_load_b64 v[15:16], v[6:7], off
	s_addc_u32 s11, s9, s11
	s_waitcnt vmcnt(1)
	v_sub_co_u32 v12, vcc_lo, v12, s24
	v_subrev_co_ci_u32_e32 v13, vcc_lo, 0, v13, vcc_lo
	s_delay_alu instid0(VALU_DEP_1) | instskip(SKIP_4) | instid1(VALU_DEP_1)
	v_cmp_gt_i64_e32 vcc_lo, v[12:13], v[2:3]
	v_dual_cndmask_b32 v11, v11, v9 :: v_dual_cndmask_b32 v10, v10, v8
	s_waitcnt vmcnt(0)
	v_sub_co_u32 v8, vcc_lo, v15, s24
	v_subrev_co_ci_u32_e32 v9, vcc_lo, 0, v16, vcc_lo
	v_cmpx_ne_u64_e64 v[8:9], v[10:11]
	s_cbranch_execz .LBB9_85
; %bb.78:
	s_load_b64 s[34:35], s[10:11], 0x0
	s_waitcnt lgkmcnt(0)
	s_sub_u32 s34, s34, s24
	s_subb_u32 s35, s35, 0
	s_delay_alu instid0(SALU_CYCLE_1)
	v_cmp_gt_i64_e32 vcc_lo, s[34:35], v[2:3]
	s_and_b32 exec_lo, exec_lo, vcc_lo
	s_cbranch_execz .LBB9_85
; %bb.79:
	v_cmp_gt_i64_e32 vcc_lo, s[12:13], v[8:9]
	v_cmp_le_i64_e64 s0, s[18:19], v[8:9]
	v_lshlrev_b64 v[10:11], 2, v[10:11]
	s_delay_alu instid0(VALU_DEP_2) | instskip(NEXT) | instid1(SALU_CYCLE_1)
	s_or_b32 s0, vcc_lo, s0
	s_and_saveexec_b32 s29, s0
	s_delay_alu instid0(SALU_CYCLE_1)
	s_xor_b32 s0, exec_lo, s29
	s_cbranch_execz .LBB9_83
; %bb.80:
	v_lshlrev_b64 v[12:13], 2, v[8:9]
	v_add_co_u32 v15, vcc_lo, s14, v10
	v_add_co_ci_u32_e32 v16, vcc_lo, s15, v11, vcc_lo
	s_mov_b32 s29, 0
	s_delay_alu instid0(VALU_DEP_3) | instskip(NEXT) | instid1(VALU_DEP_4)
	v_add_co_u32 v10, vcc_lo, s20, v12
	v_add_co_ci_u32_e32 v11, vcc_lo, s21, v13, vcc_lo
	global_load_b32 v12, v[15:16], off
	global_load_b32 v13, v[10:11], off
	ds_load_b32 v15, v14
	s_waitcnt vmcnt(1) lgkmcnt(0)
	v_mul_f32_e32 v15, v15, v12
.LBB9_81:                               ; =>This Inner Loop Header: Depth=1
	s_waitcnt vmcnt(0)
	s_delay_alu instid0(VALU_DEP_1)
	v_add_f32_e32 v12, v13, v15
	global_atomic_cmpswap_b32 v12, v[10:11], v[12:13], off glc
	s_waitcnt vmcnt(0)
	v_cmp_eq_u32_e32 vcc_lo, v12, v13
	v_mov_b32_e32 v13, v12
	s_or_b32 s29, vcc_lo, s29
	s_delay_alu instid0(SALU_CYCLE_1)
	s_and_not1_b32 exec_lo, exec_lo, s29
	s_cbranch_execnz .LBB9_81
; %bb.82:
	s_or_b32 exec_lo, exec_lo, s29
                                        ; implicit-def: $vgpr10_vgpr11
.LBB9_83:
	s_and_not1_saveexec_b32 s0, s0
	s_cbranch_execz .LBB9_85
; %bb.84:
	v_add_co_u32 v10, vcc_lo, s14, v10
	v_add_co_ci_u32_e32 v11, vcc_lo, s15, v11, vcc_lo
	v_subrev_nc_u32_e32 v12, s12, v8
	global_load_b32 v10, v[10:11], off
	ds_load_b32 v11, v14
	v_lshl_add_u32 v12, v12, 2, 0x1000
	s_waitcnt vmcnt(0) lgkmcnt(0)
	v_mul_f32_e32 v10, v11, v10
	ds_add_f32 v12, v10
.LBB9_85:
	s_or_b32 exec_lo, exec_lo, s25
	v_lshlrev_b64 v[8:9], 2, v[8:9]
	ds_load_b32 v11, v14
	v_mov_b32_e32 v12, s30
	v_cndmask_b32_e64 v15, 0, 1, s7
	v_mov_b32_e32 v13, s31
	v_add_co_u32 v8, vcc_lo, s14, v8
	v_add_co_ci_u32_e32 v9, vcc_lo, s15, v9, vcc_lo
	global_load_b32 v10, v[8:9], off
	v_add_co_u32 v8, vcc_lo, 0x100, v2
	v_add_co_ci_u32_e32 v9, vcc_lo, 0, v3, vcc_lo
	s_and_not1_b32 vcc_lo, exec_lo, s7
	s_waitcnt vmcnt(0) lgkmcnt(0)
	v_mul_f32_e32 v16, v10, v11
	v_dual_mov_b32 v10, s16 :: v_dual_mov_b32 v11, s17
	ds_store_b32 v14, v16
	s_cbranch_vccnz .LBB9_89
; %bb.86:
	v_dual_mov_b32 v10, s16 :: v_dual_mov_b32 v11, s17
	v_dual_mov_b32 v12, s30 :: v_dual_mov_b32 v13, s31
	s_mov_b32 s7, 0
	s_set_inst_prefetch_distance 0x1
	.p2align	6
.LBB9_87:                               ; =>This Inner Loop Header: Depth=1
	s_delay_alu instid0(VALU_DEP_1) | instskip(NEXT) | instid1(VALU_DEP_2)
	v_add_co_u32 v16, vcc_lo, v12, v10
	v_add_co_ci_u32_e32 v17, vcc_lo, v13, v11, vcc_lo
	s_delay_alu instid0(VALU_DEP_1) | instskip(NEXT) | instid1(VALU_DEP_1)
	v_lshrrev_b32_e32 v18, 31, v17
	v_add_co_u32 v16, vcc_lo, v16, v18
	v_add_co_ci_u32_e32 v17, vcc_lo, 0, v17, vcc_lo
	s_delay_alu instid0(VALU_DEP_1) | instskip(NEXT) | instid1(VALU_DEP_1)
	v_ashrrev_i64 v[16:17], 1, v[16:17]
	v_lshlrev_b64 v[18:19], 3, v[16:17]
	s_delay_alu instid0(VALU_DEP_1) | instskip(NEXT) | instid1(VALU_DEP_2)
	v_add_co_u32 v18, vcc_lo, s8, v18
	v_add_co_ci_u32_e32 v19, vcc_lo, s9, v19, vcc_lo
	global_load_b64 v[18:19], v[18:19], off
	s_waitcnt vmcnt(0)
	v_sub_co_u32 v18, vcc_lo, v18, s24
	v_subrev_co_ci_u32_e32 v19, vcc_lo, 0, v19, vcc_lo
	s_delay_alu instid0(VALU_DEP_1) | instskip(SKIP_2) | instid1(VALU_DEP_2)
	v_cmp_gt_i64_e32 vcc_lo, v[18:19], v[8:9]
	v_dual_cndmask_b32 v13, v13, v17 :: v_dual_cndmask_b32 v12, v12, v16
	v_dual_cndmask_b32 v11, v17, v11 :: v_dual_cndmask_b32 v10, v16, v10
	v_add_co_u32 v16, vcc_lo, v12, -1
	s_delay_alu instid0(VALU_DEP_3) | instskip(NEXT) | instid1(VALU_DEP_3)
	v_add_co_ci_u32_e32 v17, vcc_lo, -1, v13, vcc_lo
	v_cmp_ge_i64_e32 vcc_lo, v[10:11], v[12:13]
	s_delay_alu instid0(VALU_DEP_2) | instskip(NEXT) | instid1(VALU_DEP_1)
	v_cmp_eq_u64_e64 s0, v[10:11], v[16:17]
	s_or_b32 s0, vcc_lo, s0
	s_delay_alu instid0(SALU_CYCLE_1) | instskip(NEXT) | instid1(SALU_CYCLE_1)
	s_and_b32 s0, exec_lo, s0
	s_or_b32 s7, s0, s7
	s_delay_alu instid0(SALU_CYCLE_1)
	s_and_not1_b32 exec_lo, exec_lo, s7
	s_cbranch_execnz .LBB9_87
; %bb.88:
	s_set_inst_prefetch_distance 0x2
	s_or_b32 exec_lo, exec_lo, s7
.LBB9_89:
	v_lshlrev_b64 v[16:17], 3, v[12:13]
	s_mov_b32 s7, exec_lo
	s_delay_alu instid0(VALU_DEP_1) | instskip(NEXT) | instid1(VALU_DEP_2)
	v_add_co_u32 v16, vcc_lo, s8, v16
	v_add_co_ci_u32_e32 v17, vcc_lo, s9, v17, vcc_lo
	global_load_b64 v[16:17], v[16:17], off
	global_load_b64 v[18:19], v[6:7], off offset:2048
	s_waitcnt vmcnt(1)
	v_sub_co_u32 v16, vcc_lo, v16, s24
	v_subrev_co_ci_u32_e32 v17, vcc_lo, 0, v17, vcc_lo
	s_delay_alu instid0(VALU_DEP_1) | instskip(SKIP_4) | instid1(VALU_DEP_1)
	v_cmp_gt_i64_e32 vcc_lo, v[16:17], v[8:9]
	v_dual_cndmask_b32 v13, v13, v11 :: v_dual_cndmask_b32 v12, v12, v10
	s_waitcnt vmcnt(0)
	v_sub_co_u32 v10, vcc_lo, v18, s24
	v_subrev_co_ci_u32_e32 v11, vcc_lo, 0, v19, vcc_lo
	v_cmpx_ne_u64_e64 v[10:11], v[12:13]
	s_cbranch_execz .LBB9_97
; %bb.90:
	s_load_b64 s[34:35], s[10:11], 0x0
	s_waitcnt lgkmcnt(0)
	s_sub_u32 s34, s34, s24
	s_subb_u32 s35, s35, 0
	s_delay_alu instid0(SALU_CYCLE_1)
	v_cmp_gt_i64_e32 vcc_lo, s[34:35], v[8:9]
	s_and_b32 exec_lo, exec_lo, vcc_lo
	s_cbranch_execz .LBB9_97
; %bb.91:
	v_cmp_gt_i64_e32 vcc_lo, s[12:13], v[10:11]
	v_cmp_le_i64_e64 s0, s[18:19], v[10:11]
	v_lshlrev_b64 v[8:9], 2, v[12:13]
	s_delay_alu instid0(VALU_DEP_2) | instskip(NEXT) | instid1(SALU_CYCLE_1)
	s_or_b32 s0, vcc_lo, s0
	s_and_saveexec_b32 s25, s0
	s_delay_alu instid0(SALU_CYCLE_1)
	s_xor_b32 s0, exec_lo, s25
	s_cbranch_execz .LBB9_95
; %bb.92:
	v_lshlrev_b64 v[12:13], 2, v[10:11]
	v_add_co_u32 v16, vcc_lo, s14, v8
	v_add_co_ci_u32_e32 v17, vcc_lo, s15, v9, vcc_lo
	s_mov_b32 s25, 0
	s_delay_alu instid0(VALU_DEP_3) | instskip(NEXT) | instid1(VALU_DEP_4)
	v_add_co_u32 v8, vcc_lo, s20, v12
	v_add_co_ci_u32_e32 v9, vcc_lo, s21, v13, vcc_lo
	global_load_b32 v12, v[16:17], off
	global_load_b32 v13, v[8:9], off
	ds_load_b32 v16, v14 offset:1024
	s_waitcnt vmcnt(1) lgkmcnt(0)
	v_mul_f32_e32 v16, v16, v12
.LBB9_93:                               ; =>This Inner Loop Header: Depth=1
	s_waitcnt vmcnt(0)
	s_delay_alu instid0(VALU_DEP_1)
	v_add_f32_e32 v12, v13, v16
	global_atomic_cmpswap_b32 v12, v[8:9], v[12:13], off glc
	s_waitcnt vmcnt(0)
	v_cmp_eq_u32_e32 vcc_lo, v12, v13
	v_mov_b32_e32 v13, v12
	s_or_b32 s25, vcc_lo, s25
	s_delay_alu instid0(SALU_CYCLE_1)
	s_and_not1_b32 exec_lo, exec_lo, s25
	s_cbranch_execnz .LBB9_93
; %bb.94:
	s_or_b32 exec_lo, exec_lo, s25
                                        ; implicit-def: $vgpr8_vgpr9
.LBB9_95:
	s_and_not1_saveexec_b32 s0, s0
	s_cbranch_execz .LBB9_97
; %bb.96:
	v_add_co_u32 v8, vcc_lo, s14, v8
	v_add_co_ci_u32_e32 v9, vcc_lo, s15, v9, vcc_lo
	v_subrev_nc_u32_e32 v12, s12, v10
	global_load_b32 v8, v[8:9], off
	ds_load_b32 v9, v14 offset:1024
	v_lshl_add_u32 v12, v12, 2, 0x1000
	s_waitcnt vmcnt(0) lgkmcnt(0)
	v_mul_f32_e32 v8, v9, v8
	ds_add_f32 v12, v8
.LBB9_97:
	s_or_b32 exec_lo, exec_lo, s7
	v_lshlrev_b64 v[8:9], 2, v[10:11]
	ds_load_b32 v11, v14 offset:1024
	v_dual_mov_b32 v12, s30 :: v_dual_mov_b32 v13, s31
	v_add_co_u32 v8, vcc_lo, s14, v8
	v_add_co_ci_u32_e32 v9, vcc_lo, s15, v9, vcc_lo
	global_load_b32 v10, v[8:9], off
	v_add_co_u32 v8, vcc_lo, 0x200, v2
	v_add_co_ci_u32_e32 v9, vcc_lo, 0, v3, vcc_lo
	v_cmp_ne_u32_e32 vcc_lo, 1, v15
	s_and_b32 vcc_lo, exec_lo, vcc_lo
	s_waitcnt vmcnt(0) lgkmcnt(0)
	v_mul_f32_e32 v2, v10, v11
	v_dual_mov_b32 v10, s16 :: v_dual_mov_b32 v11, s17
	ds_store_b32 v14, v2 offset:1024
	s_cbranch_vccnz .LBB9_101
; %bb.98:
	v_dual_mov_b32 v10, s16 :: v_dual_mov_b32 v11, s17
	v_dual_mov_b32 v12, s30 :: v_dual_mov_b32 v13, s31
	s_mov_b32 s7, 0
	s_set_inst_prefetch_distance 0x1
	.p2align	6
.LBB9_99:                               ; =>This Inner Loop Header: Depth=1
	s_delay_alu instid0(VALU_DEP_1) | instskip(NEXT) | instid1(VALU_DEP_2)
	v_add_co_u32 v2, vcc_lo, v12, v10
	v_add_co_ci_u32_e32 v3, vcc_lo, v13, v11, vcc_lo
	s_delay_alu instid0(VALU_DEP_1) | instskip(NEXT) | instid1(VALU_DEP_1)
	v_lshrrev_b32_e32 v16, 31, v3
	v_add_co_u32 v2, vcc_lo, v2, v16
	v_add_co_ci_u32_e32 v3, vcc_lo, 0, v3, vcc_lo
	s_delay_alu instid0(VALU_DEP_1) | instskip(NEXT) | instid1(VALU_DEP_1)
	v_ashrrev_i64 v[2:3], 1, v[2:3]
	v_lshlrev_b64 v[16:17], 3, v[2:3]
	s_delay_alu instid0(VALU_DEP_1) | instskip(NEXT) | instid1(VALU_DEP_2)
	v_add_co_u32 v16, vcc_lo, s8, v16
	v_add_co_ci_u32_e32 v17, vcc_lo, s9, v17, vcc_lo
	global_load_b64 v[16:17], v[16:17], off
	s_waitcnt vmcnt(0)
	v_sub_co_u32 v16, vcc_lo, v16, s24
	v_subrev_co_ci_u32_e32 v17, vcc_lo, 0, v17, vcc_lo
	s_delay_alu instid0(VALU_DEP_1) | instskip(SKIP_2) | instid1(VALU_DEP_2)
	v_cmp_gt_i64_e32 vcc_lo, v[16:17], v[8:9]
	v_dual_cndmask_b32 v13, v13, v3 :: v_dual_cndmask_b32 v12, v12, v2
	v_dual_cndmask_b32 v11, v3, v11 :: v_dual_cndmask_b32 v10, v2, v10
	v_add_co_u32 v2, vcc_lo, v12, -1
	s_delay_alu instid0(VALU_DEP_3) | instskip(NEXT) | instid1(VALU_DEP_3)
	v_add_co_ci_u32_e32 v3, vcc_lo, -1, v13, vcc_lo
	v_cmp_ge_i64_e32 vcc_lo, v[10:11], v[12:13]
	s_delay_alu instid0(VALU_DEP_2) | instskip(NEXT) | instid1(VALU_DEP_1)
	v_cmp_eq_u64_e64 s0, v[10:11], v[2:3]
	s_or_b32 s0, vcc_lo, s0
	s_delay_alu instid0(SALU_CYCLE_1) | instskip(NEXT) | instid1(SALU_CYCLE_1)
	s_and_b32 s0, exec_lo, s0
	s_or_b32 s7, s0, s7
	s_delay_alu instid0(SALU_CYCLE_1)
	s_and_not1_b32 exec_lo, exec_lo, s7
	s_cbranch_execnz .LBB9_99
; %bb.100:
	s_set_inst_prefetch_distance 0x2
	s_or_b32 exec_lo, exec_lo, s7
.LBB9_101:
	v_lshlrev_b64 v[2:3], 3, v[12:13]
	s_mov_b32 s7, exec_lo
	s_delay_alu instid0(VALU_DEP_1) | instskip(NEXT) | instid1(VALU_DEP_2)
	v_add_co_u32 v2, vcc_lo, s8, v2
	v_add_co_ci_u32_e32 v3, vcc_lo, s9, v3, vcc_lo
	global_load_b64 v[16:17], v[2:3], off
	v_add_co_u32 v2, vcc_lo, 0x1000, v6
	v_add_co_ci_u32_e32 v3, vcc_lo, 0, v7, vcc_lo
	global_load_b64 v[6:7], v[2:3], off
	s_waitcnt vmcnt(1)
	v_sub_co_u32 v16, vcc_lo, v16, s24
	v_subrev_co_ci_u32_e32 v17, vcc_lo, 0, v17, vcc_lo
	s_delay_alu instid0(VALU_DEP_1) | instskip(SKIP_4) | instid1(VALU_DEP_1)
	v_cmp_gt_i64_e32 vcc_lo, v[16:17], v[8:9]
	v_dual_cndmask_b32 v11, v13, v11 :: v_dual_cndmask_b32 v10, v12, v10
	s_waitcnt vmcnt(0)
	v_sub_co_u32 v6, vcc_lo, v6, s24
	v_subrev_co_ci_u32_e32 v7, vcc_lo, 0, v7, vcc_lo
	v_cmpx_ne_u64_e64 v[6:7], v[10:11]
	s_cbranch_execz .LBB9_109
; %bb.102:
	s_load_b64 s[34:35], s[10:11], 0x0
	s_waitcnt lgkmcnt(0)
	s_sub_u32 s34, s34, s24
	s_subb_u32 s35, s35, 0
	s_delay_alu instid0(SALU_CYCLE_1)
	v_cmp_gt_i64_e32 vcc_lo, s[34:35], v[8:9]
	s_and_b32 exec_lo, exec_lo, vcc_lo
	s_cbranch_execz .LBB9_109
; %bb.103:
	v_cmp_gt_i64_e32 vcc_lo, s[12:13], v[6:7]
	v_cmp_le_i64_e64 s0, s[18:19], v[6:7]
	v_lshlrev_b64 v[8:9], 2, v[10:11]
	s_delay_alu instid0(VALU_DEP_2) | instskip(NEXT) | instid1(SALU_CYCLE_1)
	s_or_b32 s0, vcc_lo, s0
	s_and_saveexec_b32 s25, s0
	s_delay_alu instid0(SALU_CYCLE_1)
	s_xor_b32 s0, exec_lo, s25
	s_cbranch_execz .LBB9_107
; %bb.104:
	v_lshlrev_b64 v[10:11], 2, v[6:7]
	v_add_co_u32 v12, vcc_lo, s14, v8
	v_add_co_ci_u32_e32 v13, vcc_lo, s15, v9, vcc_lo
	s_mov_b32 s25, 0
	s_delay_alu instid0(VALU_DEP_3) | instskip(NEXT) | instid1(VALU_DEP_4)
	v_add_co_u32 v8, vcc_lo, s20, v10
	v_add_co_ci_u32_e32 v9, vcc_lo, s21, v11, vcc_lo
	global_load_b32 v10, v[12:13], off
	global_load_b32 v11, v[8:9], off
	ds_load_b32 v12, v14 offset:2048
	s_waitcnt vmcnt(1) lgkmcnt(0)
	v_mul_f32_e32 v12, v12, v10
.LBB9_105:                              ; =>This Inner Loop Header: Depth=1
	s_waitcnt vmcnt(0)
	s_delay_alu instid0(VALU_DEP_1)
	v_add_f32_e32 v10, v11, v12
	global_atomic_cmpswap_b32 v10, v[8:9], v[10:11], off glc
	s_waitcnt vmcnt(0)
	v_cmp_eq_u32_e32 vcc_lo, v10, v11
	v_mov_b32_e32 v11, v10
	s_or_b32 s25, vcc_lo, s25
	s_delay_alu instid0(SALU_CYCLE_1)
	s_and_not1_b32 exec_lo, exec_lo, s25
	s_cbranch_execnz .LBB9_105
; %bb.106:
	s_or_b32 exec_lo, exec_lo, s25
                                        ; implicit-def: $vgpr8_vgpr9
.LBB9_107:
	s_and_not1_saveexec_b32 s0, s0
	s_cbranch_execz .LBB9_109
; %bb.108:
	v_add_co_u32 v8, vcc_lo, s14, v8
	v_add_co_ci_u32_e32 v9, vcc_lo, s15, v9, vcc_lo
	v_subrev_nc_u32_e32 v10, s12, v6
	global_load_b32 v8, v[8:9], off
	ds_load_b32 v9, v14 offset:2048
	v_lshl_add_u32 v10, v10, 2, 0x1000
	s_waitcnt vmcnt(0) lgkmcnt(0)
	v_mul_f32_e32 v8, v9, v8
	ds_add_f32 v10, v8
.LBB9_109:
	s_or_b32 exec_lo, exec_lo, s7
	v_lshlrev_b64 v[6:7], 2, v[6:7]
	v_dual_mov_b32 v8, s30 :: v_dual_mov_b32 v9, s31
	s_delay_alu instid0(VALU_DEP_2) | instskip(NEXT) | instid1(VALU_DEP_3)
	v_add_co_u32 v6, vcc_lo, s14, v6
	v_add_co_ci_u32_e32 v7, vcc_lo, s15, v7, vcc_lo
	v_cmp_ne_u32_e32 vcc_lo, 1, v15
	global_load_b32 v6, v[6:7], off
	ds_load_b32 v7, v14 offset:2048
	s_and_b32 vcc_lo, exec_lo, vcc_lo
	s_waitcnt vmcnt(0) lgkmcnt(0)
	v_mul_f32_e32 v10, v6, v7
	v_dual_mov_b32 v6, s16 :: v_dual_mov_b32 v7, s17
	ds_store_b32 v14, v10 offset:2048
	s_cbranch_vccnz .LBB9_113
; %bb.110:
	v_dual_mov_b32 v6, s16 :: v_dual_mov_b32 v7, s17
	v_dual_mov_b32 v8, s30 :: v_dual_mov_b32 v9, s31
	s_mov_b32 s7, 0
	s_set_inst_prefetch_distance 0x1
	.p2align	6
.LBB9_111:                              ; =>This Inner Loop Header: Depth=1
	s_delay_alu instid0(VALU_DEP_1) | instskip(NEXT) | instid1(VALU_DEP_2)
	v_add_co_u32 v10, vcc_lo, v8, v6
	v_add_co_ci_u32_e32 v11, vcc_lo, v9, v7, vcc_lo
	s_delay_alu instid0(VALU_DEP_1) | instskip(NEXT) | instid1(VALU_DEP_1)
	v_lshrrev_b32_e32 v12, 31, v11
	v_add_co_u32 v10, vcc_lo, v10, v12
	v_add_co_ci_u32_e32 v11, vcc_lo, 0, v11, vcc_lo
	s_delay_alu instid0(VALU_DEP_1) | instskip(NEXT) | instid1(VALU_DEP_1)
	v_ashrrev_i64 v[10:11], 1, v[10:11]
	v_lshlrev_b64 v[12:13], 3, v[10:11]
	s_delay_alu instid0(VALU_DEP_1) | instskip(NEXT) | instid1(VALU_DEP_2)
	v_add_co_u32 v12, vcc_lo, s8, v12
	v_add_co_ci_u32_e32 v13, vcc_lo, s9, v13, vcc_lo
	global_load_b64 v[12:13], v[12:13], off
	s_waitcnt vmcnt(0)
	v_sub_co_u32 v12, vcc_lo, v12, s24
	v_subrev_co_ci_u32_e32 v13, vcc_lo, 0, v13, vcc_lo
	s_delay_alu instid0(VALU_DEP_1) | instskip(SKIP_2) | instid1(VALU_DEP_2)
	v_cmp_gt_i64_e32 vcc_lo, v[12:13], v[4:5]
	v_dual_cndmask_b32 v9, v9, v11 :: v_dual_cndmask_b32 v8, v8, v10
	v_dual_cndmask_b32 v7, v11, v7 :: v_dual_cndmask_b32 v6, v10, v6
	v_add_co_u32 v10, vcc_lo, v8, -1
	s_delay_alu instid0(VALU_DEP_3) | instskip(NEXT) | instid1(VALU_DEP_3)
	v_add_co_ci_u32_e32 v11, vcc_lo, -1, v9, vcc_lo
	v_cmp_ge_i64_e32 vcc_lo, v[6:7], v[8:9]
	s_delay_alu instid0(VALU_DEP_2) | instskip(NEXT) | instid1(VALU_DEP_1)
	v_cmp_eq_u64_e64 s0, v[6:7], v[10:11]
	s_or_b32 s0, vcc_lo, s0
	s_delay_alu instid0(SALU_CYCLE_1) | instskip(NEXT) | instid1(SALU_CYCLE_1)
	s_and_b32 s0, exec_lo, s0
	s_or_b32 s7, s0, s7
	s_delay_alu instid0(SALU_CYCLE_1)
	s_and_not1_b32 exec_lo, exec_lo, s7
	s_cbranch_execnz .LBB9_111
; %bb.112:
	s_set_inst_prefetch_distance 0x2
	s_or_b32 exec_lo, exec_lo, s7
.LBB9_113:
	v_lshlrev_b64 v[10:11], 3, v[8:9]
	s_mov_b32 s7, exec_lo
	s_delay_alu instid0(VALU_DEP_1) | instskip(NEXT) | instid1(VALU_DEP_2)
	v_add_co_u32 v10, vcc_lo, s8, v10
	v_add_co_ci_u32_e32 v11, vcc_lo, s9, v11, vcc_lo
	global_load_b64 v[10:11], v[10:11], off
	global_load_b64 v[2:3], v[2:3], off offset:2048
	s_waitcnt vmcnt(1)
	v_sub_co_u32 v10, vcc_lo, v10, s24
	v_subrev_co_ci_u32_e32 v11, vcc_lo, 0, v11, vcc_lo
	s_delay_alu instid0(VALU_DEP_1) | instskip(SKIP_4) | instid1(VALU_DEP_1)
	v_cmp_gt_i64_e32 vcc_lo, v[10:11], v[4:5]
	v_dual_cndmask_b32 v7, v9, v7 :: v_dual_cndmask_b32 v6, v8, v6
	s_waitcnt vmcnt(0)
	v_sub_co_u32 v2, vcc_lo, v2, s24
	v_subrev_co_ci_u32_e32 v3, vcc_lo, 0, v3, vcc_lo
	v_cmpx_ne_u64_e64 v[2:3], v[6:7]
	s_cbranch_execz .LBB9_121
; %bb.114:
	s_load_b64 s[10:11], s[10:11], 0x0
	s_waitcnt lgkmcnt(0)
	s_sub_u32 s10, s10, s24
	s_subb_u32 s11, s11, 0
	s_delay_alu instid0(SALU_CYCLE_1)
	v_cmp_gt_i64_e32 vcc_lo, s[10:11], v[4:5]
	s_and_b32 exec_lo, exec_lo, vcc_lo
	s_cbranch_execz .LBB9_121
; %bb.115:
	v_cmp_gt_i64_e32 vcc_lo, s[12:13], v[2:3]
	v_cmp_le_i64_e64 s0, s[18:19], v[2:3]
	v_lshlrev_b64 v[4:5], 2, v[6:7]
	s_delay_alu instid0(VALU_DEP_2) | instskip(NEXT) | instid1(SALU_CYCLE_1)
	s_or_b32 s0, vcc_lo, s0
	s_and_saveexec_b32 s10, s0
	s_delay_alu instid0(SALU_CYCLE_1)
	s_xor_b32 s0, exec_lo, s10
	s_cbranch_execz .LBB9_119
; %bb.116:
	v_lshlrev_b64 v[6:7], 2, v[2:3]
	v_add_co_u32 v8, vcc_lo, s14, v4
	v_add_co_ci_u32_e32 v9, vcc_lo, s15, v5, vcc_lo
	s_mov_b32 s10, 0
	s_delay_alu instid0(VALU_DEP_3) | instskip(NEXT) | instid1(VALU_DEP_4)
	v_add_co_u32 v4, vcc_lo, s20, v6
	v_add_co_ci_u32_e32 v5, vcc_lo, s21, v7, vcc_lo
	global_load_b32 v6, v[8:9], off
	global_load_b32 v7, v[4:5], off
	ds_load_b32 v8, v14 offset:3072
	s_waitcnt vmcnt(1) lgkmcnt(0)
	v_mul_f32_e32 v8, v8, v6
.LBB9_117:                              ; =>This Inner Loop Header: Depth=1
	s_waitcnt vmcnt(0)
	s_delay_alu instid0(VALU_DEP_1)
	v_add_f32_e32 v6, v7, v8
	global_atomic_cmpswap_b32 v6, v[4:5], v[6:7], off glc
	s_waitcnt vmcnt(0)
	v_cmp_eq_u32_e32 vcc_lo, v6, v7
	v_mov_b32_e32 v7, v6
	s_or_b32 s10, vcc_lo, s10
	s_delay_alu instid0(SALU_CYCLE_1)
	s_and_not1_b32 exec_lo, exec_lo, s10
	s_cbranch_execnz .LBB9_117
; %bb.118:
	s_or_b32 exec_lo, exec_lo, s10
                                        ; implicit-def: $vgpr4_vgpr5
.LBB9_119:
	s_and_not1_saveexec_b32 s0, s0
	s_cbranch_execz .LBB9_121
; %bb.120:
	v_add_co_u32 v4, vcc_lo, s14, v4
	v_add_co_ci_u32_e32 v5, vcc_lo, s15, v5, vcc_lo
	v_subrev_nc_u32_e32 v6, s12, v2
	global_load_b32 v4, v[4:5], off
	ds_load_b32 v5, v14 offset:3072
	v_lshl_add_u32 v6, v6, 2, 0x1000
	s_waitcnt vmcnt(0) lgkmcnt(0)
	v_mul_f32_e32 v4, v5, v4
	ds_add_f32 v6, v4
.LBB9_121:
	s_or_b32 exec_lo, exec_lo, s7
	v_lshlrev_b64 v[2:3], 2, v[2:3]
	s_delay_alu instid0(VALU_DEP_1) | instskip(NEXT) | instid1(VALU_DEP_2)
	v_add_co_u32 v2, vcc_lo, s14, v2
	v_add_co_ci_u32_e32 v3, vcc_lo, s15, v3, vcc_lo
	global_load_b32 v2, v[2:3], off
	ds_load_b32 v3, v14 offset:3072
	s_waitcnt vmcnt(0) lgkmcnt(0)
	v_mul_f32_e32 v2, v2, v3
	ds_store_b32 v14, v2 offset:3072
.LBB9_122:
	s_or_b32 exec_lo, exec_lo, s1
	v_cmp_lt_i64_e64 s0, s[18:19], s[2:3]
	s_waitcnt lgkmcnt(0)
	s_barrier
	buffer_gl0_inv
	s_and_b32 s0, s0, exec_lo
	s_cselect_b32 s1, s18, s2
	s_cselect_b32 s0, s19, s3
	s_sub_u32 s2, s1, s22
	s_subb_u32 s3, s0, s23
	s_mov_b32 s0, exec_lo
	v_cmpx_gt_i64_e64 s[2:3], v[0:1]
	s_cbranch_execz .LBB9_127
; %bb.123:
	s_lshl_b64 s[10:11], s[12:13], 2
	v_dual_mov_b32 v3, v1 :: v_dual_mov_b32 v2, v0
	s_add_u32 s7, s20, s10
	s_addc_u32 s10, s21, s11
	s_mov_b32 s11, 0
	.p2align	6
.LBB9_124:                              ; =>This Loop Header: Depth=1
                                        ;     Child Loop BB9_125 Depth 2
	s_delay_alu instid0(VALU_DEP_1)
	v_lshlrev_b64 v[4:5], 2, v[2:3]
	v_lshl_add_u32 v6, v2, 2, 0x1000
	s_mov_b32 s12, 0
	ds_load_b32 v8, v6
	v_add_co_u32 v4, vcc_lo, s7, v4
	v_add_co_ci_u32_e32 v5, vcc_lo, s10, v5, vcc_lo
	global_load_b32 v7, v[4:5], off
.LBB9_125:                              ;   Parent Loop BB9_124 Depth=1
                                        ; =>  This Inner Loop Header: Depth=2
	s_waitcnt vmcnt(0) lgkmcnt(0)
	v_add_f32_e32 v6, v7, v8
	global_atomic_cmpswap_b32 v6, v[4:5], v[6:7], off glc
	s_waitcnt vmcnt(0)
	v_cmp_eq_u32_e32 vcc_lo, v6, v7
	v_mov_b32_e32 v7, v6
	s_or_b32 s12, vcc_lo, s12
	s_delay_alu instid0(SALU_CYCLE_1)
	s_and_not1_b32 exec_lo, exec_lo, s12
	s_cbranch_execnz .LBB9_125
; %bb.126:                              ;   in Loop: Header=BB9_124 Depth=1
	s_or_b32 exec_lo, exec_lo, s12
	v_add_co_u32 v2, vcc_lo, 0x100, v2
	v_add_co_ci_u32_e32 v3, vcc_lo, 0, v3, vcc_lo
	s_delay_alu instid0(VALU_DEP_1) | instskip(SKIP_1) | instid1(SALU_CYCLE_1)
	v_cmp_le_i64_e32 vcc_lo, s[2:3], v[2:3]
	s_or_b32 s11, vcc_lo, s11
	s_and_not1_b32 exec_lo, exec_lo, s11
	s_cbranch_execnz .LBB9_124
.LBB9_127:
	s_or_b32 exec_lo, exec_lo, s0
	s_add_i32 s0, s28, -1
	v_add_co_u32 v6, s10, s16, v0
	s_ashr_i32 s3, s0, 1
	v_add_co_ci_u32_e64 v7, null, s17, 0, s10
	s_or_b32 s0, s3, s0
	s_delay_alu instid0(SALU_CYCLE_1) | instskip(SKIP_4) | instid1(SALU_CYCLE_1)
	s_ashr_i32 s3, s0, 2
	s_barrier
	s_or_b32 s0, s3, s0
	buffer_gl0_inv
	s_ashr_i32 s3, s0, 4
	s_or_b32 s0, s3, s0
	s_delay_alu instid0(SALU_CYCLE_1) | instskip(NEXT) | instid1(SALU_CYCLE_1)
	s_ashr_i32 s3, s0, 8
	s_or_b32 s0, s3, s0
	s_delay_alu instid0(SALU_CYCLE_1) | instskip(NEXT) | instid1(SALU_CYCLE_1)
	s_ashr_i32 s3, s0, 16
	s_or_b32 s3, s3, s0
	s_mov_b32 s0, -1
	s_add_i32 s3, s3, 1
	s_delay_alu instid0(SALU_CYCLE_1) | instskip(NEXT) | instid1(SALU_CYCLE_1)
	s_ashr_i32 s7, s3, 1
	s_cmp_gt_i32 s7, 1
	s_cbranch_scc1 .LBB9_138
; %bb.128:
	s_mov_b32 s0, exec_lo
	v_cmpx_gt_i64_e64 s[18:19], v[6:7]
	s_cbranch_execz .LBB9_137
; %bb.129:
	s_sub_i32 s1, s1, s18
	v_dual_mov_b32 v9, v7 :: v_dual_mov_b32 v8, v6
	s_lshl_b32 s11, s4, 2
	s_lshl_b32 s1, s1, 2
	s_mov_b32 s10, 0
	s_addk_i32 s1, 0x1000
	s_sub_i32 s11, 0, s11
.LBB9_130:                              ; =>This Loop Header: Depth=1
                                        ;     Child Loop BB9_132 Depth 2
                                        ;     Child Loop BB9_135 Depth 2
	v_lshlrev_b64 v[2:3], 3, v[8:9]
	v_mov_b32_e32 v12, 0
	s_mov_b32 s12, exec_lo
	s_delay_alu instid0(VALU_DEP_2) | instskip(NEXT) | instid1(VALU_DEP_3)
	v_add_co_u32 v2, vcc_lo, s8, v2
	v_add_co_ci_u32_e32 v3, vcc_lo, s9, v3, vcc_lo
	global_load_b128 v[2:5], v[2:3], off
	s_waitcnt vmcnt(0)
	v_cmpx_lt_i64_e64 v[2:3], v[4:5]
	s_cbranch_execz .LBB9_134
; %bb.131:                              ;   in Loop: Header=BB9_130 Depth=1
	v_sub_co_u32 v4, vcc_lo, v4, s4
	v_subrev_co_ci_u32_e32 v5, vcc_lo, s5, v5, vcc_lo
	v_sub_co_u32 v10, vcc_lo, v2, s4
	v_subrev_co_ci_u32_e32 v11, vcc_lo, s5, v3, vcc_lo
	v_lshl_add_u32 v2, v2, 2, s11
	v_mov_b32_e32 v12, 0
	s_mov_b32 s13, 0
.LBB9_132:                              ;   Parent Loop BB9_130 Depth=1
                                        ; =>  This Inner Loop Header: Depth=2
	ds_load_b32 v3, v2
	v_add_co_u32 v10, vcc_lo, v10, 1
	v_add_co_ci_u32_e32 v11, vcc_lo, 0, v11, vcc_lo
	v_add_nc_u32_e32 v2, 4, v2
	s_delay_alu instid0(VALU_DEP_2)
	v_cmp_ge_i64_e32 vcc_lo, v[10:11], v[4:5]
	s_or_b32 s13, vcc_lo, s13
	s_waitcnt lgkmcnt(0)
	v_add_f32_e32 v12, v12, v3
	s_and_not1_b32 exec_lo, exec_lo, s13
	s_cbranch_execnz .LBB9_132
; %bb.133:                              ;   in Loop: Header=BB9_130 Depth=1
	s_or_b32 exec_lo, exec_lo, s13
.LBB9_134:                              ;   in Loop: Header=BB9_130 Depth=1
	s_delay_alu instid0(SALU_CYCLE_1)
	s_or_b32 exec_lo, exec_lo, s12
	v_lshlrev_b64 v[2:3], 2, v[8:9]
	v_lshl_add_u32 v4, v8, 2, s1
	s_mov_b32 s12, 0
	ds_load_b32 v4, v4
	v_add_co_u32 v2, vcc_lo, s20, v2
	v_add_co_ci_u32_e32 v3, vcc_lo, s21, v3, vcc_lo
	global_load_b32 v5, v[2:3], off
	s_waitcnt lgkmcnt(0)
	v_add_f32_e32 v10, v12, v4
.LBB9_135:                              ;   Parent Loop BB9_130 Depth=1
                                        ; =>  This Inner Loop Header: Depth=2
	s_waitcnt vmcnt(0)
	s_delay_alu instid0(VALU_DEP_1)
	v_add_f32_e32 v4, v5, v10
	global_atomic_cmpswap_b32 v4, v[2:3], v[4:5], off glc
	s_waitcnt vmcnt(0)
	v_cmp_eq_u32_e32 vcc_lo, v4, v5
	v_mov_b32_e32 v5, v4
	s_or_b32 s12, vcc_lo, s12
	s_delay_alu instid0(SALU_CYCLE_1)
	s_and_not1_b32 exec_lo, exec_lo, s12
	s_cbranch_execnz .LBB9_135
; %bb.136:                              ;   in Loop: Header=BB9_130 Depth=1
	s_or_b32 exec_lo, exec_lo, s12
	v_add_co_u32 v8, vcc_lo, v8, s6
	v_add_co_ci_u32_e32 v9, vcc_lo, 0, v9, vcc_lo
	s_delay_alu instid0(VALU_DEP_1) | instskip(SKIP_1) | instid1(SALU_CYCLE_1)
	v_cmp_le_i64_e32 vcc_lo, s[18:19], v[8:9]
	s_or_b32 s10, vcc_lo, s10
	s_and_not1_b32 exec_lo, exec_lo, s10
	s_cbranch_execnz .LBB9_130
.LBB9_137:
	s_or_b32 exec_lo, exec_lo, s0
	s_mov_b32 s0, 0
.LBB9_138:
	s_delay_alu instid0(SALU_CYCLE_1)
	s_and_not1_b32 vcc_lo, exec_lo, s0
	s_cbranch_vccnz .LBB9_167
; %bb.139:
	v_cvt_f32_u32_e32 v13, s7
	s_sub_i32 s1, 0, s7
	v_mov_b32_e32 v11, 0
	s_delay_alu instid0(VALU_DEP_2) | instskip(SKIP_2) | instid1(VALU_DEP_1)
	v_rcp_iflag_f32_e32 v2, v13
	s_waitcnt_depctr 0xfff
	v_mul_f32_e32 v2, 0x4f7ffffe, v2
	v_cvt_u32_f32_e32 v2, v2
	s_delay_alu instid0(VALU_DEP_1) | instskip(NEXT) | instid1(VALU_DEP_1)
	v_mul_lo_u32 v3, s1, v2
	v_mul_hi_u32 v3, v2, v3
	s_delay_alu instid0(VALU_DEP_1) | instskip(NEXT) | instid1(VALU_DEP_1)
	v_add_nc_u32_e32 v2, v2, v3
	v_mul_hi_u32 v2, v0, v2
	s_delay_alu instid0(VALU_DEP_1) | instskip(SKIP_1) | instid1(VALU_DEP_2)
	v_mul_lo_u32 v3, v2, s7
	v_add_nc_u32_e32 v4, 1, v2
	v_sub_nc_u32_e32 v3, v0, v3
	s_delay_alu instid0(VALU_DEP_1) | instskip(SKIP_1) | instid1(VALU_DEP_2)
	v_subrev_nc_u32_e32 v5, s7, v3
	v_cmp_le_u32_e32 vcc_lo, s7, v3
	v_dual_cndmask_b32 v2, v2, v4 :: v_dual_cndmask_b32 v3, v3, v5
	s_delay_alu instid0(VALU_DEP_1) | instskip(NEXT) | instid1(VALU_DEP_2)
	v_add_nc_u32_e32 v4, 1, v2
	v_cmp_le_u32_e32 vcc_lo, s7, v3
	s_delay_alu instid0(VALU_DEP_2) | instskip(NEXT) | instid1(VALU_DEP_1)
	v_cndmask_b32_e32 v10, v2, v4, vcc_lo
	v_lshlrev_b64 v[2:3], 3, v[10:11]
	s_delay_alu instid0(VALU_DEP_1) | instskip(NEXT) | instid1(VALU_DEP_2)
	v_add_co_u32 v2, vcc_lo, s26, v2
	v_add_co_ci_u32_e32 v3, vcc_lo, s27, v3, vcc_lo
	global_load_b128 v[2:5], v[2:3], off
	s_waitcnt vmcnt(0)
	v_sub_co_u32 v8, vcc_lo, v2, s4
	v_subrev_co_ci_u32_e32 v9, vcc_lo, s5, v3, vcc_lo
	v_sub_co_u32 v15, vcc_lo, v4, s4
	v_subrev_co_ci_u32_e32 v16, vcc_lo, s5, v5, vcc_lo
	v_mov_b32_e32 v4, v11
	s_delay_alu instid0(VALU_DEP_3) | instskip(NEXT) | instid1(VALU_DEP_3)
	v_sub_co_u32 v12, vcc_lo, v15, v8
	v_sub_co_ci_u32_e32 v5, vcc_lo, v16, v9, vcc_lo
	s_delay_alu instid0(VALU_DEP_1) | instskip(SKIP_1) | instid1(SALU_CYCLE_1)
	v_cmp_ne_u64_e32 vcc_lo, 0, v[4:5]
                                        ; implicit-def: $vgpr3_vgpr4
	s_and_saveexec_b32 s0, vcc_lo
	s_xor_b32 s5, exec_lo, s0
	s_cbranch_execz .LBB9_141
; %bb.140:
	v_cvt_f32_ubyte0_e32 v3, 0
	s_sub_u32 s0, 0, s7
	s_subb_u32 s6, 0, 0
	s_delay_alu instid0(VALU_DEP_1) | instskip(NEXT) | instid1(VALU_DEP_1)
	v_fmamk_f32 v3, v3, 0x4f800000, v13
	v_rcp_f32_e32 v3, v3
	s_waitcnt_depctr 0xfff
	v_mul_f32_e32 v3, 0x5f7ffffc, v3
	s_delay_alu instid0(VALU_DEP_1) | instskip(NEXT) | instid1(VALU_DEP_1)
	v_mul_f32_e32 v4, 0x2f800000, v3
	v_trunc_f32_e32 v4, v4
	s_delay_alu instid0(VALU_DEP_1) | instskip(SKIP_1) | instid1(VALU_DEP_2)
	v_fmamk_f32 v3, v4, 0xcf800000, v3
	v_cvt_u32_f32_e32 v4, v4
	v_cvt_u32_f32_e32 v3, v3
	s_delay_alu instid0(VALU_DEP_2) | instskip(NEXT) | instid1(VALU_DEP_2)
	v_mul_lo_u32 v13, s0, v4
	v_mul_hi_u32 v17, s0, v3
	v_mul_lo_u32 v18, s6, v3
	s_delay_alu instid0(VALU_DEP_2) | instskip(SKIP_1) | instid1(VALU_DEP_2)
	v_add_nc_u32_e32 v13, v17, v13
	v_mul_lo_u32 v17, s0, v3
	v_add_nc_u32_e32 v13, v13, v18
	s_delay_alu instid0(VALU_DEP_2) | instskip(NEXT) | instid1(VALU_DEP_2)
	v_mul_hi_u32 v18, v3, v17
	v_mul_lo_u32 v19, v3, v13
	v_mul_hi_u32 v20, v3, v13
	v_mul_hi_u32 v21, v4, v17
	v_mul_lo_u32 v17, v4, v17
	v_mul_hi_u32 v22, v4, v13
	v_mul_lo_u32 v13, v4, v13
	v_add_co_u32 v18, vcc_lo, v18, v19
	v_add_co_ci_u32_e32 v19, vcc_lo, 0, v20, vcc_lo
	s_delay_alu instid0(VALU_DEP_2) | instskip(NEXT) | instid1(VALU_DEP_2)
	v_add_co_u32 v17, vcc_lo, v18, v17
	v_add_co_ci_u32_e32 v17, vcc_lo, v19, v21, vcc_lo
	v_add_co_ci_u32_e32 v18, vcc_lo, 0, v22, vcc_lo
	v_ashrrev_i32_e32 v21, 31, v5
	s_delay_alu instid0(VALU_DEP_3) | instskip(NEXT) | instid1(VALU_DEP_3)
	v_add_co_u32 v13, vcc_lo, v17, v13
	v_add_co_ci_u32_e32 v17, vcc_lo, 0, v18, vcc_lo
	s_delay_alu instid0(VALU_DEP_2) | instskip(NEXT) | instid1(VALU_DEP_2)
	v_add_co_u32 v3, vcc_lo, v3, v13
	v_add_co_ci_u32_e32 v4, vcc_lo, v4, v17, vcc_lo
	s_delay_alu instid0(VALU_DEP_2) | instskip(SKIP_1) | instid1(VALU_DEP_3)
	v_mul_hi_u32 v13, s0, v3
	v_mul_lo_u32 v18, s6, v3
	v_mul_lo_u32 v17, s0, v4
	s_delay_alu instid0(VALU_DEP_1) | instskip(SKIP_1) | instid1(VALU_DEP_2)
	v_add_nc_u32_e32 v13, v13, v17
	v_mul_lo_u32 v17, s0, v3
	v_add_nc_u32_e32 v13, v13, v18
	s_delay_alu instid0(VALU_DEP_2) | instskip(NEXT) | instid1(VALU_DEP_2)
	v_mul_hi_u32 v18, v3, v17
	v_mul_lo_u32 v19, v3, v13
	v_mul_hi_u32 v20, v3, v13
	v_mul_hi_u32 v22, v4, v17
	v_mul_lo_u32 v17, v4, v17
	v_mul_hi_u32 v23, v4, v13
	v_mul_lo_u32 v13, v4, v13
	v_add_co_u32 v18, vcc_lo, v18, v19
	v_add_co_ci_u32_e32 v19, vcc_lo, 0, v20, vcc_lo
	s_delay_alu instid0(VALU_DEP_2) | instskip(NEXT) | instid1(VALU_DEP_2)
	v_add_co_u32 v17, vcc_lo, v18, v17
	v_add_co_ci_u32_e32 v17, vcc_lo, v19, v22, vcc_lo
	v_add_co_ci_u32_e32 v18, vcc_lo, 0, v23, vcc_lo
	v_add_co_u32 v12, vcc_lo, v12, v21
	v_add_co_ci_u32_e32 v5, vcc_lo, v5, v21, vcc_lo
	s_delay_alu instid0(VALU_DEP_4) | instskip(NEXT) | instid1(VALU_DEP_4)
	v_add_co_u32 v13, vcc_lo, v17, v13
	v_add_co_ci_u32_e32 v17, vcc_lo, 0, v18, vcc_lo
	s_delay_alu instid0(VALU_DEP_4) | instskip(NEXT) | instid1(VALU_DEP_3)
	v_xor_b32_e32 v19, v12, v21
	v_add_co_u32 v18, vcc_lo, v3, v13
	s_delay_alu instid0(VALU_DEP_3) | instskip(SKIP_1) | instid1(VALU_DEP_3)
	v_add_co_ci_u32_e32 v20, vcc_lo, v4, v17, vcc_lo
	v_xor_b32_e32 v5, v5, v21
	v_mul_hi_u32 v22, v19, v18
	s_delay_alu instid0(VALU_DEP_3) | instskip(NEXT) | instid1(VALU_DEP_3)
	v_mad_u64_u32 v[3:4], null, v19, v20, 0
	v_mad_u64_u32 v[12:13], null, v5, v18, 0
	;; [unrolled: 1-line block ×3, first 2 shown]
	s_delay_alu instid0(VALU_DEP_3) | instskip(NEXT) | instid1(VALU_DEP_4)
	v_add_co_u32 v3, vcc_lo, v22, v3
	v_add_co_ci_u32_e32 v4, vcc_lo, 0, v4, vcc_lo
	s_delay_alu instid0(VALU_DEP_2) | instskip(NEXT) | instid1(VALU_DEP_2)
	v_add_co_u32 v3, vcc_lo, v3, v12
	v_add_co_ci_u32_e32 v3, vcc_lo, v4, v13, vcc_lo
	v_add_co_ci_u32_e32 v4, vcc_lo, 0, v18, vcc_lo
	s_delay_alu instid0(VALU_DEP_2) | instskip(NEXT) | instid1(VALU_DEP_2)
	v_add_co_u32 v17, vcc_lo, v3, v17
	v_add_co_ci_u32_e32 v18, vcc_lo, 0, v4, vcc_lo
	s_delay_alu instid0(VALU_DEP_2) | instskip(NEXT) | instid1(VALU_DEP_1)
	v_mad_u64_u32 v[3:4], null, s7, v17, 0
	v_mad_u64_u32 v[12:13], null, s7, v18, v[4:5]
	s_delay_alu instid0(VALU_DEP_2) | instskip(NEXT) | instid1(VALU_DEP_2)
	v_sub_co_u32 v3, vcc_lo, v19, v3
	v_sub_co_ci_u32_e32 v4, vcc_lo, v5, v12, vcc_lo
	s_delay_alu instid0(VALU_DEP_2) | instskip(NEXT) | instid1(VALU_DEP_2)
	v_sub_co_u32 v5, vcc_lo, v3, s7
	v_subrev_co_ci_u32_e32 v12, vcc_lo, 0, v4, vcc_lo
	s_delay_alu instid0(VALU_DEP_2)
	v_cmp_le_u32_e32 vcc_lo, s7, v5
	v_cmp_eq_u32_e64 s0, 0, v4
	v_cndmask_b32_e64 v5, 0, -1, vcc_lo
	v_add_co_u32 v13, vcc_lo, v17, 2
	v_add_co_ci_u32_e32 v19, vcc_lo, 0, v18, vcc_lo
	v_cmp_le_u32_e32 vcc_lo, s7, v3
	v_cndmask_b32_e64 v3, 0, -1, vcc_lo
	v_cmp_eq_u32_e32 vcc_lo, 0, v12
	s_delay_alu instid0(VALU_DEP_2) | instskip(SKIP_3) | instid1(VALU_DEP_3)
	v_cndmask_b32_e64 v3, -1, v3, s0
	v_cndmask_b32_e32 v5, -1, v5, vcc_lo
	v_add_co_u32 v12, vcc_lo, v17, 1
	v_add_co_ci_u32_e32 v20, vcc_lo, 0, v18, vcc_lo
	v_cmp_ne_u32_e32 vcc_lo, 0, v5
	s_delay_alu instid0(VALU_DEP_2) | instskip(NEXT) | instid1(VALU_DEP_4)
	v_cndmask_b32_e32 v4, v20, v19, vcc_lo
	v_cndmask_b32_e32 v5, v12, v13, vcc_lo
	v_cmp_ne_u32_e32 vcc_lo, 0, v3
                                        ; implicit-def: $vgpr12
	s_delay_alu instid0(VALU_DEP_2) | instskip(NEXT) | instid1(VALU_DEP_1)
	v_dual_cndmask_b32 v3, v18, v4 :: v_dual_cndmask_b32 v4, v17, v5
	v_xor_b32_e32 v5, v3, v21
	s_delay_alu instid0(VALU_DEP_2) | instskip(NEXT) | instid1(VALU_DEP_1)
	v_xor_b32_e32 v4, v4, v21
	v_sub_co_u32 v3, vcc_lo, v4, v21
	s_delay_alu instid0(VALU_DEP_3)
	v_sub_co_ci_u32_e32 v4, vcc_lo, v5, v21, vcc_lo
.LBB9_141:
	s_and_not1_saveexec_b32 s0, s5
	s_cbranch_execz .LBB9_143
; %bb.142:
	v_cvt_f32_u32_e32 v3, s7
	s_delay_alu instid0(VALU_DEP_1) | instskip(SKIP_2) | instid1(VALU_DEP_1)
	v_rcp_iflag_f32_e32 v3, v3
	s_waitcnt_depctr 0xfff
	v_mul_f32_e32 v3, 0x4f7ffffe, v3
	v_cvt_u32_f32_e32 v3, v3
	s_delay_alu instid0(VALU_DEP_1) | instskip(NEXT) | instid1(VALU_DEP_1)
	v_mul_lo_u32 v4, s1, v3
	v_mul_hi_u32 v4, v3, v4
	s_delay_alu instid0(VALU_DEP_1) | instskip(NEXT) | instid1(VALU_DEP_1)
	v_add_nc_u32_e32 v3, v3, v4
	v_mul_hi_u32 v3, v12, v3
	s_delay_alu instid0(VALU_DEP_1) | instskip(SKIP_1) | instid1(VALU_DEP_2)
	v_mul_lo_u32 v4, v3, s7
	v_add_nc_u32_e32 v5, 1, v3
	v_sub_nc_u32_e32 v4, v12, v4
	s_delay_alu instid0(VALU_DEP_1) | instskip(SKIP_1) | instid1(VALU_DEP_2)
	v_subrev_nc_u32_e32 v12, s7, v4
	v_cmp_le_u32_e32 vcc_lo, s7, v4
	v_dual_cndmask_b32 v4, v4, v12 :: v_dual_cndmask_b32 v3, v3, v5
	s_delay_alu instid0(VALU_DEP_1) | instskip(NEXT) | instid1(VALU_DEP_2)
	v_cmp_le_u32_e32 vcc_lo, s7, v4
	v_dual_mov_b32 v4, 0 :: v_dual_add_nc_u32 v5, 1, v3
	s_delay_alu instid0(VALU_DEP_1)
	v_cndmask_b32_e32 v3, v3, v5, vcc_lo
.LBB9_143:
	s_or_b32 exec_lo, exec_lo, s0
	v_mov_b32_e32 v5, 0
	s_mov_b32 s5, exec_lo
	v_cmpx_gt_i64_e64 s[22:23], v[10:11]
	s_cbranch_execz .LBB9_157
; %bb.144:
	s_add_i32 s0, s7, -1
	s_mov_b32 s6, exec_lo
	v_dual_mov_b32 v5, 0 :: v_dual_and_b32 v10, s0, v0
	v_cmpx_lt_i64_e32 0, v[3:4]
	s_cbranch_execz .LBB9_154
; %bb.145:
	v_mov_b32_e32 v11, 0
	v_dual_mov_b32 v12, 0 :: v_dual_mov_b32 v5, 0
	s_mov_b32 s8, exec_lo
	v_cmpx_lt_u64_e32 3, v[3:4]
	s_cbranch_execz .LBB9_149
; %bb.146:
	v_lshlrev_b32_e32 v5, 2, v2
	s_lshl_b32 s0, s7, 2
	s_lshl_b32 s1, s4, 2
	v_and_b32_e32 v12, 0x7fffffff, v4
	v_and_b32_e32 v11, -4, v3
	v_lshl_add_u32 v13, v10, 2, v5
	v_mov_b32_e32 v5, 0
	s_sub_i32 s9, s0, s1
	s_lshl_b32 s0, s7, 3
	s_mul_i32 s12, s7, 12
	s_lshl_b32 s10, s7, 4
	s_sub_i32 s11, s0, s1
	s_sub_i32 s12, s12, s1
	s_mov_b32 s13, 0
	s_sub_i32 s14, 0, s1
	s_mov_b64 s[0:1], 0
	.p2align	6
.LBB9_147:                              ; =>This Inner Loop Header: Depth=1
	v_add_nc_u32_e32 v17, s14, v13
	v_add_nc_u32_e32 v18, s9, v13
	;; [unrolled: 1-line block ×3, first 2 shown]
	s_add_u32 s0, s0, 4
	s_addc_u32 s1, s1, 0
	ds_load_b32 v17, v17
	ds_load_b32 v18, v18
	v_cmp_eq_u64_e32 vcc_lo, s[0:1], v[11:12]
	s_or_b32 s13, vcc_lo, s13
	s_waitcnt lgkmcnt(1)
	v_add_f32_e32 v5, v5, v17
	v_add_nc_u32_e32 v20, s12, v13
	v_add_nc_u32_e32 v13, s10, v13
	s_waitcnt lgkmcnt(0)
	s_delay_alu instid0(VALU_DEP_3)
	v_add_f32_e32 v5, v5, v18
	ds_load_b32 v19, v19
	ds_load_b32 v20, v20
	s_waitcnt lgkmcnt(1)
	v_add_f32_e32 v5, v5, v19
	s_waitcnt lgkmcnt(0)
	s_delay_alu instid0(VALU_DEP_1)
	v_add_f32_e32 v5, v5, v20
	s_and_not1_b32 exec_lo, exec_lo, s13
	s_cbranch_execnz .LBB9_147
; %bb.148:
	s_or_b32 exec_lo, exec_lo, s13
.LBB9_149:
	s_delay_alu instid0(SALU_CYCLE_1) | instskip(SKIP_2) | instid1(VALU_DEP_1)
	s_or_b32 exec_lo, exec_lo, s8
	v_dual_mov_b32 v13, 0 :: v_dual_and_b32 v12, 3, v3
	s_mov_b32 s0, exec_lo
	v_cmpx_ne_u64_e32 0, v[12:13]
	s_cbranch_execz .LBB9_153
; %bb.150:
	v_mul_lo_u32 v11, s7, v11
	s_mov_b32 s1, 0
	s_delay_alu instid0(VALU_DEP_1) | instskip(NEXT) | instid1(VALU_DEP_1)
	v_add3_u32 v2, v10, v11, v2
	v_subrev_nc_u32_e32 v2, s4, v2
	s_lshl_b32 s4, s7, 2
	s_delay_alu instid0(VALU_DEP_1)
	v_lshlrev_b32_e32 v2, 2, v2
.LBB9_151:                              ; =>This Inner Loop Header: Depth=1
	ds_load_b32 v11, v2
	v_add_co_u32 v12, vcc_lo, v12, -1
	v_add_co_ci_u32_e32 v13, vcc_lo, -1, v13, vcc_lo
	v_add_nc_u32_e32 v2, s4, v2
	s_delay_alu instid0(VALU_DEP_2)
	v_cmp_eq_u64_e32 vcc_lo, 0, v[12:13]
	s_or_b32 s1, vcc_lo, s1
	s_waitcnt lgkmcnt(0)
	v_add_f32_e32 v5, v5, v11
	s_and_not1_b32 exec_lo, exec_lo, s1
	s_cbranch_execnz .LBB9_151
; %bb.152:
	s_or_b32 exec_lo, exec_lo, s1
.LBB9_153:
	s_delay_alu instid0(SALU_CYCLE_1)
	s_or_b32 exec_lo, exec_lo, s0
.LBB9_154:
	s_delay_alu instid0(SALU_CYCLE_1) | instskip(SKIP_3) | instid1(VALU_DEP_2)
	s_or_b32 exec_lo, exec_lo, s6
	v_mad_u64_u32 v[12:13], null, v3, s7, v[8:9]
	v_mov_b32_e32 v11, 0
	s_mov_b32 s0, exec_lo
	v_mov_b32_e32 v2, v13
	s_delay_alu instid0(VALU_DEP_1) | instskip(NEXT) | instid1(VALU_DEP_4)
	v_mad_u64_u32 v[8:9], null, v4, s7, v[2:3]
	v_sub_co_u32 v2, vcc_lo, v15, v12
	s_delay_alu instid0(VALU_DEP_2) | instskip(NEXT) | instid1(VALU_DEP_1)
	v_mov_b32_e32 v3, v8
	v_sub_co_ci_u32_e32 v3, vcc_lo, v16, v3, vcc_lo
	s_delay_alu instid0(VALU_DEP_1)
	v_cmpx_gt_i64_e64 v[2:3], v[10:11]
	s_cbranch_execz .LBB9_156
; %bb.155:
	v_add_lshl_u32 v2, v10, v12, 2
	ds_load_b32 v2, v2
	s_waitcnt lgkmcnt(0)
	v_add_f32_e32 v5, v5, v2
.LBB9_156:
	s_or_b32 exec_lo, exec_lo, s0
.LBB9_157:
	s_delay_alu instid0(SALU_CYCLE_1)
	s_or_b32 exec_lo, exec_lo, s5
	s_barrier
	buffer_gl0_inv
	ds_store_b32 v14, v5
	s_waitcnt lgkmcnt(0)
	s_barrier
	buffer_gl0_inv
	s_mov_b32 s0, exec_lo
	v_cmpx_gt_i64_e64 s[22:23], v[0:1]
	s_cbranch_execz .LBB9_167
; %bb.158:
	v_mul_lo_u32 v1, s7, v0
	s_cmp_lt_u32 s7, 8
	s_cbranch_scc1 .LBB9_161
; %bb.159:
	s_delay_alu instid0(VALU_DEP_1)
	v_dual_mov_b32 v3, 0 :: v_dual_lshlrev_b32 v2, 2, v1
	s_and_b32 s0, s7, 0x7ffffff8
	s_mov_b32 s1, 0
	.p2align	6
.LBB9_160:                              ; =>This Inner Loop Header: Depth=1
	ds_load_2addr_b32 v[4:5], v2 offset1:1
	ds_load_2addr_b32 v[8:9], v2 offset0:2 offset1:3
	ds_load_2addr_b32 v[10:11], v2 offset0:4 offset1:5
	;; [unrolled: 1-line block ×3, first 2 shown]
	s_add_i32 s1, s1, 8
	v_add_nc_u32_e32 v2, 32, v2
	s_cmp_eq_u32 s0, s1
	s_waitcnt lgkmcnt(3)
	v_add_f32_e32 v3, v3, v4
	s_delay_alu instid0(VALU_DEP_1) | instskip(SKIP_1) | instid1(VALU_DEP_1)
	v_add_f32_e32 v3, v3, v5
	s_waitcnt lgkmcnt(2)
	v_add_f32_e32 v3, v3, v8
	s_delay_alu instid0(VALU_DEP_1) | instskip(SKIP_1) | instid1(VALU_DEP_1)
	v_add_f32_e32 v3, v3, v9
	;; [unrolled: 4-line block ×3, first 2 shown]
	s_waitcnt lgkmcnt(0)
	v_add_f32_e32 v3, v3, v12
	s_delay_alu instid0(VALU_DEP_1)
	v_add_f32_e32 v3, v3, v13
	s_cbranch_scc0 .LBB9_160
	s_branch .LBB9_162
.LBB9_161:
	v_mov_b32_e32 v3, 0
	s_mov_b32 s0, 0
.LBB9_162:
	s_bfe_u32 s1, s3, 0x30001
	s_delay_alu instid0(SALU_CYCLE_1)
	s_cmp_eq_u32 s1, 0
	s_cbranch_scc1 .LBB9_165
; %bb.163:
	v_add_lshl_u32 v1, s0, v1, 2
.LBB9_164:                              ; =>This Inner Loop Header: Depth=1
	ds_load_b32 v2, v1
	v_add_nc_u32_e32 v1, 4, v1
	s_add_i32 s1, s1, -1
	s_delay_alu instid0(SALU_CYCLE_1)
	s_cmp_lg_u32 s1, 0
	s_waitcnt lgkmcnt(0)
	v_add_f32_e32 v3, v3, v2
	s_cbranch_scc1 .LBB9_164
.LBB9_165:
	v_lshlrev_b64 v[1:2], 2, v[6:7]
	v_lshlrev_b32_e32 v0, 2, v0
	s_lshl_b32 s0, s2, 2
	s_delay_alu instid0(VALU_DEP_1) | instid1(SALU_CYCLE_1)
	v_add3_u32 v0, 0x1000, s0, v0
	s_delay_alu instid0(VALU_DEP_3) | instskip(NEXT) | instid1(VALU_DEP_4)
	v_add_co_u32 v1, vcc_lo, s20, v1
	v_add_co_ci_u32_e32 v2, vcc_lo, s21, v2, vcc_lo
	ds_load_b32 v0, v0
	s_mov_b32 s0, 0
	global_load_b32 v4, v[1:2], off
	s_waitcnt lgkmcnt(0)
	v_add_f32_e32 v0, v3, v0
.LBB9_166:                              ; =>This Inner Loop Header: Depth=1
	s_waitcnt vmcnt(0)
	s_delay_alu instid0(VALU_DEP_1)
	v_add_f32_e32 v3, v4, v0
	global_atomic_cmpswap_b32 v3, v[1:2], v[3:4], off glc
	s_waitcnt vmcnt(0)
	v_cmp_eq_u32_e32 vcc_lo, v3, v4
	v_mov_b32_e32 v4, v3
	s_or_b32 s0, vcc_lo, s0
	s_delay_alu instid0(SALU_CYCLE_1)
	s_and_not1_b32 exec_lo, exec_lo, s0
	s_cbranch_execnz .LBB9_166
.LBB9_167:
	s_endpgm
	.section	.rodata,"a",@progbits
	.p2align	6, 0x0
	.amdhsa_kernel _ZN9rocsparseL27csrmvn_symm_adaptive_kernelIllffffEEvbT_S1_PKS1_NS_24const_host_device_scalarIT4_EES3_PKT0_PKT1_PKT2_S6_PT3_21rocsparse_index_base_b
		.amdhsa_group_segment_fixed_size 4096
		.amdhsa_private_segment_fixed_size 0
		.amdhsa_kernarg_size 352
		.amdhsa_user_sgpr_count 15
		.amdhsa_user_sgpr_dispatch_ptr 0
		.amdhsa_user_sgpr_queue_ptr 0
		.amdhsa_user_sgpr_kernarg_segment_ptr 1
		.amdhsa_user_sgpr_dispatch_id 0
		.amdhsa_user_sgpr_private_segment_size 0
		.amdhsa_wavefront_size32 1
		.amdhsa_uses_dynamic_stack 0
		.amdhsa_enable_private_segment 0
		.amdhsa_system_sgpr_workgroup_id_x 1
		.amdhsa_system_sgpr_workgroup_id_y 0
		.amdhsa_system_sgpr_workgroup_id_z 0
		.amdhsa_system_sgpr_workgroup_info 0
		.amdhsa_system_vgpr_workitem_id 0
		.amdhsa_next_free_vgpr 24
		.amdhsa_next_free_sgpr 41
		.amdhsa_reserve_vcc 1
		.amdhsa_float_round_mode_32 0
		.amdhsa_float_round_mode_16_64 0
		.amdhsa_float_denorm_mode_32 3
		.amdhsa_float_denorm_mode_16_64 3
		.amdhsa_dx10_clamp 1
		.amdhsa_ieee_mode 1
		.amdhsa_fp16_overflow 0
		.amdhsa_workgroup_processor_mode 1
		.amdhsa_memory_ordered 1
		.amdhsa_forward_progress 0
		.amdhsa_shared_vgpr_count 0
		.amdhsa_exception_fp_ieee_invalid_op 0
		.amdhsa_exception_fp_denorm_src 0
		.amdhsa_exception_fp_ieee_div_zero 0
		.amdhsa_exception_fp_ieee_overflow 0
		.amdhsa_exception_fp_ieee_underflow 0
		.amdhsa_exception_fp_ieee_inexact 0
		.amdhsa_exception_int_div_zero 0
	.end_amdhsa_kernel
	.section	.text._ZN9rocsparseL27csrmvn_symm_adaptive_kernelIllffffEEvbT_S1_PKS1_NS_24const_host_device_scalarIT4_EES3_PKT0_PKT1_PKT2_S6_PT3_21rocsparse_index_base_b,"axG",@progbits,_ZN9rocsparseL27csrmvn_symm_adaptive_kernelIllffffEEvbT_S1_PKS1_NS_24const_host_device_scalarIT4_EES3_PKT0_PKT1_PKT2_S6_PT3_21rocsparse_index_base_b,comdat
.Lfunc_end9:
	.size	_ZN9rocsparseL27csrmvn_symm_adaptive_kernelIllffffEEvbT_S1_PKS1_NS_24const_host_device_scalarIT4_EES3_PKT0_PKT1_PKT2_S6_PT3_21rocsparse_index_base_b, .Lfunc_end9-_ZN9rocsparseL27csrmvn_symm_adaptive_kernelIllffffEEvbT_S1_PKS1_NS_24const_host_device_scalarIT4_EES3_PKT0_PKT1_PKT2_S6_PT3_21rocsparse_index_base_b
                                        ; -- End function
	.section	.AMDGPU.csdata,"",@progbits
; Kernel info:
; codeLenInByte = 9264
; NumSgprs: 43
; NumVgprs: 24
; ScratchSize: 0
; MemoryBound: 0
; FloatMode: 240
; IeeeMode: 1
; LDSByteSize: 4096 bytes/workgroup (compile time only)
; SGPRBlocks: 5
; VGPRBlocks: 2
; NumSGPRsForWavesPerEU: 43
; NumVGPRsForWavesPerEU: 24
; Occupancy: 16
; WaveLimiterHint : 1
; COMPUTE_PGM_RSRC2:SCRATCH_EN: 0
; COMPUTE_PGM_RSRC2:USER_SGPR: 15
; COMPUTE_PGM_RSRC2:TRAP_HANDLER: 0
; COMPUTE_PGM_RSRC2:TGID_X_EN: 1
; COMPUTE_PGM_RSRC2:TGID_Y_EN: 0
; COMPUTE_PGM_RSRC2:TGID_Z_EN: 0
; COMPUTE_PGM_RSRC2:TIDIG_COMP_CNT: 0
	.section	.text._ZL33csrmvn_symm_large_adaptive_kernelIllffffEvbT_PKS0_N9rocsparse24const_host_device_scalarIT4_EES2_PKT0_PKT1_PKT2_S6_PT3_21rocsparse_index_base_b,"axG",@progbits,_ZL33csrmvn_symm_large_adaptive_kernelIllffffEvbT_PKS0_N9rocsparse24const_host_device_scalarIT4_EES2_PKT0_PKT1_PKT2_S6_PT3_21rocsparse_index_base_b,comdat
	.globl	_ZL33csrmvn_symm_large_adaptive_kernelIllffffEvbT_PKS0_N9rocsparse24const_host_device_scalarIT4_EES2_PKT0_PKT1_PKT2_S6_PT3_21rocsparse_index_base_b ; -- Begin function _ZL33csrmvn_symm_large_adaptive_kernelIllffffEvbT_PKS0_N9rocsparse24const_host_device_scalarIT4_EES2_PKT0_PKT1_PKT2_S6_PT3_21rocsparse_index_base_b
	.p2align	8
	.type	_ZL33csrmvn_symm_large_adaptive_kernelIllffffEvbT_PKS0_N9rocsparse24const_host_device_scalarIT4_EES2_PKT0_PKT1_PKT2_S6_PT3_21rocsparse_index_base_b,@function
_ZL33csrmvn_symm_large_adaptive_kernelIllffffEvbT_PKS0_N9rocsparse24const_host_device_scalarIT4_EES2_PKT0_PKT1_PKT2_S6_PT3_21rocsparse_index_base_b: ; @_ZL33csrmvn_symm_large_adaptive_kernelIllffffEvbT_PKS0_N9rocsparse24const_host_device_scalarIT4_EES2_PKT0_PKT1_PKT2_S6_PT3_21rocsparse_index_base_b
; %bb.0:
	s_clause 0x2
	s_load_b64 s[6:7], s[0:1], 0x50
	s_load_b64 s[20:21], s[0:1], 0x18
	;; [unrolled: 1-line block ×3, first 2 shown]
	s_mov_b32 s2, s15
	s_waitcnt lgkmcnt(0)
	s_bitcmp1_b32 s7, 0
	s_cselect_b32 s3, -1, 0
	s_delay_alu instid0(SALU_CYCLE_1)
	s_and_b32 vcc_lo, exec_lo, s3
	s_xor_b32 s3, s3, -1
	s_cbranch_vccnz .LBB10_2
; %bb.1:
	s_load_b32 s20, s[20:21], 0x0
.LBB10_2:
	s_and_not1_b32 vcc_lo, exec_lo, s3
	s_cbranch_vccnz .LBB10_4
; %bb.3:
	s_load_b32 s4, s[4:5], 0x0
.LBB10_4:
	s_waitcnt lgkmcnt(0)
	v_cmp_neq_f32_e64 s3, s20, 0
	v_cmp_neq_f32_e64 s4, s4, 1.0
	s_delay_alu instid0(VALU_DEP_1) | instskip(NEXT) | instid1(SALU_CYCLE_1)
	s_or_b32 s3, s3, s4
	s_and_not1_b32 vcc_lo, exec_lo, s3
	s_cbranch_vccnz .LBB10_38
; %bb.5:
	s_load_b64 s[4:5], s[0:1], 0x10
	s_ashr_i32 s3, s2, 31
	v_dual_mov_b32 v1, 0 :: v_dual_lshlrev_b32 v6, 2, v0
	s_lshl_b64 s[2:3], s[2:3], 3
	ds_store_2addr_stride64_b32 v6, v1, v1 offset1:4
	ds_store_2addr_stride64_b32 v6, v1, v1 offset0:8 offset1:12
	s_waitcnt lgkmcnt(0)
	s_barrier
	buffer_gl0_inv
	s_add_u32 s2, s4, s2
	s_addc_u32 s3, s5, s3
	s_load_b128 s[16:19], s[2:3], 0x0
	s_clause 0x1
	s_load_b256 s[8:15], s[0:1], 0x20
	s_load_b64 s[22:23], s[0:1], 0x48
	v_sub_co_u32 v7, s1, v0, s6
	s_delay_alu instid0(VALU_DEP_1) | instskip(SKIP_2) | instid1(VALU_DEP_1)
	v_sub_co_ci_u32_e64 v8, null, 0, 0, s1
	s_waitcnt lgkmcnt(0)
	v_cmp_lt_i64_e64 s0, s[16:17], s[18:19]
	s_and_b32 vcc_lo, exec_lo, s0
	s_cbranch_vccnz .LBB10_7
; %bb.6:
	s_lshl_b64 s[0:1], s[16:17], 3
	s_delay_alu instid0(SALU_CYCLE_1)
	s_add_u32 s0, s8, s0
	s_addc_u32 s1, s9, s1
	s_load_b64 s[24:25], s[0:1], 0x0
	s_cbranch_execz .LBB10_8
	s_branch .LBB10_28
.LBB10_7:
                                        ; implicit-def: $sgpr24_sgpr25
.LBB10_8:
	s_lshl_b64 s[0:1], s[16:17], 3
	v_cmp_gt_u32_e64 s2, 16, v0
	s_add_u32 s0, s8, s0
	s_addc_u32 s1, s9, s1
	v_cmp_gt_u32_e64 s3, 4, v0
	s_waitcnt lgkmcnt(0)
	s_load_b64 s[24:25], s[0:1], 0x0
	v_cmp_gt_u32_e64 s0, 0x100, v0
	v_cmp_gt_u32_e64 s1, 64, v0
	v_cmp_eq_u32_e64 s4, 0, v0
	v_mov_b32_e32 v9, 0
	s_add_u32 s7, s8, 8
	s_addc_u32 s21, s9, 0
	s_mov_b64 s[26:27], s[16:17]
	s_waitcnt lgkmcnt(0)
	s_mov_b64 s[28:29], s[24:25]
	s_branch .LBB10_10
.LBB10_9:                               ;   in Loop: Header=BB10_10 Depth=1
	s_or_b32 exec_lo, exec_lo, s5
	s_add_u32 s26, s26, 1
	s_addc_u32 s27, s27, 0
	s_delay_alu instid0(SALU_CYCLE_1) | instskip(NEXT) | instid1(VALU_DEP_1)
	v_cmp_ge_i64_e64 s5, s[26:27], s[18:19]
	s_and_b32 vcc_lo, exec_lo, s5
	s_cbranch_vccnz .LBB10_28
.LBB10_10:                              ; =>This Loop Header: Depth=1
                                        ;     Child Loop BB10_12 Depth 2
                                        ;     Child Loop BB10_27 Depth 2
	s_lshl_b64 s[30:31], s[26:27], 3
	s_mov_b64 s[34:35], s[28:29]
	s_add_u32 s30, s7, s30
	s_addc_u32 s31, s21, s31
	v_add_co_u32 v0, vcc_lo, s34, v7
	s_load_b64 s[28:29], s[30:31], 0x0
	v_add_co_ci_u32_e32 v1, vcc_lo, s35, v8, vcc_lo
	v_mov_b32_e32 v10, 0
	s_mov_b32 s33, exec_lo
	s_waitcnt lgkmcnt(0)
	s_sub_u32 s30, s28, s6
	s_subb_u32 s31, s29, 0
	s_delay_alu instid0(SALU_CYCLE_1)
	v_cmpx_gt_i64_e64 s[30:31], v[0:1]
	s_cbranch_execz .LBB10_14
; %bb.11:                               ;   in Loop: Header=BB10_10 Depth=1
	v_lshlrev_b64 v[2:3], 3, v[0:1]
	v_lshlrev_b64 v[4:5], 2, v[0:1]
	v_mov_b32_e32 v10, 0
	s_mov_b32 s34, 0
	s_delay_alu instid0(VALU_DEP_3) | instskip(NEXT) | instid1(VALU_DEP_4)
	v_add_co_u32 v2, vcc_lo, s10, v2
	v_add_co_ci_u32_e32 v3, vcc_lo, s11, v3, vcc_lo
	s_delay_alu instid0(VALU_DEP_4)
	v_add_co_u32 v4, vcc_lo, s12, v4
	v_add_co_ci_u32_e32 v5, vcc_lo, s13, v5, vcc_lo
	.p2align	6
.LBB10_12:                              ;   Parent Loop BB10_10 Depth=1
                                        ; =>  This Inner Loop Header: Depth=2
	global_load_b64 v[11:12], v[2:3], off
	s_waitcnt vmcnt(0)
	v_sub_co_u32 v11, vcc_lo, v11, s6
	v_subrev_co_ci_u32_e32 v12, vcc_lo, 0, v12, vcc_lo
	s_delay_alu instid0(VALU_DEP_1) | instskip(NEXT) | instid1(VALU_DEP_1)
	v_lshlrev_b64 v[11:12], 2, v[11:12]
	v_add_co_u32 v11, vcc_lo, s14, v11
	s_delay_alu instid0(VALU_DEP_2)
	v_add_co_ci_u32_e32 v12, vcc_lo, s15, v12, vcc_lo
	v_add_co_u32 v0, vcc_lo, 0x100, v0
	global_load_b32 v13, v[4:5], off
	global_load_b32 v11, v[11:12], off
	v_add_co_ci_u32_e32 v1, vcc_lo, 0, v1, vcc_lo
	v_add_co_u32 v2, vcc_lo, 0x800, v2
	v_add_co_ci_u32_e32 v3, vcc_lo, 0, v3, vcc_lo
	s_delay_alu instid0(VALU_DEP_3) | instskip(SKIP_1) | instid1(VALU_DEP_1)
	v_cmp_le_i64_e32 vcc_lo, s[30:31], v[0:1]
	v_add_co_u32 v4, s5, 0x400, v4
	v_add_co_ci_u32_e64 v5, s5, 0, v5, s5
	s_or_b32 s34, vcc_lo, s34
	s_waitcnt vmcnt(0)
	v_fmac_f32_e32 v10, v13, v11
	s_and_not1_b32 exec_lo, exec_lo, s34
	s_cbranch_execnz .LBB10_12
; %bb.13:                               ;   in Loop: Header=BB10_10 Depth=1
	s_or_b32 exec_lo, exec_lo, s34
.LBB10_14:                              ;   in Loop: Header=BB10_10 Depth=1
	s_delay_alu instid0(SALU_CYCLE_1)
	s_or_b32 exec_lo, exec_lo, s33
	ds_store_b32 v6, v10
	s_waitcnt lgkmcnt(0)
	s_barrier
	buffer_gl0_inv
	s_and_saveexec_b32 s5, s0
	s_cbranch_execz .LBB10_16
; %bb.15:                               ;   in Loop: Header=BB10_10 Depth=1
	ds_load_2addr_stride64_b32 v[0:1], v6 offset1:4
	ds_load_2addr_stride64_b32 v[2:3], v6 offset0:8 offset1:12
	s_waitcnt lgkmcnt(0)
	v_add_f32_e32 v1, v1, v2
	s_delay_alu instid0(VALU_DEP_1) | instskip(NEXT) | instid1(VALU_DEP_1)
	v_add_f32_e32 v1, v1, v3
	v_add_f32_e32 v0, v0, v1
	ds_store_b32 v6, v0
.LBB10_16:                              ;   in Loop: Header=BB10_10 Depth=1
	s_or_b32 exec_lo, exec_lo, s5
	s_waitcnt lgkmcnt(0)
	s_barrier
	buffer_gl0_inv
	s_and_saveexec_b32 s5, s1
	s_cbranch_execz .LBB10_18
; %bb.17:                               ;   in Loop: Header=BB10_10 Depth=1
	ds_load_2addr_stride64_b32 v[0:1], v6 offset1:1
	ds_load_2addr_stride64_b32 v[2:3], v6 offset0:2 offset1:3
	s_waitcnt lgkmcnt(0)
	v_add_f32_e32 v1, v1, v2
	s_delay_alu instid0(VALU_DEP_1) | instskip(NEXT) | instid1(VALU_DEP_1)
	v_add_f32_e32 v1, v1, v3
	v_add_f32_e32 v0, v0, v1
	ds_store_b32 v6, v0
.LBB10_18:                              ;   in Loop: Header=BB10_10 Depth=1
	s_or_b32 exec_lo, exec_lo, s5
	s_waitcnt lgkmcnt(0)
	s_barrier
	buffer_gl0_inv
	s_and_saveexec_b32 s5, s2
	s_cbranch_execz .LBB10_20
; %bb.19:                               ;   in Loop: Header=BB10_10 Depth=1
	ds_load_2addr_b32 v[0:1], v6 offset1:16
	ds_load_2addr_b32 v[2:3], v6 offset0:32 offset1:48
	s_waitcnt lgkmcnt(0)
	v_add_f32_e32 v1, v1, v2
	s_delay_alu instid0(VALU_DEP_1) | instskip(NEXT) | instid1(VALU_DEP_1)
	v_add_f32_e32 v1, v1, v3
	v_add_f32_e32 v0, v0, v1
	ds_store_b32 v6, v0
.LBB10_20:                              ;   in Loop: Header=BB10_10 Depth=1
	s_or_b32 exec_lo, exec_lo, s5
	s_waitcnt lgkmcnt(0)
	s_barrier
	buffer_gl0_inv
	s_and_saveexec_b32 s5, s3
	s_cbranch_execz .LBB10_22
; %bb.21:                               ;   in Loop: Header=BB10_10 Depth=1
	ds_load_2addr_b32 v[0:1], v6 offset1:4
	ds_load_2addr_b32 v[2:3], v6 offset0:8 offset1:12
	s_waitcnt lgkmcnt(0)
	v_add_f32_e32 v1, v1, v2
	s_delay_alu instid0(VALU_DEP_1) | instskip(NEXT) | instid1(VALU_DEP_1)
	v_add_f32_e32 v1, v1, v3
	v_add_f32_e32 v0, v0, v1
	ds_store_b32 v6, v0
.LBB10_22:                              ;   in Loop: Header=BB10_10 Depth=1
	s_or_b32 exec_lo, exec_lo, s5
	s_waitcnt lgkmcnt(0)
	s_barrier
	buffer_gl0_inv
	s_and_saveexec_b32 s5, s4
	s_cbranch_execz .LBB10_24
; %bb.23:                               ;   in Loop: Header=BB10_10 Depth=1
	ds_load_2addr_b32 v[0:1], v9 offset0:1 offset1:2
	ds_load_b32 v2, v9 offset:12
	ds_load_b32 v3, v6
	s_waitcnt lgkmcnt(2)
	v_add_f32_e32 v0, v0, v1
	s_waitcnt lgkmcnt(1)
	s_delay_alu instid0(VALU_DEP_1) | instskip(SKIP_1) | instid1(VALU_DEP_1)
	v_add_f32_e32 v0, v0, v2
	s_waitcnt lgkmcnt(0)
	v_add_f32_e32 v0, v3, v0
	ds_store_b32 v6, v0
.LBB10_24:                              ;   in Loop: Header=BB10_10 Depth=1
	s_or_b32 exec_lo, exec_lo, s5
	s_waitcnt lgkmcnt(0)
	s_barrier
	buffer_gl0_inv
	s_and_saveexec_b32 s5, s4
	s_cbranch_execz .LBB10_9
; %bb.25:                               ;   in Loop: Header=BB10_10 Depth=1
	s_mov_b32 s33, exec_lo
	s_delay_alu instid0(SALU_CYCLE_1) | instskip(NEXT) | instid1(VALU_DEP_1)
	v_mbcnt_lo_u32_b32 v0, s33, 0
	v_cmp_eq_u32_e32 vcc_lo, 0, v0
	s_and_b32 s30, exec_lo, vcc_lo
	s_delay_alu instid0(SALU_CYCLE_1)
	s_mov_b32 exec_lo, s30
	s_cbranch_execz .LBB10_9
; %bb.26:                               ;   in Loop: Header=BB10_10 Depth=1
	s_lshl_b64 s[30:31], s[26:27], 2
	ds_load_b32 v0, v9
	s_add_u32 s30, s22, s30
	s_addc_u32 s31, s23, s31
	s_bcnt1_i32_b32 s33, s33
	global_load_b32 v1, v9, s[30:31]
	v_cvt_f32_ubyte0_e32 v2, s33
	s_mov_b32 s33, 0
	s_waitcnt lgkmcnt(0)
	v_mul_f32_e32 v0, s20, v0
	s_delay_alu instid0(VALU_DEP_1)
	v_mul_f32_e32 v2, v0, v2
.LBB10_27:                              ;   Parent Loop BB10_10 Depth=1
                                        ; =>  This Inner Loop Header: Depth=2
	s_waitcnt vmcnt(0)
	s_delay_alu instid0(VALU_DEP_1)
	v_add_f32_e32 v0, v1, v2
	global_atomic_cmpswap_b32 v0, v9, v[0:1], s[30:31] glc
	s_waitcnt vmcnt(0)
	v_cmp_eq_u32_e32 vcc_lo, v0, v1
	v_mov_b32_e32 v1, v0
	s_or_b32 s33, vcc_lo, s33
	s_delay_alu instid0(SALU_CYCLE_1)
	s_and_not1_b32 exec_lo, exec_lo, s33
	s_cbranch_execnz .LBB10_27
	s_branch .LBB10_9
.LBB10_28:
	s_lshl_b64 s[0:1], s[18:19], 3
	s_waitcnt lgkmcnt(0)
	v_add_co_u32 v0, vcc_lo, s24, v7
	s_add_u32 s0, s8, s0
	s_addc_u32 s1, s9, s1
	v_add_co_ci_u32_e32 v1, vcc_lo, s25, v8, vcc_lo
	s_load_b64 s[0:1], s[0:1], 0x0
	s_waitcnt lgkmcnt(0)
	s_sub_u32 s2, s0, s6
	s_subb_u32 s3, s1, 0
	s_mov_b32 s0, exec_lo
	v_cmpx_gt_i64_e64 s[2:3], v[0:1]
	s_cbranch_execz .LBB10_38
; %bb.29:
	s_add_u32 s4, s18, -1
	s_addc_u32 s5, s19, -1
	s_add_u32 s0, s18, -2
	v_cmp_gt_i64_e64 s7, s[4:5], s[16:17]
	s_addc_u32 s1, s19, -1
	s_delay_alu instid0(SALU_CYCLE_1)
	s_cmp_lg_u64 s[0:1], s[16:17]
	s_cselect_b32 s0, -1, 0
	s_delay_alu instid0(VALU_DEP_1) | instid1(SALU_CYCLE_1)
	s_and_b32 s1, s7, s0
	s_mov_b32 s7, 0
	s_branch .LBB10_31
.LBB10_30:                              ;   in Loop: Header=BB10_31 Depth=1
	s_or_b32 exec_lo, exec_lo, s0
	v_add_co_u32 v0, vcc_lo, 0x100, v0
	v_add_co_ci_u32_e32 v1, vcc_lo, 0, v1, vcc_lo
	s_delay_alu instid0(VALU_DEP_1) | instskip(SKIP_1) | instid1(SALU_CYCLE_1)
	v_cmp_le_i64_e32 vcc_lo, s[2:3], v[0:1]
	s_or_b32 s7, vcc_lo, s7
	s_and_not1_b32 exec_lo, exec_lo, s7
	s_cbranch_execz .LBB10_38
.LBB10_31:                              ; =>This Loop Header: Depth=1
                                        ;     Child Loop BB10_33 Depth 2
                                        ;     Child Loop BB10_37 Depth 2
	v_dual_mov_b32 v2, s16 :: v_dual_mov_b32 v3, s17
	v_dual_mov_b32 v4, s4 :: v_dual_mov_b32 v5, s5
	s_and_not1_b32 vcc_lo, exec_lo, s1
	s_cbranch_vccnz .LBB10_35
; %bb.32:                               ;   in Loop: Header=BB10_31 Depth=1
	v_dual_mov_b32 v2, s16 :: v_dual_mov_b32 v3, s17
	v_dual_mov_b32 v4, s4 :: v_dual_mov_b32 v5, s5
	s_mov_b32 s18, 0
	s_set_inst_prefetch_distance 0x1
	.p2align	6
.LBB10_33:                              ;   Parent Loop BB10_31 Depth=1
                                        ; =>  This Inner Loop Header: Depth=2
	s_delay_alu instid0(VALU_DEP_1) | instskip(NEXT) | instid1(VALU_DEP_2)
	v_add_co_u32 v6, vcc_lo, v4, v2
	v_add_co_ci_u32_e32 v7, vcc_lo, v5, v3, vcc_lo
	s_delay_alu instid0(VALU_DEP_1) | instskip(NEXT) | instid1(VALU_DEP_1)
	v_lshrrev_b32_e32 v8, 31, v7
	v_add_co_u32 v6, vcc_lo, v6, v8
	v_add_co_ci_u32_e32 v7, vcc_lo, 0, v7, vcc_lo
	s_delay_alu instid0(VALU_DEP_1) | instskip(NEXT) | instid1(VALU_DEP_1)
	v_ashrrev_i64 v[6:7], 1, v[6:7]
	v_lshlrev_b64 v[8:9], 3, v[6:7]
	s_delay_alu instid0(VALU_DEP_1) | instskip(NEXT) | instid1(VALU_DEP_2)
	v_add_co_u32 v8, vcc_lo, s8, v8
	v_add_co_ci_u32_e32 v9, vcc_lo, s9, v9, vcc_lo
	global_load_b64 v[8:9], v[8:9], off
	s_waitcnt vmcnt(0)
	v_sub_co_u32 v8, vcc_lo, v8, s6
	v_subrev_co_ci_u32_e32 v9, vcc_lo, 0, v9, vcc_lo
	s_delay_alu instid0(VALU_DEP_1) | instskip(SKIP_2) | instid1(VALU_DEP_2)
	v_cmp_gt_i64_e32 vcc_lo, v[8:9], v[0:1]
	v_dual_cndmask_b32 v5, v5, v7 :: v_dual_cndmask_b32 v4, v4, v6
	v_dual_cndmask_b32 v3, v7, v3 :: v_dual_cndmask_b32 v2, v6, v2
	v_add_co_u32 v6, vcc_lo, v4, -1
	s_delay_alu instid0(VALU_DEP_3) | instskip(NEXT) | instid1(VALU_DEP_3)
	v_add_co_ci_u32_e32 v7, vcc_lo, -1, v5, vcc_lo
	v_cmp_ge_i64_e32 vcc_lo, v[2:3], v[4:5]
	s_delay_alu instid0(VALU_DEP_2) | instskip(NEXT) | instid1(VALU_DEP_1)
	v_cmp_eq_u64_e64 s0, v[2:3], v[6:7]
	s_or_b32 s0, vcc_lo, s0
	s_delay_alu instid0(SALU_CYCLE_1) | instskip(NEXT) | instid1(SALU_CYCLE_1)
	s_and_b32 s0, exec_lo, s0
	s_or_b32 s18, s0, s18
	s_delay_alu instid0(SALU_CYCLE_1)
	s_and_not1_b32 exec_lo, exec_lo, s18
	s_cbranch_execnz .LBB10_33
; %bb.34:                               ;   in Loop: Header=BB10_31 Depth=1
	s_set_inst_prefetch_distance 0x2
	s_or_b32 exec_lo, exec_lo, s18
.LBB10_35:                              ;   in Loop: Header=BB10_31 Depth=1
	s_delay_alu instid0(VALU_DEP_1) | instskip(SKIP_2) | instid1(VALU_DEP_2)
	v_lshlrev_b64 v[6:7], 3, v[4:5]
	v_lshlrev_b64 v[8:9], 3, v[0:1]
	s_mov_b32 s0, exec_lo
	v_add_co_u32 v6, vcc_lo, s8, v6
	s_delay_alu instid0(VALU_DEP_3) | instskip(NEXT) | instid1(VALU_DEP_3)
	v_add_co_ci_u32_e32 v7, vcc_lo, s9, v7, vcc_lo
	v_add_co_u32 v8, vcc_lo, s10, v8
	s_delay_alu instid0(VALU_DEP_4)
	v_add_co_ci_u32_e32 v9, vcc_lo, s11, v9, vcc_lo
	global_load_b64 v[6:7], v[6:7], off
	global_load_b64 v[8:9], v[8:9], off
	s_waitcnt vmcnt(1)
	v_sub_co_u32 v6, vcc_lo, v6, s6
	v_subrev_co_ci_u32_e32 v7, vcc_lo, 0, v7, vcc_lo
	s_delay_alu instid0(VALU_DEP_1) | instskip(SKIP_4) | instid1(VALU_DEP_1)
	v_cmp_gt_i64_e32 vcc_lo, v[6:7], v[0:1]
	v_dual_cndmask_b32 v3, v5, v3 :: v_dual_cndmask_b32 v2, v4, v2
	s_waitcnt vmcnt(0)
	v_sub_co_u32 v4, vcc_lo, v8, s6
	v_subrev_co_ci_u32_e32 v5, vcc_lo, 0, v9, vcc_lo
	v_cmpx_ne_u64_e64 v[4:5], v[2:3]
	s_cbranch_execz .LBB10_30
; %bb.36:                               ;   in Loop: Header=BB10_31 Depth=1
	v_lshlrev_b64 v[6:7], 2, v[0:1]
	v_lshlrev_b64 v[2:3], 2, v[2:3]
	;; [unrolled: 1-line block ×3, first 2 shown]
	s_mov_b32 s18, 0
	s_delay_alu instid0(VALU_DEP_3) | instskip(NEXT) | instid1(VALU_DEP_4)
	v_add_co_u32 v6, vcc_lo, s12, v6
	v_add_co_ci_u32_e32 v7, vcc_lo, s13, v7, vcc_lo
	global_load_b32 v8, v[6:7], off
	v_add_co_u32 v6, vcc_lo, s14, v2
	v_add_co_ci_u32_e32 v7, vcc_lo, s15, v3, vcc_lo
	v_add_co_u32 v2, vcc_lo, s22, v4
	v_add_co_ci_u32_e32 v3, vcc_lo, s23, v5, vcc_lo
	global_load_b32 v4, v[6:7], off
	global_load_b32 v5, v[2:3], off
	s_waitcnt vmcnt(2)
	v_mul_f32_e32 v6, s20, v8
	s_waitcnt vmcnt(1)
	s_delay_alu instid0(VALU_DEP_1)
	v_mul_f32_e32 v6, v6, v4
.LBB10_37:                              ;   Parent Loop BB10_31 Depth=1
                                        ; =>  This Inner Loop Header: Depth=2
	s_waitcnt vmcnt(0)
	s_delay_alu instid0(VALU_DEP_1)
	v_add_f32_e32 v4, v5, v6
	global_atomic_cmpswap_b32 v4, v[2:3], v[4:5], off glc
	s_waitcnt vmcnt(0)
	v_cmp_eq_u32_e32 vcc_lo, v4, v5
	v_mov_b32_e32 v5, v4
	s_or_b32 s18, vcc_lo, s18
	s_delay_alu instid0(SALU_CYCLE_1)
	s_and_not1_b32 exec_lo, exec_lo, s18
	s_cbranch_execnz .LBB10_37
	s_branch .LBB10_30
.LBB10_38:
	s_endpgm
	.section	.rodata,"a",@progbits
	.p2align	6, 0x0
	.amdhsa_kernel _ZL33csrmvn_symm_large_adaptive_kernelIllffffEvbT_PKS0_N9rocsparse24const_host_device_scalarIT4_EES2_PKT0_PKT1_PKT2_S6_PT3_21rocsparse_index_base_b
		.amdhsa_group_segment_fixed_size 4096
		.amdhsa_private_segment_fixed_size 0
		.amdhsa_kernarg_size 88
		.amdhsa_user_sgpr_count 15
		.amdhsa_user_sgpr_dispatch_ptr 0
		.amdhsa_user_sgpr_queue_ptr 0
		.amdhsa_user_sgpr_kernarg_segment_ptr 1
		.amdhsa_user_sgpr_dispatch_id 0
		.amdhsa_user_sgpr_private_segment_size 0
		.amdhsa_wavefront_size32 1
		.amdhsa_uses_dynamic_stack 0
		.amdhsa_enable_private_segment 0
		.amdhsa_system_sgpr_workgroup_id_x 1
		.amdhsa_system_sgpr_workgroup_id_y 0
		.amdhsa_system_sgpr_workgroup_id_z 0
		.amdhsa_system_sgpr_workgroup_info 0
		.amdhsa_system_vgpr_workitem_id 0
		.amdhsa_next_free_vgpr 14
		.amdhsa_next_free_sgpr 36
		.amdhsa_reserve_vcc 1
		.amdhsa_float_round_mode_32 0
		.amdhsa_float_round_mode_16_64 0
		.amdhsa_float_denorm_mode_32 3
		.amdhsa_float_denorm_mode_16_64 3
		.amdhsa_dx10_clamp 1
		.amdhsa_ieee_mode 1
		.amdhsa_fp16_overflow 0
		.amdhsa_workgroup_processor_mode 1
		.amdhsa_memory_ordered 1
		.amdhsa_forward_progress 0
		.amdhsa_shared_vgpr_count 0
		.amdhsa_exception_fp_ieee_invalid_op 0
		.amdhsa_exception_fp_denorm_src 0
		.amdhsa_exception_fp_ieee_div_zero 0
		.amdhsa_exception_fp_ieee_overflow 0
		.amdhsa_exception_fp_ieee_underflow 0
		.amdhsa_exception_fp_ieee_inexact 0
		.amdhsa_exception_int_div_zero 0
	.end_amdhsa_kernel
	.section	.text._ZL33csrmvn_symm_large_adaptive_kernelIllffffEvbT_PKS0_N9rocsparse24const_host_device_scalarIT4_EES2_PKT0_PKT1_PKT2_S6_PT3_21rocsparse_index_base_b,"axG",@progbits,_ZL33csrmvn_symm_large_adaptive_kernelIllffffEvbT_PKS0_N9rocsparse24const_host_device_scalarIT4_EES2_PKT0_PKT1_PKT2_S6_PT3_21rocsparse_index_base_b,comdat
.Lfunc_end10:
	.size	_ZL33csrmvn_symm_large_adaptive_kernelIllffffEvbT_PKS0_N9rocsparse24const_host_device_scalarIT4_EES2_PKT0_PKT1_PKT2_S6_PT3_21rocsparse_index_base_b, .Lfunc_end10-_ZL33csrmvn_symm_large_adaptive_kernelIllffffEvbT_PKS0_N9rocsparse24const_host_device_scalarIT4_EES2_PKT0_PKT1_PKT2_S6_PT3_21rocsparse_index_base_b
                                        ; -- End function
	.section	.AMDGPU.csdata,"",@progbits
; Kernel info:
; codeLenInByte = 1944
; NumSgprs: 38
; NumVgprs: 14
; ScratchSize: 0
; MemoryBound: 0
; FloatMode: 240
; IeeeMode: 1
; LDSByteSize: 4096 bytes/workgroup (compile time only)
; SGPRBlocks: 4
; VGPRBlocks: 1
; NumSGPRsForWavesPerEU: 38
; NumVGPRsForWavesPerEU: 14
; Occupancy: 16
; WaveLimiterHint : 1
; COMPUTE_PGM_RSRC2:SCRATCH_EN: 0
; COMPUTE_PGM_RSRC2:USER_SGPR: 15
; COMPUTE_PGM_RSRC2:TRAP_HANDLER: 0
; COMPUTE_PGM_RSRC2:TGID_X_EN: 1
; COMPUTE_PGM_RSRC2:TGID_Y_EN: 0
; COMPUTE_PGM_RSRC2:TGID_Z_EN: 0
; COMPUTE_PGM_RSRC2:TIDIG_COMP_CNT: 0
	.section	.text._ZN9rocsparseL22csrmvn_adaptive_kernelIiiddddEEvbT_PKS1_PjPKT0_NS_24const_host_device_scalarIT4_EES3_S7_PKT1_PKT2_SA_PT3_21rocsparse_index_base_b,"axG",@progbits,_ZN9rocsparseL22csrmvn_adaptive_kernelIiiddddEEvbT_PKS1_PjPKT0_NS_24const_host_device_scalarIT4_EES3_S7_PKT1_PKT2_SA_PT3_21rocsparse_index_base_b,comdat
	.globl	_ZN9rocsparseL22csrmvn_adaptive_kernelIiiddddEEvbT_PKS1_PjPKT0_NS_24const_host_device_scalarIT4_EES3_S7_PKT1_PKT2_SA_PT3_21rocsparse_index_base_b ; -- Begin function _ZN9rocsparseL22csrmvn_adaptive_kernelIiiddddEEvbT_PKS1_PjPKT0_NS_24const_host_device_scalarIT4_EES3_S7_PKT1_PKT2_SA_PT3_21rocsparse_index_base_b
	.p2align	8
	.type	_ZN9rocsparseL22csrmvn_adaptive_kernelIiiddddEEvbT_PKS1_PjPKT0_NS_24const_host_device_scalarIT4_EES3_S7_PKT1_PKT2_SA_PT3_21rocsparse_index_base_b,@function
_ZN9rocsparseL22csrmvn_adaptive_kernelIiiddddEEvbT_PKS1_PjPKT0_NS_24const_host_device_scalarIT4_EES3_S7_PKT1_PKT2_SA_PT3_21rocsparse_index_base_b: ; @_ZN9rocsparseL22csrmvn_adaptive_kernelIiiddddEEvbT_PKS1_PjPKT0_NS_24const_host_device_scalarIT4_EES3_S7_PKT1_PKT2_SA_PT3_21rocsparse_index_base_b
; %bb.0:
	s_clause 0x2
	s_load_b64 s[26:27], s[0:1], 0x58
	s_load_b64 s[4:5], s[0:1], 0x20
	;; [unrolled: 1-line block ×3, first 2 shown]
	s_mov_b32 s30, s15
	s_waitcnt lgkmcnt(0)
	s_bitcmp1_b32 s27, 0
	v_dual_mov_b32 v8, s5 :: v_dual_mov_b32 v7, s4
	s_cselect_b32 s6, -1, 0
	s_delay_alu instid0(SALU_CYCLE_1)
	s_and_b32 vcc_lo, exec_lo, s6
	s_xor_b32 s6, s6, -1
	s_cbranch_vccnz .LBB11_2
; %bb.1:
	v_dual_mov_b32 v1, s4 :: v_dual_mov_b32 v2, s5
	flat_load_b64 v[7:8], v[1:2]
.LBB11_2:
	v_dual_mov_b32 v6, s3 :: v_dual_mov_b32 v5, s2
	s_and_not1_b32 vcc_lo, exec_lo, s6
	s_cbranch_vccnz .LBB11_4
; %bb.3:
	v_dual_mov_b32 v1, s2 :: v_dual_mov_b32 v2, s3
	flat_load_b64 v[5:6], v[1:2]
.LBB11_4:
	s_waitcnt vmcnt(0) lgkmcnt(0)
	v_cmp_neq_f64_e32 vcc_lo, 0, v[7:8]
	v_cmp_neq_f64_e64 s2, 1.0, v[5:6]
	s_delay_alu instid0(VALU_DEP_1) | instskip(NEXT) | instid1(SALU_CYCLE_1)
	s_or_b32 s2, vcc_lo, s2
	s_and_saveexec_b32 s3, s2
	s_cbranch_execz .LBB11_116
; %bb.5:
	s_clause 0x2
	s_load_b64 s[2:3], s[0:1], 0x8
	s_load_b64 s[4:5], s[0:1], 0x18
	;; [unrolled: 1-line block ×3, first 2 shown]
	s_ashr_i32 s31, s30, 31
	s_delay_alu instid0(SALU_CYCLE_1)
	s_lshl_b64 s[34:35], s[30:31], 2
	s_waitcnt lgkmcnt(0)
	s_add_u32 s2, s2, s34
	s_addc_u32 s3, s3, s35
	s_load_b64 s[22:23], s[2:3], 0x0
	s_load_b256 s[12:19], s[0:1], 0x28
	s_mov_b32 s3, -1
	s_waitcnt lgkmcnt(0)
	s_sub_i32 s2, s23, s22
	s_add_u32 s4, s4, s34
	s_addc_u32 s5, s5, s35
	s_ashr_i32 s29, s22, 31
	s_mov_b32 s28, s22
	s_delay_alu instid0(SALU_CYCLE_1) | instskip(NEXT) | instid1(SALU_CYCLE_1)
	s_lshl_b64 s[6:7], s[28:29], 2
	s_add_u32 s24, s12, s6
	s_addc_u32 s25, s13, s7
	s_load_b32 s27, s[4:5], 0x0
	s_load_b32 s31, s[24:25], 0x0
	s_cmp_lt_i32 s2, 2
	s_cbranch_scc0 .LBB11_72
; %bb.6:
	s_cmp_lg_u32 s2, 1
	s_cselect_b32 s2, -1, 0
	s_waitcnt lgkmcnt(0)
	s_cmp_lg_u32 s27, 0
	s_cselect_b32 s3, -1, 0
	s_delay_alu instid0(SALU_CYCLE_1) | instskip(NEXT) | instid1(SALU_CYCLE_1)
	s_or_b32 s2, s2, s3
	s_and_b32 vcc_lo, exec_lo, s2
	s_mov_b32 s2, -1
	s_cbranch_vccnz .LBB11_35
; %bb.7:
	s_cmp_le_i32 s23, s22
	s_cbranch_scc1 .LBB11_34
; %bb.8:
	v_cmp_neq_f64_e32 vcc_lo, 0, v[5:6]
	v_subrev_nc_u32_e32 v13, s26, v0
	v_dual_mov_b32 v15, 0 :: v_dual_lshlrev_b32 v14, 3, v0
	v_cmp_gt_u32_e64 s2, 0x80, v0
	v_cmp_gt_u32_e64 s3, 64, v0
	;; [unrolled: 1-line block ×7, first 2 shown]
	v_cmp_eq_u32_e64 s9, 0, v0
	s_add_u32 s33, s12, 4
	s_addc_u32 s38, s13, 0
	s_mov_b32 s39, s31
	s_mov_b32 s36, s22
	s_branch .LBB11_11
.LBB11_9:                               ;   in Loop: Header=BB11_11 Depth=1
	s_or_b32 exec_lo, exec_lo, s11
	s_lshl_b64 s[40:41], s[36:37], 3
	s_delay_alu instid0(SALU_CYCLE_1)
	s_add_u32 s40, s20, s40
	s_addc_u32 s41, s21, s41
	s_waitcnt lgkmcnt(0)
	global_store_b64 v15, v[1:2], s[40:41]
.LBB11_10:                              ;   in Loop: Header=BB11_11 Depth=1
	s_or_b32 exec_lo, exec_lo, s10
	s_add_i32 s36, s36, 1
	s_delay_alu instid0(SALU_CYCLE_1)
	s_cmp_ge_i32 s36, s23
	s_cbranch_scc1 .LBB11_34
.LBB11_11:                              ; =>This Loop Header: Depth=1
                                        ;     Child Loop BB11_13 Depth 2
	s_ashr_i32 s37, s36, 31
	s_mov_b32 s40, s39
	s_lshl_b64 s[10:11], s[36:37], 2
	v_mov_b32_e32 v3, 0
	s_add_u32 s10, s33, s10
	s_addc_u32 s11, s38, s11
	v_dual_mov_b32 v4, 0 :: v_dual_add_nc_u32 v1, s40, v13
	s_load_b32 s39, s[10:11], 0x0
	s_mov_b32 s40, exec_lo
	s_waitcnt lgkmcnt(0)
	s_sub_i32 s41, s39, s26
	s_delay_alu instid0(SALU_CYCLE_1)
	v_cmpx_gt_i32_e64 s41, v1
	s_cbranch_execz .LBB11_15
; %bb.12:                               ;   in Loop: Header=BB11_11 Depth=1
	v_ashrrev_i32_e32 v2, 31, v1
	v_mov_b32_e32 v3, 0
	v_mov_b32_e32 v4, 0
	s_mov_b32 s42, 0
	s_delay_alu instid0(VALU_DEP_3) | instskip(SKIP_1) | instid1(VALU_DEP_2)
	v_lshlrev_b64 v[9:10], 3, v[1:2]
	v_lshlrev_b64 v[11:12], 2, v[1:2]
	v_add_co_u32 v9, s10, s16, v9
	s_delay_alu instid0(VALU_DEP_1) | instskip(NEXT) | instid1(VALU_DEP_3)
	v_add_co_ci_u32_e64 v10, s10, s17, v10, s10
	v_add_co_u32 v11, s10, s14, v11
	s_delay_alu instid0(VALU_DEP_1)
	v_add_co_ci_u32_e64 v12, s10, s15, v12, s10
	s_set_inst_prefetch_distance 0x1
	.p2align	6
.LBB11_13:                              ;   Parent Loop BB11_11 Depth=1
                                        ; =>  This Inner Loop Header: Depth=2
	global_load_b32 v2, v[11:12], off
	global_load_b64 v[16:17], v[9:10], off
	v_add_nc_u32_e32 v1, 0x100, v1
	v_add_co_u32 v11, s11, 0x400, v11
	s_delay_alu instid0(VALU_DEP_1) | instskip(SKIP_4) | instid1(VALU_DEP_2)
	v_add_co_ci_u32_e64 v12, s11, 0, v12, s11
	s_waitcnt vmcnt(1)
	v_subrev_nc_u32_e32 v18, s26, v2
	s_waitcnt vmcnt(0)
	v_mul_f64 v[16:17], v[7:8], v[16:17]
	v_ashrrev_i32_e32 v19, 31, v18
	s_delay_alu instid0(VALU_DEP_1) | instskip(NEXT) | instid1(VALU_DEP_1)
	v_lshlrev_b64 v[18:19], 3, v[18:19]
	v_add_co_u32 v18, s10, s18, v18
	s_delay_alu instid0(VALU_DEP_1) | instskip(SKIP_1) | instid1(VALU_DEP_1)
	v_add_co_ci_u32_e64 v19, s10, s19, v19, s10
	v_add_co_u32 v9, s10, 0x800, v9
	v_add_co_ci_u32_e64 v10, s10, 0, v10, s10
	global_load_b64 v[18:19], v[18:19], off
	v_cmp_le_i32_e64 s10, s41, v1
	s_delay_alu instid0(VALU_DEP_1)
	s_or_b32 s42, s10, s42
	s_waitcnt vmcnt(0)
	v_fma_f64 v[3:4], v[16:17], v[18:19], v[3:4]
	s_and_not1_b32 exec_lo, exec_lo, s42
	s_cbranch_execnz .LBB11_13
; %bb.14:                               ;   in Loop: Header=BB11_11 Depth=1
	s_set_inst_prefetch_distance 0x2
	s_or_b32 exec_lo, exec_lo, s42
.LBB11_15:                              ;   in Loop: Header=BB11_11 Depth=1
	s_delay_alu instid0(SALU_CYCLE_1)
	s_or_b32 exec_lo, exec_lo, s40
	ds_store_b64 v14, v[3:4]
	s_waitcnt lgkmcnt(0)
	s_waitcnt_vscnt null, 0x0
	s_barrier
	buffer_gl0_inv
	s_and_saveexec_b32 s10, s2
	s_cbranch_execz .LBB11_17
; %bb.16:                               ;   in Loop: Header=BB11_11 Depth=1
	ds_load_2addr_stride64_b64 v[1:4], v14 offset1:2
	s_waitcnt lgkmcnt(0)
	v_add_f64 v[1:2], v[1:2], v[3:4]
	ds_store_b64 v14, v[1:2]
.LBB11_17:                              ;   in Loop: Header=BB11_11 Depth=1
	s_or_b32 exec_lo, exec_lo, s10
	s_waitcnt lgkmcnt(0)
	s_barrier
	buffer_gl0_inv
	s_and_saveexec_b32 s10, s3
	s_cbranch_execz .LBB11_19
; %bb.18:                               ;   in Loop: Header=BB11_11 Depth=1
	ds_load_2addr_stride64_b64 v[1:4], v14 offset1:1
	s_waitcnt lgkmcnt(0)
	v_add_f64 v[1:2], v[1:2], v[3:4]
	ds_store_b64 v14, v[1:2]
.LBB11_19:                              ;   in Loop: Header=BB11_11 Depth=1
	s_or_b32 exec_lo, exec_lo, s10
	s_waitcnt lgkmcnt(0)
	s_barrier
	buffer_gl0_inv
	s_and_saveexec_b32 s10, s4
	s_cbranch_execz .LBB11_21
; %bb.20:                               ;   in Loop: Header=BB11_11 Depth=1
	ds_load_2addr_b64 v[1:4], v14 offset1:32
	s_waitcnt lgkmcnt(0)
	v_add_f64 v[1:2], v[1:2], v[3:4]
	ds_store_b64 v14, v[1:2]
.LBB11_21:                              ;   in Loop: Header=BB11_11 Depth=1
	s_or_b32 exec_lo, exec_lo, s10
	s_waitcnt lgkmcnt(0)
	s_barrier
	buffer_gl0_inv
	s_and_saveexec_b32 s10, s5
	s_cbranch_execz .LBB11_23
; %bb.22:                               ;   in Loop: Header=BB11_11 Depth=1
	ds_load_2addr_b64 v[1:4], v14 offset1:16
	s_waitcnt lgkmcnt(0)
	v_add_f64 v[1:2], v[1:2], v[3:4]
	ds_store_b64 v14, v[1:2]
.LBB11_23:                              ;   in Loop: Header=BB11_11 Depth=1
	;; [unrolled: 12-line block ×5, first 2 shown]
	s_or_b32 exec_lo, exec_lo, s10
	s_waitcnt lgkmcnt(0)
	s_barrier
	buffer_gl0_inv
	s_and_saveexec_b32 s10, s9
	s_cbranch_execz .LBB11_31
; %bb.30:                               ;   in Loop: Header=BB11_11 Depth=1
	ds_load_b128 v[1:4], v15
	s_waitcnt lgkmcnt(0)
	v_add_f64 v[1:2], v[1:2], v[3:4]
	ds_store_b64 v15, v[1:2]
.LBB11_31:                              ;   in Loop: Header=BB11_11 Depth=1
	s_or_b32 exec_lo, exec_lo, s10
	s_waitcnt lgkmcnt(0)
	s_barrier
	buffer_gl0_inv
	s_and_saveexec_b32 s10, s9
	s_cbranch_execz .LBB11_10
; %bb.32:                               ;   in Loop: Header=BB11_11 Depth=1
	ds_load_b64 v[1:2], v15
	s_and_saveexec_b32 s11, vcc_lo
	s_cbranch_execz .LBB11_9
; %bb.33:                               ;   in Loop: Header=BB11_11 Depth=1
	s_lshl_b64 s[40:41], s[36:37], 3
	s_delay_alu instid0(SALU_CYCLE_1)
	s_add_u32 s40, s20, s40
	s_addc_u32 s41, s21, s41
	global_load_b64 v[3:4], v15, s[40:41]
	s_waitcnt vmcnt(0) lgkmcnt(0)
	v_fma_f64 v[1:2], v[5:6], v[3:4], v[1:2]
	s_branch .LBB11_9
.LBB11_34:
	s_mov_b32 s2, 0
.LBB11_35:
	s_delay_alu instid0(SALU_CYCLE_1)
	s_and_not1_b32 vcc_lo, exec_lo, s2
	s_cbranch_vccnz .LBB11_71
; %bb.36:
	s_load_b64 s[6:7], s[0:1], 0x10
	s_sub_i32 s8, s30, s27
	v_mov_b32_e32 v1, 0
	v_or_b32_e32 v3, s27, v0
	v_mov_b32_e32 v2, 0
	s_mov_b32 s11, exec_lo
	s_waitcnt lgkmcnt(0)
	s_add_u32 s4, s6, s34
	s_addc_u32 s5, s7, s35
	s_load_b32 s10, s[4:5], 0x0
	v_cmpx_eq_u32_e32 0, v3
	s_cbranch_execz .LBB11_40
; %bb.37:
	v_add_f64 v[1:2], v[5:6], -1.0
	s_lshl_b64 s[2:3], s[28:29], 3
	s_mov_b32 s30, exec_lo
	s_add_u32 s2, s20, s2
	s_addc_u32 s3, s21, s3
	v_mbcnt_lo_u32_b32 v3, s30, 0
	s_load_b64 s[2:3], s[2:3], 0x0
	s_mov_b32 s33, exec_lo
	s_waitcnt vmcnt(0) expcnt(0) lgkmcnt(0)
	s_waitcnt_vscnt null, 0x0
	v_cmpx_eq_u32_e32 0, v3
	s_cbranch_execz .LBB11_39
; %bb.38:
	s_ashr_i32 s9, s8, 31
	s_delay_alu instid0(SALU_CYCLE_1) | instskip(NEXT) | instid1(SALU_CYCLE_1)
	s_lshl_b64 s[34:35], s[8:9], 2
	s_add_u32 s34, s6, s34
	s_addc_u32 s35, s7, s35
	s_bcnt1_i32_b32 s9, s30
	s_delay_alu instid0(SALU_CYCLE_1) | instskip(NEXT) | instid1(SALU_CYCLE_1)
	s_and_b32 s9, s9, 1
	v_dual_mov_b32 v3, 0 :: v_dual_mov_b32 v4, s9
	global_atomic_xor_b32 v3, v4, s[34:35]
.LBB11_39:
	s_or_b32 exec_lo, exec_lo, s33
	s_delay_alu instid0(VALU_DEP_3)
	v_mul_f64 v[1:2], v[1:2], s[2:3]
.LBB11_40:
	s_or_b32 exec_lo, exec_lo, s11
	s_load_b32 s2, s[24:25], 0x4
	s_mul_i32 s3, s27, 0xc00
	s_sub_i32 s9, s31, s26
	s_delay_alu instid0(SALU_CYCLE_1)
	s_add_i32 s9, s9, s3
	s_mov_b32 s3, exec_lo
	v_add_nc_u32_e32 v3, s9, v0
	s_waitcnt lgkmcnt(0)
	s_sub_i32 s2, s2, s26
	s_delay_alu instid0(VALU_DEP_1) | instid1(SALU_CYCLE_1)
	v_cmpx_gt_i32_e64 s2, v3
	s_cbranch_execz .LBB11_44
; %bb.41:
	v_ashrrev_i32_e32 v4, 31, v3
	s_addk_i32 s9, 0xc00
	s_mov_b32 s11, 0
	s_min_i32 s9, s9, s2
	s_delay_alu instid0(VALU_DEP_1) | instskip(SKIP_1) | instid1(VALU_DEP_2)
	v_lshlrev_b64 v[9:10], 3, v[3:4]
	v_lshlrev_b64 v[11:12], 2, v[3:4]
	v_add_co_u32 v9, vcc_lo, s16, v9
	s_delay_alu instid0(VALU_DEP_3) | instskip(NEXT) | instid1(VALU_DEP_3)
	v_add_co_ci_u32_e32 v10, vcc_lo, s17, v10, vcc_lo
	v_add_co_u32 v11, vcc_lo, s14, v11
	s_delay_alu instid0(VALU_DEP_4)
	v_add_co_ci_u32_e32 v12, vcc_lo, s15, v12, vcc_lo
	.p2align	6
.LBB11_42:                              ; =>This Inner Loop Header: Depth=1
	global_load_b32 v4, v[11:12], off
	global_load_b64 v[13:14], v[9:10], off
	v_add_nc_u32_e32 v3, 0x100, v3
	v_add_co_u32 v11, s2, 0x400, v11
	s_delay_alu instid0(VALU_DEP_1) | instskip(SKIP_4) | instid1(VALU_DEP_2)
	v_add_co_ci_u32_e64 v12, s2, 0, v12, s2
	s_waitcnt vmcnt(1)
	v_subrev_nc_u32_e32 v15, s26, v4
	s_waitcnt vmcnt(0)
	v_mul_f64 v[13:14], v[7:8], v[13:14]
	v_ashrrev_i32_e32 v16, 31, v15
	s_delay_alu instid0(VALU_DEP_1) | instskip(NEXT) | instid1(VALU_DEP_1)
	v_lshlrev_b64 v[15:16], 3, v[15:16]
	v_add_co_u32 v15, vcc_lo, s18, v15
	s_delay_alu instid0(VALU_DEP_2)
	v_add_co_ci_u32_e32 v16, vcc_lo, s19, v16, vcc_lo
	v_add_co_u32 v9, vcc_lo, 0x800, v9
	v_add_co_ci_u32_e32 v10, vcc_lo, 0, v10, vcc_lo
	global_load_b64 v[15:16], v[15:16], off
	v_cmp_le_i32_e32 vcc_lo, s9, v3
	s_or_b32 s11, vcc_lo, s11
	s_waitcnt vmcnt(0)
	v_fma_f64 v[1:2], v[13:14], v[15:16], v[1:2]
	s_and_not1_b32 exec_lo, exec_lo, s11
	s_cbranch_execnz .LBB11_42
; %bb.43:
	s_or_b32 exec_lo, exec_lo, s11
.LBB11_44:
	s_delay_alu instid0(SALU_CYCLE_1)
	s_or_b32 exec_lo, exec_lo, s3
	v_lshlrev_b32_e32 v3, 3, v0
	s_mov_b32 s2, exec_lo
	ds_store_b64 v3, v[1:2]
	s_waitcnt lgkmcnt(0)
	s_waitcnt_vscnt null, 0x0
	s_barrier
	buffer_gl0_inv
	v_cmpx_gt_u32_e32 0x80, v0
	s_cbranch_execz .LBB11_46
; %bb.45:
	ds_load_2addr_stride64_b64 v[9:12], v3 offset1:2
	s_waitcnt lgkmcnt(0)
	v_add_f64 v[1:2], v[9:10], v[11:12]
	ds_store_b64 v3, v[1:2]
.LBB11_46:
	s_or_b32 exec_lo, exec_lo, s2
	s_delay_alu instid0(SALU_CYCLE_1)
	s_mov_b32 s2, exec_lo
	s_waitcnt lgkmcnt(0)
	s_barrier
	buffer_gl0_inv
	v_cmpx_gt_u32_e32 64, v0
	s_cbranch_execz .LBB11_48
; %bb.47:
	ds_load_2addr_stride64_b64 v[9:12], v3 offset1:1
	s_waitcnt lgkmcnt(0)
	v_add_f64 v[1:2], v[9:10], v[11:12]
	ds_store_b64 v3, v[1:2]
.LBB11_48:
	s_or_b32 exec_lo, exec_lo, s2
	s_delay_alu instid0(SALU_CYCLE_1)
	s_mov_b32 s2, exec_lo
	s_waitcnt lgkmcnt(0)
	s_barrier
	buffer_gl0_inv
	v_cmpx_gt_u32_e32 32, v0
	s_cbranch_execz .LBB11_50
; %bb.49:
	ds_load_2addr_b64 v[9:12], v3 offset1:32
	s_waitcnt lgkmcnt(0)
	v_add_f64 v[1:2], v[9:10], v[11:12]
	ds_store_b64 v3, v[1:2]
.LBB11_50:
	s_or_b32 exec_lo, exec_lo, s2
	s_delay_alu instid0(SALU_CYCLE_1)
	s_mov_b32 s2, exec_lo
	s_waitcnt lgkmcnt(0)
	s_barrier
	buffer_gl0_inv
	v_cmpx_gt_u32_e32 16, v0
	s_cbranch_execz .LBB11_52
; %bb.51:
	ds_load_2addr_b64 v[9:12], v3 offset1:16
	s_waitcnt lgkmcnt(0)
	v_add_f64 v[1:2], v[9:10], v[11:12]
	ds_store_b64 v3, v[1:2]
.LBB11_52:
	;; [unrolled: 14-line block ×5, first 2 shown]
	s_or_b32 exec_lo, exec_lo, s2
	v_cmp_eq_u32_e32 vcc_lo, 0, v0
	s_waitcnt lgkmcnt(0)
	s_barrier
	buffer_gl0_inv
	s_and_saveexec_b32 s2, vcc_lo
	s_cbranch_execz .LBB11_60
; %bb.59:
	v_mov_b32_e32 v9, 0
	ds_load_b128 v[1:4], v9
	s_waitcnt lgkmcnt(0)
	v_add_f64 v[1:2], v[1:2], v[3:4]
	ds_store_b64 v9, v[1:2]
.LBB11_60:
	s_or_b32 exec_lo, exec_lo, s2
	s_waitcnt lgkmcnt(0)
	s_barrier
	buffer_gl0_inv
	s_and_saveexec_b32 s11, vcc_lo
	s_cbranch_execz .LBB11_70
; %bb.61:
	s_cmp_eq_u32 s27, 0
	s_cbranch_scc1 .LBB11_67
; %bb.62:
	s_ashr_i32 s9, s8, 31
	v_mov_b32_e32 v1, 0
	s_lshl_b64 s[2:3], s[8:9], 2
	s_delay_alu instid0(SALU_CYCLE_1)
	s_add_u32 s2, s6, s2
	s_addc_u32 s3, s7, s3
	s_branch .LBB11_64
.LBB11_63:                              ;   in Loop: Header=BB11_64 Depth=1
	s_or_b32 exec_lo, exec_lo, s6
	s_waitcnt vmcnt(0)
	v_readfirstlane_b32 s6, v2
	s_delay_alu instid0(VALU_DEP_1)
	s_cmp_eq_u32 s6, s10
	s_cbranch_scc0 .LBB11_66
.LBB11_64:                              ; =>This Inner Loop Header: Depth=1
	v_mbcnt_lo_u32_b32 v2, exec_lo, 0
	s_delay_alu instid0(VALU_DEP_1)
	v_cmp_eq_u32_e32 vcc_lo, 0, v2
                                        ; implicit-def: $vgpr2
	s_and_saveexec_b32 s6, vcc_lo
	s_cbranch_execz .LBB11_63
; %bb.65:                               ;   in Loop: Header=BB11_64 Depth=1
	global_load_b32 v2, v1, s[2:3] glc
	s_branch .LBB11_63
.LBB11_66:
	v_mov_b32_e32 v1, 0
	global_load_b32 v2, v1, s[4:5]
	s_waitcnt vmcnt(0)
	v_xor_b32_e32 v2, 1, v2
	global_store_b32 v1, v2, s[4:5]
.LBB11_67:
	s_mov_b32 s4, exec_lo
	s_delay_alu instid0(SALU_CYCLE_1) | instskip(NEXT) | instid1(VALU_DEP_1)
	v_mbcnt_lo_u32_b32 v1, s4, 0
	v_cmp_eq_u32_e32 vcc_lo, 0, v1
	s_and_b32 s2, exec_lo, vcc_lo
	s_delay_alu instid0(SALU_CYCLE_1)
	s_mov_b32 exec_lo, s2
	s_cbranch_execz .LBB11_70
; %bb.68:
	s_lshl_b64 s[2:3], s[28:29], 3
	v_mov_b32_e32 v11, 0
	s_add_u32 s2, s20, s2
	s_addc_u32 s3, s21, s3
	s_bcnt1_i32_b32 s4, s4
	global_load_b64 v[3:4], v11, s[2:3]
	ds_load_b64 v[9:10], v11
	v_cvt_f64_u32_e32 v[1:2], s4
	s_mov_b32 s4, 0
	s_waitcnt lgkmcnt(0)
	s_delay_alu instid0(VALU_DEP_1)
	v_mul_f64 v[9:10], v[9:10], v[1:2]
.LBB11_69:                              ; =>This Inner Loop Header: Depth=1
	s_waitcnt vmcnt(0)
	s_delay_alu instid0(VALU_DEP_1)
	v_add_f64 v[1:2], v[3:4], v[9:10]
	global_atomic_cmpswap_b64 v[1:2], v11, v[1:4], s[2:3] glc
	s_waitcnt vmcnt(0)
	v_cmp_eq_u64_e32 vcc_lo, v[1:2], v[3:4]
	v_dual_mov_b32 v4, v2 :: v_dual_mov_b32 v3, v1
	s_or_b32 s4, vcc_lo, s4
	s_delay_alu instid0(SALU_CYCLE_1)
	s_and_not1_b32 exec_lo, exec_lo, s4
	s_cbranch_execnz .LBB11_69
.LBB11_70:
	s_or_b32 exec_lo, exec_lo, s11
.LBB11_71:
	s_mov_b32 s3, 0
.LBB11_72:
	s_delay_alu instid0(SALU_CYCLE_1)
	s_and_not1_b32 vcc_lo, exec_lo, s3
	s_cbranch_vccnz .LBB11_116
; %bb.73:
	s_load_b32 s0, s[0:1], 0x4
	v_subrev_nc_u32_e32 v1, s26, v0
	s_waitcnt lgkmcnt(0)
	s_delay_alu instid0(VALU_DEP_1) | instskip(NEXT) | instid1(VALU_DEP_1)
	v_add_nc_u32_e32 v1, s31, v1
	v_add_nc_u32_e32 v2, 0x300, v1
	s_delay_alu instid0(VALU_DEP_1) | instskip(SKIP_1) | instid1(SALU_CYCLE_1)
	v_cmp_le_i32_e32 vcc_lo, s0, v2
	s_and_saveexec_b32 s0, vcc_lo
	s_xor_b32 s0, exec_lo, s0
	s_cbranch_execz .LBB11_78
; %bb.74:
	s_ashr_i32 s3, s23, 31
	s_mov_b32 s2, s23
	s_delay_alu instid0(SALU_CYCLE_1) | instskip(NEXT) | instid1(SALU_CYCLE_1)
	s_lshl_b64 s[2:3], s[2:3], 2
	s_add_u32 s2, s12, s2
	s_addc_u32 s3, s13, s3
	s_load_b32 s1, s[2:3], 0x0
	s_mov_b32 s2, exec_lo
	s_waitcnt lgkmcnt(0)
	s_sub_i32 s1, s1, s26
	s_delay_alu instid0(SALU_CYCLE_1)
	v_cmpx_gt_i32_e64 s1, v1
	s_cbranch_execz .LBB11_77
; %bb.75:
	v_lshlrev_b32_e32 v3, 3, v0
	s_mov_b32 s3, 0
	s_set_inst_prefetch_distance 0x1
	.p2align	6
.LBB11_76:                              ; =>This Inner Loop Header: Depth=1
	v_ashrrev_i32_e32 v2, 31, v1
	s_delay_alu instid0(VALU_DEP_1) | instskip(NEXT) | instid1(VALU_DEP_1)
	v_lshlrev_b64 v[9:10], 2, v[1:2]
	v_add_co_u32 v9, vcc_lo, s14, v9
	s_delay_alu instid0(VALU_DEP_2) | instskip(SKIP_3) | instid1(VALU_DEP_2)
	v_add_co_ci_u32_e32 v10, vcc_lo, s15, v10, vcc_lo
	global_load_b32 v4, v[9:10], off
	v_lshlrev_b64 v[9:10], 3, v[1:2]
	v_add_nc_u32_e32 v1, 0x100, v1
	v_add_co_u32 v9, vcc_lo, s16, v9
	s_delay_alu instid0(VALU_DEP_3) | instskip(SKIP_3) | instid1(VALU_DEP_1)
	v_add_co_ci_u32_e32 v10, vcc_lo, s17, v10, vcc_lo
	global_load_b64 v[9:10], v[9:10], off
	s_waitcnt vmcnt(1)
	v_subrev_nc_u32_e32 v11, s26, v4
	v_ashrrev_i32_e32 v12, 31, v11
	s_delay_alu instid0(VALU_DEP_1) | instskip(SKIP_2) | instid1(VALU_DEP_2)
	v_lshlrev_b64 v[11:12], 3, v[11:12]
	s_waitcnt vmcnt(0)
	v_mul_f64 v[9:10], v[7:8], v[9:10]
	v_add_co_u32 v11, vcc_lo, s18, v11
	s_delay_alu instid0(VALU_DEP_3)
	v_add_co_ci_u32_e32 v12, vcc_lo, s19, v12, vcc_lo
	v_cmp_le_i32_e32 vcc_lo, s1, v1
	global_load_b64 v[11:12], v[11:12], off
	s_or_b32 s3, vcc_lo, s3
	s_waitcnt vmcnt(0)
	v_mul_f64 v[9:10], v[9:10], v[11:12]
	ds_store_b64 v3, v[9:10]
	v_add_nc_u32_e32 v3, 0x800, v3
	s_and_not1_b32 exec_lo, exec_lo, s3
	s_cbranch_execnz .LBB11_76
.LBB11_77:
	s_set_inst_prefetch_distance 0x2
	s_or_b32 exec_lo, exec_lo, s2
                                        ; implicit-def: $vgpr1
                                        ; implicit-def: $vgpr7_vgpr8
.LBB11_78:
	s_or_saveexec_b32 s0, s0
	v_lshlrev_b32_e32 v9, 3, v0
	s_xor_b32 exec_lo, exec_lo, s0
	s_cbranch_execz .LBB11_80
; %bb.79:
	v_ashrrev_i32_e32 v2, 31, v1
	s_delay_alu instid0(VALU_DEP_1) | instskip(SKIP_1) | instid1(VALU_DEP_2)
	v_lshlrev_b64 v[3:4], 2, v[1:2]
	v_lshlrev_b64 v[1:2], 3, v[1:2]
	v_add_co_u32 v3, vcc_lo, s14, v3
	s_delay_alu instid0(VALU_DEP_3) | instskip(NEXT) | instid1(VALU_DEP_3)
	v_add_co_ci_u32_e32 v4, vcc_lo, s15, v4, vcc_lo
	v_add_co_u32 v1, vcc_lo, s16, v1
	s_delay_alu instid0(VALU_DEP_4)
	v_add_co_ci_u32_e32 v2, vcc_lo, s17, v2, vcc_lo
	s_clause 0x3
	global_load_b32 v14, v[3:4], off
	global_load_b32 v15, v[3:4], off offset:1024
	global_load_b32 v17, v[3:4], off offset:2048
	;; [unrolled: 1-line block ×3, first 2 shown]
	v_add_co_u32 v3, vcc_lo, 0x1000, v1
	v_add_co_ci_u32_e32 v4, vcc_lo, 0, v2, vcc_lo
	s_clause 0x3
	global_load_b64 v[10:11], v[1:2], off
	global_load_b64 v[1:2], v[1:2], off offset:2048
	global_load_b64 v[12:13], v[3:4], off
	global_load_b64 v[3:4], v[3:4], off offset:2048
	s_waitcnt vmcnt(7)
	v_subrev_nc_u32_e32 v14, s26, v14
	s_waitcnt vmcnt(6)
	v_subrev_nc_u32_e32 v16, s26, v15
	;; [unrolled: 2-line block ×4, first 2 shown]
	v_ashrrev_i32_e32 v15, 31, v14
	v_ashrrev_i32_e32 v17, 31, v16
	;; [unrolled: 1-line block ×3, first 2 shown]
	s_delay_alu instid0(VALU_DEP_4)
	v_ashrrev_i32_e32 v21, 31, v20
	s_waitcnt vmcnt(3)
	v_mul_f64 v[10:11], v[7:8], v[10:11]
	v_lshlrev_b64 v[14:15], 3, v[14:15]
	v_lshlrev_b64 v[16:17], 3, v[16:17]
	;; [unrolled: 1-line block ×4, first 2 shown]
	s_waitcnt vmcnt(2)
	v_mul_f64 v[1:2], v[7:8], v[1:2]
	s_waitcnt vmcnt(1)
	v_mul_f64 v[12:13], v[7:8], v[12:13]
	v_add_co_u32 v14, vcc_lo, s18, v14
	v_add_co_ci_u32_e32 v15, vcc_lo, s19, v15, vcc_lo
	v_add_co_u32 v16, vcc_lo, s18, v16
	v_add_co_ci_u32_e32 v17, vcc_lo, s19, v17, vcc_lo
	;; [unrolled: 2-line block ×4, first 2 shown]
	s_clause 0x3
	global_load_b64 v[14:15], v[14:15], off
	global_load_b64 v[16:17], v[16:17], off
	;; [unrolled: 1-line block ×4, first 2 shown]
	s_waitcnt vmcnt(4)
	v_mul_f64 v[3:4], v[7:8], v[3:4]
	s_waitcnt vmcnt(3)
	v_mul_f64 v[7:8], v[10:11], v[14:15]
	;; [unrolled: 2-line block ×4, first 2 shown]
	s_waitcnt vmcnt(0)
	s_delay_alu instid0(VALU_DEP_4)
	v_mul_f64 v[3:4], v[3:4], v[20:21]
	ds_store_2addr_stride64_b64 v9, v[7:8], v[1:2] offset1:4
	ds_store_2addr_stride64_b64 v9, v[10:11], v[3:4] offset0:8 offset1:12
.LBB11_80:
	s_or_b32 exec_lo, exec_lo, s0
	s_cmp_lt_i32 s27, 2
	s_mov_b32 s0, -1
	s_waitcnt lgkmcnt(0)
	s_waitcnt_vscnt null, 0x0
	s_barrier
	buffer_gl0_inv
	s_cbranch_scc0 .LBB11_91
; %bb.81:
	v_add_nc_u32_e32 v1, s22, v0
	s_mov_b32 s2, exec_lo
	s_delay_alu instid0(VALU_DEP_1)
	v_cmpx_gt_i32_e64 s23, v1
	s_cbranch_execz .LBB11_90
; %bb.82:
	v_cmp_neq_f64_e32 vcc_lo, 0, v[5:6]
	s_lshl_b32 s0, s31, 3
	s_mov_b32 s3, 0
	s_sub_i32 s4, 0, s0
	s_branch .LBB11_84
.LBB11_83:                              ;   in Loop: Header=BB11_84 Depth=1
	s_or_b32 exec_lo, exec_lo, s1
	v_add_nc_u32_e32 v1, 0x100, v1
	s_delay_alu instid0(VALU_DEP_2) | instskip(NEXT) | instid1(VALU_DEP_1)
	v_add_co_u32 v7, s1, s20, v7
	v_add_co_ci_u32_e64 v8, s1, s21, v8, s1
	s_delay_alu instid0(VALU_DEP_3) | instskip(SKIP_2) | instid1(SALU_CYCLE_1)
	v_cmp_le_i32_e64 s0, s23, v1
	global_store_b64 v[7:8], v[3:4], off
	s_or_b32 s3, s0, s3
	s_and_not1_b32 exec_lo, exec_lo, s3
	s_cbranch_execz .LBB11_90
.LBB11_84:                              ; =>This Loop Header: Depth=1
                                        ;     Child Loop BB11_86 Depth 2
	v_ashrrev_i32_e32 v2, 31, v1
	s_mov_b32 s1, exec_lo
	s_delay_alu instid0(VALU_DEP_1) | instskip(NEXT) | instid1(VALU_DEP_1)
	v_lshlrev_b64 v[3:4], 2, v[1:2]
	v_add_co_u32 v3, s0, s12, v3
	s_delay_alu instid0(VALU_DEP_1)
	v_add_co_ci_u32_e64 v4, s0, s13, v4, s0
	global_load_b64 v[7:8], v[3:4], off
	v_mov_b32_e32 v3, 0
	v_mov_b32_e32 v4, 0
	s_waitcnt vmcnt(0)
	v_cmpx_lt_i32_e64 v7, v8
	s_cbranch_execz .LBB11_88
; %bb.85:                               ;   in Loop: Header=BB11_84 Depth=1
	v_mov_b32_e32 v3, 0
	v_subrev_nc_u32_e32 v8, s31, v8
	v_subrev_nc_u32_e32 v10, s31, v7
	v_mov_b32_e32 v4, 0
	v_lshl_add_u32 v7, v7, 3, s4
	s_mov_b32 s5, 0
.LBB11_86:                              ;   Parent Loop BB11_84 Depth=1
                                        ; =>  This Inner Loop Header: Depth=2
	ds_load_b64 v[11:12], v7
	v_add_nc_u32_e32 v10, 1, v10
	v_add_nc_u32_e32 v7, 8, v7
	s_delay_alu instid0(VALU_DEP_2) | instskip(NEXT) | instid1(VALU_DEP_1)
	v_cmp_ge_i32_e64 s0, v10, v8
	s_or_b32 s5, s0, s5
	s_waitcnt lgkmcnt(0)
	v_add_f64 v[3:4], v[3:4], v[11:12]
	s_and_not1_b32 exec_lo, exec_lo, s5
	s_cbranch_execnz .LBB11_86
; %bb.87:                               ;   in Loop: Header=BB11_84 Depth=1
	s_or_b32 exec_lo, exec_lo, s5
.LBB11_88:                              ;   in Loop: Header=BB11_84 Depth=1
	s_delay_alu instid0(SALU_CYCLE_1)
	s_or_b32 exec_lo, exec_lo, s1
	v_lshlrev_b64 v[7:8], 3, v[1:2]
	s_and_saveexec_b32 s1, vcc_lo
	s_cbranch_execz .LBB11_83
; %bb.89:                               ;   in Loop: Header=BB11_84 Depth=1
	s_delay_alu instid0(VALU_DEP_1) | instskip(NEXT) | instid1(VALU_DEP_1)
	v_add_co_u32 v10, s0, s20, v7
	v_add_co_ci_u32_e64 v11, s0, s21, v8, s0
	global_load_b64 v[10:11], v[10:11], off
	s_waitcnt vmcnt(0)
	v_fma_f64 v[3:4], v[5:6], v[10:11], v[3:4]
	s_branch .LBB11_83
.LBB11_90:
	s_or_b32 exec_lo, exec_lo, s2
	s_mov_b32 s0, 0
.LBB11_91:
	s_delay_alu instid0(SALU_CYCLE_1)
	s_and_not1_b32 vcc_lo, exec_lo, s0
	s_cbranch_vccnz .LBB11_116
; %bb.92:
	s_clz_i32_u32 s0, s27
	s_mov_b32 s1, exec_lo
	s_xor_b32 s0, s0, 31
	v_mov_b32_e32 v2, 0
	v_lshrrev_b32_e32 v4, s0, v0
	s_add_i32 s0, s27, -1
	s_delay_alu instid0(SALU_CYCLE_1) | instskip(NEXT) | instid1(VALU_DEP_2)
	v_dual_mov_b32 v3, 0 :: v_dual_and_b32 v0, s0, v0
	v_add_nc_u32_e32 v1, s22, v4
	s_delay_alu instid0(VALU_DEP_1)
	v_cmp_le_i32_e32 vcc_lo, s23, v1
	v_cmpx_gt_i32_e64 s23, v1
	s_cbranch_execz .LBB11_98
; %bb.93:
	v_lshlrev_b32_e32 v2, 2, v4
	v_subrev_nc_u32_e32 v7, s31, v0
	s_mov_b32 s2, exec_lo
	global_load_b64 v[2:3], v2, s[24:25]
	s_waitcnt vmcnt(0)
	v_subrev_nc_u32_e32 v4, s31, v3
	v_dual_mov_b32 v2, 0 :: v_dual_add_nc_u32 v7, v2, v7
	v_mov_b32_e32 v3, 0
	s_delay_alu instid0(VALU_DEP_2)
	v_cmpx_lt_i32_e64 v7, v4
	s_cbranch_execz .LBB11_97
; %bb.94:
	v_mov_b32_e32 v2, 0
	v_dual_mov_b32 v3, 0 :: v_dual_lshlrev_b32 v8, 3, v7
	s_lshl_b32 s4, s27, 3
	s_mov_b32 s3, 0
.LBB11_95:                              ; =>This Inner Loop Header: Depth=1
	ds_load_b64 v[10:11], v8
	v_add_nc_u32_e32 v7, s27, v7
	v_add_nc_u32_e32 v8, s4, v8
	s_delay_alu instid0(VALU_DEP_2) | instskip(NEXT) | instid1(VALU_DEP_1)
	v_cmp_ge_i32_e64 s0, v7, v4
	s_or_b32 s3, s0, s3
	s_waitcnt lgkmcnt(0)
	v_add_f64 v[2:3], v[2:3], v[10:11]
	s_and_not1_b32 exec_lo, exec_lo, s3
	s_cbranch_execnz .LBB11_95
; %bb.96:
	s_or_b32 exec_lo, exec_lo, s3
.LBB11_97:
	s_delay_alu instid0(SALU_CYCLE_1)
	s_or_b32 exec_lo, exec_lo, s2
.LBB11_98:
	s_delay_alu instid0(SALU_CYCLE_1)
	s_or_b32 exec_lo, exec_lo, s1
	s_cmpk_lt_i32 s27, 0x81
	s_waitcnt_vscnt null, 0x0
	s_barrier
	buffer_gl0_inv
	ds_store_b64 v9, v[2:3]
	s_waitcnt lgkmcnt(0)
	s_barrier
	buffer_gl0_inv
	s_cbranch_scc1 .LBB11_100
; %bb.99:
	ds_load_b64 v[7:8], v9 offset:1024
	s_waitcnt lgkmcnt(0)
	s_barrier
	buffer_gl0_inv
	v_add_f64 v[2:3], v[2:3], v[7:8]
	ds_store_b64 v9, v[2:3]
.LBB11_100:
	s_cmpk_lt_i32 s27, 0x41
	s_waitcnt lgkmcnt(0)
	s_barrier
	buffer_gl0_inv
	s_cbranch_scc1 .LBB11_102
; %bb.101:
	ds_load_b64 v[7:8], v9 offset:512
	s_waitcnt lgkmcnt(0)
	s_barrier
	buffer_gl0_inv
	v_add_f64 v[2:3], v[2:3], v[7:8]
	ds_store_b64 v9, v[2:3]
.LBB11_102:
	s_cmp_lt_i32 s27, 33
	s_waitcnt lgkmcnt(0)
	s_barrier
	buffer_gl0_inv
	s_cbranch_scc1 .LBB11_104
; %bb.103:
	ds_load_b64 v[7:8], v9 offset:256
	s_waitcnt lgkmcnt(0)
	s_barrier
	buffer_gl0_inv
	v_add_f64 v[2:3], v[2:3], v[7:8]
	ds_store_b64 v9, v[2:3]
.LBB11_104:
	s_cmp_lt_i32 s27, 17
	;; [unrolled: 13-line block ×4, first 2 shown]
	s_waitcnt lgkmcnt(0)
	s_barrier
	buffer_gl0_inv
	s_cbranch_scc1 .LBB11_110
; %bb.109:
	ds_load_b64 v[7:8], v9 offset:32
	s_waitcnt lgkmcnt(0)
	s_barrier
	buffer_gl0_inv
	v_add_f64 v[2:3], v[2:3], v[7:8]
	ds_store_b64 v9, v[2:3]
.LBB11_110:
	s_cmp_eq_u32 s27, 2
	s_waitcnt lgkmcnt(0)
	s_barrier
	buffer_gl0_inv
	s_cbranch_scc1 .LBB11_112
; %bb.111:
	ds_load_b64 v[7:8], v9 offset:16
	s_waitcnt lgkmcnt(0)
	s_barrier
	buffer_gl0_inv
	v_add_f64 v[2:3], v[2:3], v[7:8]
	ds_store_b64 v9, v[2:3]
.LBB11_112:
	s_waitcnt lgkmcnt(0)
	s_barrier
	buffer_gl0_inv
	ds_load_b64 v[7:8], v9 offset:8
	v_cmp_eq_u32_e64 s0, 0, v0
	s_xor_b32 s1, vcc_lo, -1
	s_waitcnt lgkmcnt(0)
	s_barrier
	buffer_gl0_inv
	s_and_b32 s0, s0, s1
	v_add_f64 v[3:4], v[2:3], v[7:8]
	ds_store_b64 v9, v[3:4]
	s_and_b32 exec_lo, exec_lo, s0
	s_cbranch_execz .LBB11_116
; %bb.113:
	v_ashrrev_i32_e32 v2, 31, v1
	s_mov_b32 s0, exec_lo
	s_delay_alu instid0(VALU_DEP_1)
	v_lshlrev_b64 v[0:1], 3, v[1:2]
	v_cmpx_neq_f64_e32 0, v[5:6]
	s_cbranch_execz .LBB11_115
; %bb.114:
	s_delay_alu instid0(VALU_DEP_2) | instskip(NEXT) | instid1(VALU_DEP_3)
	v_add_co_u32 v7, vcc_lo, s20, v0
	v_add_co_ci_u32_e32 v8, vcc_lo, s21, v1, vcc_lo
	global_load_b64 v[7:8], v[7:8], off
	s_waitcnt vmcnt(0)
	v_fma_f64 v[3:4], v[5:6], v[7:8], v[3:4]
.LBB11_115:
	s_or_b32 exec_lo, exec_lo, s0
	s_delay_alu instid0(VALU_DEP_2) | instskip(NEXT) | instid1(VALU_DEP_3)
	v_add_co_u32 v0, vcc_lo, s20, v0
	v_add_co_ci_u32_e32 v1, vcc_lo, s21, v1, vcc_lo
	global_store_b64 v[0:1], v[3:4], off
.LBB11_116:
	s_nop 0
	s_sendmsg sendmsg(MSG_DEALLOC_VGPRS)
	s_endpgm
	.section	.rodata,"a",@progbits
	.p2align	6, 0x0
	.amdhsa_kernel _ZN9rocsparseL22csrmvn_adaptive_kernelIiiddddEEvbT_PKS1_PjPKT0_NS_24const_host_device_scalarIT4_EES3_S7_PKT1_PKT2_SA_PT3_21rocsparse_index_base_b
		.amdhsa_group_segment_fixed_size 8192
		.amdhsa_private_segment_fixed_size 0
		.amdhsa_kernarg_size 96
		.amdhsa_user_sgpr_count 15
		.amdhsa_user_sgpr_dispatch_ptr 0
		.amdhsa_user_sgpr_queue_ptr 0
		.amdhsa_user_sgpr_kernarg_segment_ptr 1
		.amdhsa_user_sgpr_dispatch_id 0
		.amdhsa_user_sgpr_private_segment_size 0
		.amdhsa_wavefront_size32 1
		.amdhsa_uses_dynamic_stack 0
		.amdhsa_enable_private_segment 0
		.amdhsa_system_sgpr_workgroup_id_x 1
		.amdhsa_system_sgpr_workgroup_id_y 0
		.amdhsa_system_sgpr_workgroup_id_z 0
		.amdhsa_system_sgpr_workgroup_info 0
		.amdhsa_system_vgpr_workitem_id 0
		.amdhsa_next_free_vgpr 22
		.amdhsa_next_free_sgpr 43
		.amdhsa_reserve_vcc 1
		.amdhsa_float_round_mode_32 0
		.amdhsa_float_round_mode_16_64 0
		.amdhsa_float_denorm_mode_32 3
		.amdhsa_float_denorm_mode_16_64 3
		.amdhsa_dx10_clamp 1
		.amdhsa_ieee_mode 1
		.amdhsa_fp16_overflow 0
		.amdhsa_workgroup_processor_mode 1
		.amdhsa_memory_ordered 1
		.amdhsa_forward_progress 0
		.amdhsa_shared_vgpr_count 0
		.amdhsa_exception_fp_ieee_invalid_op 0
		.amdhsa_exception_fp_denorm_src 0
		.amdhsa_exception_fp_ieee_div_zero 0
		.amdhsa_exception_fp_ieee_overflow 0
		.amdhsa_exception_fp_ieee_underflow 0
		.amdhsa_exception_fp_ieee_inexact 0
		.amdhsa_exception_int_div_zero 0
	.end_amdhsa_kernel
	.section	.text._ZN9rocsparseL22csrmvn_adaptive_kernelIiiddddEEvbT_PKS1_PjPKT0_NS_24const_host_device_scalarIT4_EES3_S7_PKT1_PKT2_SA_PT3_21rocsparse_index_base_b,"axG",@progbits,_ZN9rocsparseL22csrmvn_adaptive_kernelIiiddddEEvbT_PKS1_PjPKT0_NS_24const_host_device_scalarIT4_EES3_S7_PKT1_PKT2_SA_PT3_21rocsparse_index_base_b,comdat
.Lfunc_end11:
	.size	_ZN9rocsparseL22csrmvn_adaptive_kernelIiiddddEEvbT_PKS1_PjPKT0_NS_24const_host_device_scalarIT4_EES3_S7_PKT1_PKT2_SA_PT3_21rocsparse_index_base_b, .Lfunc_end11-_ZN9rocsparseL22csrmvn_adaptive_kernelIiiddddEEvbT_PKS1_PjPKT0_NS_24const_host_device_scalarIT4_EES3_S7_PKT1_PKT2_SA_PT3_21rocsparse_index_base_b
                                        ; -- End function
	.section	.AMDGPU.csdata,"",@progbits
; Kernel info:
; codeLenInByte = 4712
; NumSgprs: 45
; NumVgprs: 22
; ScratchSize: 0
; MemoryBound: 0
; FloatMode: 240
; IeeeMode: 1
; LDSByteSize: 8192 bytes/workgroup (compile time only)
; SGPRBlocks: 5
; VGPRBlocks: 2
; NumSGPRsForWavesPerEU: 45
; NumVGPRsForWavesPerEU: 22
; Occupancy: 16
; WaveLimiterHint : 1
; COMPUTE_PGM_RSRC2:SCRATCH_EN: 0
; COMPUTE_PGM_RSRC2:USER_SGPR: 15
; COMPUTE_PGM_RSRC2:TRAP_HANDLER: 0
; COMPUTE_PGM_RSRC2:TGID_X_EN: 1
; COMPUTE_PGM_RSRC2:TGID_Y_EN: 0
; COMPUTE_PGM_RSRC2:TGID_Z_EN: 0
; COMPUTE_PGM_RSRC2:TIDIG_COMP_CNT: 0
	.section	.text._ZN9rocsparseL22partial_scale_y_kernelIiddEEvT_S1_S1_NS_24const_host_device_scalarIT1_EEPT0_b,"axG",@progbits,_ZN9rocsparseL22partial_scale_y_kernelIiddEEvT_S1_S1_NS_24const_host_device_scalarIT1_EEPT0_b,comdat
	.globl	_ZN9rocsparseL22partial_scale_y_kernelIiddEEvT_S1_S1_NS_24const_host_device_scalarIT1_EEPT0_b ; -- Begin function _ZN9rocsparseL22partial_scale_y_kernelIiddEEvT_S1_S1_NS_24const_host_device_scalarIT1_EEPT0_b
	.p2align	8
	.type	_ZN9rocsparseL22partial_scale_y_kernelIiddEEvT_S1_S1_NS_24const_host_device_scalarIT1_EEPT0_b,@function
_ZN9rocsparseL22partial_scale_y_kernelIiddEEvT_S1_S1_NS_24const_host_device_scalarIT1_EEPT0_b: ; @_ZN9rocsparseL22partial_scale_y_kernelIiddEEvT_S1_S1_NS_24const_host_device_scalarIT1_EEPT0_b
; %bb.0:
	s_clause 0x1
	s_load_b32 s4, s[0:1], 0x20
	s_load_b64 s[2:3], s[0:1], 0x10
	s_waitcnt lgkmcnt(0)
	s_bitcmp1_b32 s4, 0
	v_dual_mov_b32 v1, s2 :: v_dual_mov_b32 v2, s3
	s_cselect_b32 s4, -1, 0
	s_delay_alu instid0(SALU_CYCLE_1)
	s_and_b32 vcc_lo, exec_lo, s4
	s_cbranch_vccnz .LBB12_2
; %bb.1:
	v_dual_mov_b32 v1, s2 :: v_dual_mov_b32 v2, s3
	flat_load_b64 v[1:2], v[1:2]
.LBB12_2:
	s_mov_b32 s2, exec_lo
	s_waitcnt vmcnt(0) lgkmcnt(0)
	v_cmpx_neq_f64_e32 1.0, v[1:2]
	s_cbranch_execz .LBB12_15
; %bb.3:
	s_load_b128 s[4:7], s[0:1], 0x0
	v_lshl_or_b32 v3, s15, 8, v0
	s_waitcnt lgkmcnt(0)
	s_add_i32 s2, s5, s4
	s_delay_alu instid0(SALU_CYCLE_1)
	s_sub_i32 s2, s2, s6
	s_delay_alu instid0(VALU_DEP_1) | instid1(SALU_CYCLE_1)
	v_cmp_gt_i32_e32 vcc_lo, s2, v3
	s_and_b32 exec_lo, exec_lo, vcc_lo
	s_cbranch_execz .LBB12_15
; %bb.4:
	v_cmp_neq_f64_e32 vcc_lo, 0, v[1:2]
	s_load_b64 s[2:3], s[0:1], 0x18
	s_mov_b32 s1, exec_lo
	v_cmpx_le_i32_e64 s5, v3
	s_xor_b32 s1, exec_lo, s1
	s_cbranch_execz .LBB12_10
; %bb.5:
	v_subrev_nc_u32_e32 v0, s5, v3
	s_delay_alu instid0(VALU_DEP_1) | instskip(NEXT) | instid1(VALU_DEP_1)
	v_add_nc_u32_e32 v3, s6, v0
	v_ashrrev_i32_e32 v4, 31, v3
	s_delay_alu instid0(VALU_DEP_1) | instskip(SKIP_1) | instid1(VALU_DEP_1)
	v_lshlrev_b64 v[3:4], 3, v[3:4]
	s_waitcnt lgkmcnt(0)
	v_add_co_u32 v3, s0, s2, v3
	s_delay_alu instid0(VALU_DEP_1) | instskip(SKIP_1) | instid1(SALU_CYCLE_1)
	v_add_co_ci_u32_e64 v4, s0, s3, v4, s0
	s_and_saveexec_b32 s0, vcc_lo
	s_xor_b32 s0, exec_lo, s0
	s_cbranch_execz .LBB12_7
; %bb.6:
	global_load_b64 v[5:6], v[3:4], off
	s_waitcnt vmcnt(0)
	v_mul_f64 v[0:1], v[1:2], v[5:6]
	global_store_b64 v[3:4], v[0:1], off
                                        ; implicit-def: $vgpr3_vgpr4
.LBB12_7:
	s_and_not1_saveexec_b32 s0, s0
	s_cbranch_execz .LBB12_9
; %bb.8:
	v_mov_b32_e32 v0, 0
	s_delay_alu instid0(VALU_DEP_1)
	v_mov_b32_e32 v1, v0
	global_store_b64 v[3:4], v[0:1], off
.LBB12_9:
	s_or_b32 exec_lo, exec_lo, s0
                                        ; implicit-def: $vgpr3
                                        ; implicit-def: $vgpr1_vgpr2
.LBB12_10:
	s_and_not1_saveexec_b32 s0, s1
	s_cbranch_execz .LBB12_15
; %bb.11:
	v_ashrrev_i32_e32 v4, 31, v3
	s_delay_alu instid0(VALU_DEP_1) | instskip(SKIP_1) | instid1(VALU_DEP_1)
	v_lshlrev_b64 v[3:4], 3, v[3:4]
	s_waitcnt lgkmcnt(0)
	v_add_co_u32 v3, s0, s2, v3
	s_delay_alu instid0(VALU_DEP_1) | instskip(SKIP_1) | instid1(SALU_CYCLE_1)
	v_add_co_ci_u32_e64 v4, s0, s3, v4, s0
	s_and_saveexec_b32 s0, vcc_lo
	s_xor_b32 s0, exec_lo, s0
	s_cbranch_execz .LBB12_13
; %bb.12:
	global_load_b64 v[5:6], v[3:4], off
	s_waitcnt vmcnt(0)
	v_mul_f64 v[0:1], v[1:2], v[5:6]
	global_store_b64 v[3:4], v[0:1], off
                                        ; implicit-def: $vgpr3_vgpr4
.LBB12_13:
	s_and_not1_saveexec_b32 s0, s0
	s_cbranch_execz .LBB12_15
; %bb.14:
	v_mov_b32_e32 v0, 0
	s_delay_alu instid0(VALU_DEP_1)
	v_mov_b32_e32 v1, v0
	global_store_b64 v[3:4], v[0:1], off
.LBB12_15:
	s_nop 0
	s_sendmsg sendmsg(MSG_DEALLOC_VGPRS)
	s_endpgm
	.section	.rodata,"a",@progbits
	.p2align	6, 0x0
	.amdhsa_kernel _ZN9rocsparseL22partial_scale_y_kernelIiddEEvT_S1_S1_NS_24const_host_device_scalarIT1_EEPT0_b
		.amdhsa_group_segment_fixed_size 0
		.amdhsa_private_segment_fixed_size 0
		.amdhsa_kernarg_size 36
		.amdhsa_user_sgpr_count 15
		.amdhsa_user_sgpr_dispatch_ptr 0
		.amdhsa_user_sgpr_queue_ptr 0
		.amdhsa_user_sgpr_kernarg_segment_ptr 1
		.amdhsa_user_sgpr_dispatch_id 0
		.amdhsa_user_sgpr_private_segment_size 0
		.amdhsa_wavefront_size32 1
		.amdhsa_uses_dynamic_stack 0
		.amdhsa_enable_private_segment 0
		.amdhsa_system_sgpr_workgroup_id_x 1
		.amdhsa_system_sgpr_workgroup_id_y 0
		.amdhsa_system_sgpr_workgroup_id_z 0
		.amdhsa_system_sgpr_workgroup_info 0
		.amdhsa_system_vgpr_workitem_id 0
		.amdhsa_next_free_vgpr 7
		.amdhsa_next_free_sgpr 16
		.amdhsa_reserve_vcc 1
		.amdhsa_float_round_mode_32 0
		.amdhsa_float_round_mode_16_64 0
		.amdhsa_float_denorm_mode_32 3
		.amdhsa_float_denorm_mode_16_64 3
		.amdhsa_dx10_clamp 1
		.amdhsa_ieee_mode 1
		.amdhsa_fp16_overflow 0
		.amdhsa_workgroup_processor_mode 1
		.amdhsa_memory_ordered 1
		.amdhsa_forward_progress 0
		.amdhsa_shared_vgpr_count 0
		.amdhsa_exception_fp_ieee_invalid_op 0
		.amdhsa_exception_fp_denorm_src 0
		.amdhsa_exception_fp_ieee_div_zero 0
		.amdhsa_exception_fp_ieee_overflow 0
		.amdhsa_exception_fp_ieee_underflow 0
		.amdhsa_exception_fp_ieee_inexact 0
		.amdhsa_exception_int_div_zero 0
	.end_amdhsa_kernel
	.section	.text._ZN9rocsparseL22partial_scale_y_kernelIiddEEvT_S1_S1_NS_24const_host_device_scalarIT1_EEPT0_b,"axG",@progbits,_ZN9rocsparseL22partial_scale_y_kernelIiddEEvT_S1_S1_NS_24const_host_device_scalarIT1_EEPT0_b,comdat
.Lfunc_end12:
	.size	_ZN9rocsparseL22partial_scale_y_kernelIiddEEvT_S1_S1_NS_24const_host_device_scalarIT1_EEPT0_b, .Lfunc_end12-_ZN9rocsparseL22partial_scale_y_kernelIiddEEvT_S1_S1_NS_24const_host_device_scalarIT1_EEPT0_b
                                        ; -- End function
	.section	.AMDGPU.csdata,"",@progbits
; Kernel info:
; codeLenInByte = 416
; NumSgprs: 18
; NumVgprs: 7
; ScratchSize: 0
; MemoryBound: 0
; FloatMode: 240
; IeeeMode: 1
; LDSByteSize: 0 bytes/workgroup (compile time only)
; SGPRBlocks: 2
; VGPRBlocks: 0
; NumSGPRsForWavesPerEU: 18
; NumVGPRsForWavesPerEU: 7
; Occupancy: 16
; WaveLimiterHint : 0
; COMPUTE_PGM_RSRC2:SCRATCH_EN: 0
; COMPUTE_PGM_RSRC2:USER_SGPR: 15
; COMPUTE_PGM_RSRC2:TRAP_HANDLER: 0
; COMPUTE_PGM_RSRC2:TGID_X_EN: 1
; COMPUTE_PGM_RSRC2:TGID_Y_EN: 0
; COMPUTE_PGM_RSRC2:TGID_Z_EN: 0
; COMPUTE_PGM_RSRC2:TIDIG_COMP_CNT: 0
	.section	.text._ZN9rocsparseL27csrmvn_symm_adaptive_kernelIiiddddEEvbT_S1_PKS1_NS_24const_host_device_scalarIT4_EES3_PKT0_PKT1_PKT2_S6_PT3_21rocsparse_index_base_b,"axG",@progbits,_ZN9rocsparseL27csrmvn_symm_adaptive_kernelIiiddddEEvbT_S1_PKS1_NS_24const_host_device_scalarIT4_EES3_PKT0_PKT1_PKT2_S6_PT3_21rocsparse_index_base_b,comdat
	.globl	_ZN9rocsparseL27csrmvn_symm_adaptive_kernelIiiddddEEvbT_S1_PKS1_NS_24const_host_device_scalarIT4_EES3_PKT0_PKT1_PKT2_S6_PT3_21rocsparse_index_base_b ; -- Begin function _ZN9rocsparseL27csrmvn_symm_adaptive_kernelIiiddddEEvbT_S1_PKS1_NS_24const_host_device_scalarIT4_EES3_PKT0_PKT1_PKT2_S6_PT3_21rocsparse_index_base_b
	.p2align	8
	.type	_ZN9rocsparseL27csrmvn_symm_adaptive_kernelIiiddddEEvbT_S1_PKS1_NS_24const_host_device_scalarIT4_EES3_PKT0_PKT1_PKT2_S6_PT3_21rocsparse_index_base_b,@function
_ZN9rocsparseL27csrmvn_symm_adaptive_kernelIiiddddEEvbT_S1_PKS1_NS_24const_host_device_scalarIT4_EES3_PKT0_PKT1_PKT2_S6_PT3_21rocsparse_index_base_b: ; @_ZN9rocsparseL27csrmvn_symm_adaptive_kernelIiiddddEEvbT_S1_PKS1_NS_24const_host_device_scalarIT4_EES3_PKT0_PKT1_PKT2_S6_PT3_21rocsparse_index_base_b
; %bb.0:
	s_clause 0x2
	s_load_b64 s[20:21], s[0:1], 0x50
	s_load_b64 s[6:7], s[0:1], 0x18
	;; [unrolled: 1-line block ×3, first 2 shown]
	s_mov_b32 s4, s15
	s_waitcnt lgkmcnt(0)
	s_bitcmp1_b32 s21, 0
	v_dual_mov_b32 v8, s7 :: v_dual_mov_b32 v7, s6
	s_cselect_b32 s5, -1, 0
	s_delay_alu instid0(SALU_CYCLE_1)
	s_and_b32 vcc_lo, exec_lo, s5
	s_xor_b32 s5, s5, -1
	s_cbranch_vccnz .LBB13_2
; %bb.1:
	v_dual_mov_b32 v1, s6 :: v_dual_mov_b32 v2, s7
	flat_load_b64 v[7:8], v[1:2]
.LBB13_2:
	v_dual_mov_b32 v1, s2 :: v_dual_mov_b32 v2, s3
	s_and_not1_b32 vcc_lo, exec_lo, s5
	s_cbranch_vccnz .LBB13_4
; %bb.3:
	v_dual_mov_b32 v1, s2 :: v_dual_mov_b32 v2, s3
	flat_load_b64 v[1:2], v[1:2]
.LBB13_4:
	s_waitcnt vmcnt(0) lgkmcnt(0)
	v_cmp_neq_f64_e32 vcc_lo, 0, v[7:8]
	v_cmp_neq_f64_e64 s2, 1.0, v[1:2]
	s_delay_alu instid0(VALU_DEP_1) | instskip(NEXT) | instid1(SALU_CYCLE_1)
	s_or_b32 s2, vcc_lo, s2
	s_and_saveexec_b32 s3, s2
	s_cbranch_execz .LBB13_190
; %bb.5:
	s_load_b64 s[2:3], s[0:1], 0x10
	s_mov_b32 s6, 0
	s_ashr_i32 s5, s4, 31
	s_mov_b32 s7, s6
	v_dual_mov_b32 v1, s6 :: v_dual_lshlrev_b32 v16, 3, v0
	v_mov_b32_e32 v2, s7
	s_lshl_b64 s[4:5], s[4:5], 2
	v_subrev_nc_u32_e32 v13, s20, v0
	ds_store_2addr_stride64_b64 v16, v[1:2], v[1:2] offset1:4
	ds_store_2addr_stride64_b64 v16, v[1:2], v[1:2] offset0:8 offset1:12
	s_waitcnt lgkmcnt(0)
	s_barrier
	buffer_gl0_inv
	s_add_u32 s2, s2, s4
	s_addc_u32 s3, s3, s5
	s_load_b64 s[18:19], s[2:3], 0x0
	s_clause 0x1
	s_load_b256 s[8:15], s[0:1], 0x20
	s_load_b64 s[16:17], s[0:1], 0x48
	s_mov_b32 s2, -1
	s_waitcnt lgkmcnt(0)
	s_sub_i32 s21, s19, s18
	s_delay_alu instid0(SALU_CYCLE_1)
	s_cmp_gt_i32 s21, 2
	s_cbranch_scc1 .LBB13_43
; %bb.6:
	s_cmp_gt_i32 s19, s18
	s_cbranch_scc1 .LBB13_8
; %bb.7:
	s_ashr_i32 s3, s18, 31
	s_mov_b32 s2, s18
	s_delay_alu instid0(SALU_CYCLE_1) | instskip(NEXT) | instid1(SALU_CYCLE_1)
	s_lshl_b64 s[2:3], s[2:3], 2
	s_add_u32 s2, s8, s2
	s_addc_u32 s3, s9, s3
	s_load_b32 s26, s[2:3], 0x0
	s_cbranch_execz .LBB13_9
	s_branch .LBB13_32
.LBB13_8:
                                        ; implicit-def: $sgpr26
	s_and_not1_b32 vcc_lo, exec_lo, s2
	s_cbranch_vccnz .LBB13_32
.LBB13_9:
	s_ashr_i32 s3, s18, 31
	s_mov_b32 s2, s18
	v_cmp_gt_u32_e32 vcc_lo, 0x100, v0
	s_lshl_b64 s[2:3], s[2:3], 2
	v_cmp_gt_u32_e64 s4, 4, v0
	s_add_u32 s2, s8, s2
	s_addc_u32 s3, s9, s3
	v_cmp_eq_u32_e64 s5, 0, v0
	s_waitcnt lgkmcnt(0)
	s_load_b32 s26, s[2:3], 0x0
	v_cmp_gt_u32_e64 s2, 64, v0
	v_cmp_gt_u32_e64 s3, 16, v0
	v_mov_b32_e32 v11, 0
	s_add_u32 s27, s8, 4
	s_addc_u32 s28, s9, 0
	s_mov_b32 s22, s18
	s_waitcnt lgkmcnt(0)
	s_mov_b32 s29, s26
	s_branch .LBB13_11
.LBB13_10:                              ;   in Loop: Header=BB13_11 Depth=1
	s_or_b32 exec_lo, exec_lo, s7
	s_add_i32 s22, s22, 1
	s_delay_alu instid0(SALU_CYCLE_1)
	s_cmp_ge_i32 s22, s19
	s_cbranch_scc1 .LBB13_32
.LBB13_11:                              ; =>This Loop Header: Depth=1
                                        ;     Child Loop BB13_13 Depth 2
                                        ;     Child Loop BB13_27 Depth 2
                                        ;     Child Loop BB13_30 Depth 2
	s_ashr_i32 s23, s22, 31
	s_mov_b32 s24, s29
	s_lshl_b64 s[6:7], s[22:23], 2
	v_mov_b32_e32 v3, 0
	s_add_u32 s6, s27, s6
	s_addc_u32 s7, s28, s7
	v_dual_mov_b32 v4, 0 :: v_dual_add_nc_u32 v1, s24, v13
	s_load_b32 s29, s[6:7], 0x0
	s_mov_b32 s24, exec_lo
	s_waitcnt lgkmcnt(0)
	s_sub_i32 s25, s29, s20
	s_delay_alu instid0(SALU_CYCLE_1)
	v_cmpx_gt_i32_e64 s25, v1
	s_cbranch_execz .LBB13_15
; %bb.12:                               ;   in Loop: Header=BB13_11 Depth=1
	v_ashrrev_i32_e32 v2, 31, v1
	v_mov_b32_e32 v3, 0
	v_mov_b32_e32 v4, 0
	s_mov_b32 s30, 0
	s_delay_alu instid0(VALU_DEP_3) | instskip(SKIP_1) | instid1(VALU_DEP_2)
	v_lshlrev_b64 v[5:6], 2, v[1:2]
	v_lshlrev_b64 v[9:10], 3, v[1:2]
	v_add_co_u32 v5, s6, s10, v5
	s_delay_alu instid0(VALU_DEP_1) | instskip(NEXT) | instid1(VALU_DEP_3)
	v_add_co_ci_u32_e64 v6, s6, s11, v6, s6
	v_add_co_u32 v9, s6, s12, v9
	s_delay_alu instid0(VALU_DEP_1)
	v_add_co_ci_u32_e64 v10, s6, s13, v10, s6
	s_set_inst_prefetch_distance 0x1
	.p2align	6
.LBB13_13:                              ;   Parent Loop BB13_11 Depth=1
                                        ; =>  This Inner Loop Header: Depth=2
	global_load_b32 v2, v[5:6], off
	v_add_nc_u32_e32 v1, 0x100, v1
	s_waitcnt vmcnt(0)
	v_subrev_nc_u32_e32 v14, s20, v2
	s_delay_alu instid0(VALU_DEP_1) | instskip(NEXT) | instid1(VALU_DEP_1)
	v_ashrrev_i32_e32 v15, 31, v14
	v_lshlrev_b64 v[14:15], 3, v[14:15]
	s_delay_alu instid0(VALU_DEP_1) | instskip(NEXT) | instid1(VALU_DEP_1)
	v_add_co_u32 v14, s6, s14, v14
	v_add_co_ci_u32_e64 v15, s6, s15, v15, s6
	v_add_co_u32 v5, s6, 0x400, v5
	global_load_b64 v[17:18], v[9:10], off
	global_load_b64 v[14:15], v[14:15], off
	v_add_co_ci_u32_e64 v6, s6, 0, v6, s6
	v_cmp_le_i32_e64 s6, s25, v1
	v_add_co_u32 v9, s7, 0x800, v9
	s_delay_alu instid0(VALU_DEP_1) | instskip(NEXT) | instid1(VALU_DEP_3)
	v_add_co_ci_u32_e64 v10, s7, 0, v10, s7
	s_or_b32 s30, s6, s30
	s_waitcnt vmcnt(0)
	v_fma_f64 v[3:4], v[17:18], v[14:15], v[3:4]
	s_and_not1_b32 exec_lo, exec_lo, s30
	s_cbranch_execnz .LBB13_13
; %bb.14:                               ;   in Loop: Header=BB13_11 Depth=1
	s_set_inst_prefetch_distance 0x2
	s_or_b32 exec_lo, exec_lo, s30
.LBB13_15:                              ;   in Loop: Header=BB13_11 Depth=1
	s_delay_alu instid0(SALU_CYCLE_1)
	s_or_b32 exec_lo, exec_lo, s24
	ds_store_b64 v16, v[3:4]
	s_waitcnt lgkmcnt(0)
	s_barrier
	buffer_gl0_inv
	s_and_saveexec_b32 s6, vcc_lo
	s_cbranch_execz .LBB13_17
; %bb.16:                               ;   in Loop: Header=BB13_11 Depth=1
	ds_load_2addr_stride64_b64 v[1:4], v16 offset1:4
	ds_load_2addr_stride64_b64 v[17:20], v16 offset0:8 offset1:12
	s_waitcnt lgkmcnt(0)
	v_add_f64 v[3:4], v[3:4], v[17:18]
	s_delay_alu instid0(VALU_DEP_1) | instskip(NEXT) | instid1(VALU_DEP_1)
	v_add_f64 v[3:4], v[3:4], v[19:20]
	v_add_f64 v[1:2], v[1:2], v[3:4]
	ds_store_b64 v16, v[1:2]
.LBB13_17:                              ;   in Loop: Header=BB13_11 Depth=1
	s_or_b32 exec_lo, exec_lo, s6
	s_waitcnt lgkmcnt(0)
	s_barrier
	buffer_gl0_inv
	s_and_saveexec_b32 s6, s2
	s_cbranch_execz .LBB13_19
; %bb.18:                               ;   in Loop: Header=BB13_11 Depth=1
	ds_load_2addr_stride64_b64 v[1:4], v16 offset1:1
	ds_load_2addr_stride64_b64 v[17:20], v16 offset0:2 offset1:3
	s_waitcnt lgkmcnt(0)
	v_add_f64 v[3:4], v[3:4], v[17:18]
	s_delay_alu instid0(VALU_DEP_1) | instskip(NEXT) | instid1(VALU_DEP_1)
	v_add_f64 v[3:4], v[3:4], v[19:20]
	v_add_f64 v[1:2], v[1:2], v[3:4]
	ds_store_b64 v16, v[1:2]
.LBB13_19:                              ;   in Loop: Header=BB13_11 Depth=1
	s_or_b32 exec_lo, exec_lo, s6
	s_waitcnt lgkmcnt(0)
	s_barrier
	buffer_gl0_inv
	s_and_saveexec_b32 s6, s3
	s_cbranch_execz .LBB13_21
; %bb.20:                               ;   in Loop: Header=BB13_11 Depth=1
	ds_load_2addr_b64 v[1:4], v16 offset1:16
	ds_load_2addr_b64 v[17:20], v16 offset0:32 offset1:48
	s_waitcnt lgkmcnt(0)
	v_add_f64 v[3:4], v[3:4], v[17:18]
	s_delay_alu instid0(VALU_DEP_1) | instskip(NEXT) | instid1(VALU_DEP_1)
	v_add_f64 v[3:4], v[3:4], v[19:20]
	v_add_f64 v[1:2], v[1:2], v[3:4]
	ds_store_b64 v16, v[1:2]
.LBB13_21:                              ;   in Loop: Header=BB13_11 Depth=1
	s_or_b32 exec_lo, exec_lo, s6
	s_waitcnt lgkmcnt(0)
	s_barrier
	buffer_gl0_inv
	s_and_saveexec_b32 s6, s4
	s_cbranch_execz .LBB13_23
; %bb.22:                               ;   in Loop: Header=BB13_11 Depth=1
	ds_load_2addr_b64 v[1:4], v16 offset1:4
	ds_load_2addr_b64 v[17:20], v16 offset0:8 offset1:12
	s_waitcnt lgkmcnt(0)
	v_add_f64 v[3:4], v[3:4], v[17:18]
	s_delay_alu instid0(VALU_DEP_1) | instskip(NEXT) | instid1(VALU_DEP_1)
	v_add_f64 v[3:4], v[3:4], v[19:20]
	v_add_f64 v[1:2], v[1:2], v[3:4]
	ds_store_b64 v16, v[1:2]
.LBB13_23:                              ;   in Loop: Header=BB13_11 Depth=1
	s_or_b32 exec_lo, exec_lo, s6
	s_waitcnt lgkmcnt(0)
	s_barrier
	buffer_gl0_inv
	s_and_saveexec_b32 s6, s5
	s_cbranch_execz .LBB13_25
; %bb.24:                               ;   in Loop: Header=BB13_11 Depth=1
	ds_load_2addr_b64 v[1:4], v11 offset0:1 offset1:2
	ds_load_b64 v[5:6], v16
	s_waitcnt lgkmcnt(1)
	v_add_f64 v[1:2], v[1:2], v[3:4]
	ds_load_b64 v[3:4], v11 offset:24
	s_waitcnt lgkmcnt(0)
	v_add_f64 v[1:2], v[1:2], v[3:4]
	s_delay_alu instid0(VALU_DEP_1)
	v_add_f64 v[1:2], v[5:6], v[1:2]
	ds_store_b64 v16, v[1:2]
.LBB13_25:                              ;   in Loop: Header=BB13_11 Depth=1
	s_or_b32 exec_lo, exec_lo, s6
	s_waitcnt lgkmcnt(0)
	s_barrier
	buffer_gl0_inv
	s_and_saveexec_b32 s7, s5
	s_cbranch_execz .LBB13_10
; %bb.26:                               ;   in Loop: Header=BB13_11 Depth=1
	ds_load_b64 v[1:2], v11
	v_mov_b32_e32 v5, 0
	v_bfrev_b32_e32 v6, 1
	s_mov_b32 s6, exec_lo
	s_waitcnt lgkmcnt(0)
	v_mul_f64 v[1:2], v[7:8], v[1:2]
.LBB13_27:                              ;   Parent Loop BB13_11 Depth=1
                                        ; =>  This Inner Loop Header: Depth=2
	s_ctz_i32_b32 s30, s6
	s_delay_alu instid0(VALU_DEP_1) | instid1(SALU_CYCLE_1)
	v_readlane_b32 s25, v2, s30
	s_delay_alu instid0(VALU_DEP_2) | instskip(NEXT) | instid1(VALU_DEP_1)
	v_readlane_b32 s24, v1, s30
	v_add_f64 v[5:6], v[5:6], s[24:25]
	s_lshl_b32 s24, 1, s30
	s_delay_alu instid0(SALU_CYCLE_1) | instskip(NEXT) | instid1(SALU_CYCLE_1)
	s_and_not1_b32 s6, s6, s24
	s_cmp_lg_u32 s6, 0
	s_cbranch_scc1 .LBB13_27
; %bb.28:                               ;   in Loop: Header=BB13_11 Depth=1
	v_mbcnt_lo_u32_b32 v1, exec_lo, 0
	s_mov_b32 s24, exec_lo
	s_delay_alu instid0(VALU_DEP_1)
	v_cmpx_eq_u32_e32 0, v1
	s_xor_b32 s24, exec_lo, s24
	s_cbranch_execz .LBB13_10
; %bb.29:                               ;   in Loop: Header=BB13_11 Depth=1
	s_lshl_b64 s[24:25], s[22:23], 3
	s_mov_b32 s23, 0
	s_add_u32 s24, s16, s24
	s_addc_u32 s25, s17, s25
	global_load_b64 v[3:4], v11, s[24:25]
.LBB13_30:                              ;   Parent Loop BB13_11 Depth=1
                                        ; =>  This Inner Loop Header: Depth=2
	s_waitcnt vmcnt(0)
	v_add_f64 v[1:2], v[3:4], v[5:6]
	global_atomic_cmpswap_b64 v[1:2], v11, v[1:4], s[24:25] glc
	s_waitcnt vmcnt(0)
	v_cmp_eq_u64_e64 s6, v[1:2], v[3:4]
	v_dual_mov_b32 v4, v2 :: v_dual_mov_b32 v3, v1
	s_delay_alu instid0(VALU_DEP_2) | instskip(NEXT) | instid1(SALU_CYCLE_1)
	s_or_b32 s23, s6, s23
	s_and_not1_b32 exec_lo, exec_lo, s23
	s_cbranch_execnz .LBB13_30
; %bb.31:                               ;   in Loop: Header=BB13_11 Depth=1
	s_or_b32 exec_lo, exec_lo, s23
	s_branch .LBB13_10
.LBB13_32:
	s_ashr_i32 s3, s19, 31
	s_mov_b32 s2, s19
	s_waitcnt lgkmcnt(0)
	v_add_nc_u32_e32 v5, s26, v13
	s_lshl_b64 s[2:3], s[2:3], 2
	s_mov_b32 s4, exec_lo
	s_add_u32 s2, s8, s2
	s_addc_u32 s3, s9, s3
	s_load_b32 s2, s[2:3], 0x0
	s_waitcnt lgkmcnt(0)
	s_sub_i32 s3, s2, s20
	s_delay_alu instid0(SALU_CYCLE_1)
	v_cmpx_gt_i32_e64 s3, v5
	s_cbranch_execz .LBB13_42
; %bb.33:
	s_add_i32 s5, s19, -1
	s_mov_b32 s7, 0
	s_cmp_gt_i32 s5, s18
	s_cselect_b32 s2, -1, 0
	s_add_i32 s6, s19, -2
	s_delay_alu instid0(SALU_CYCLE_1) | instskip(SKIP_1) | instid1(SALU_CYCLE_1)
	s_cmp_lg_u32 s6, s18
	s_cselect_b32 s6, -1, 0
	s_and_b32 s6, s2, s6
	s_branch .LBB13_35
.LBB13_34:                              ;   in Loop: Header=BB13_35 Depth=1
	s_or_b32 exec_lo, exec_lo, s2
	v_add_nc_u32_e32 v5, 0x100, v5
	s_delay_alu instid0(VALU_DEP_1) | instskip(SKIP_1) | instid1(SALU_CYCLE_1)
	v_cmp_le_i32_e32 vcc_lo, s3, v5
	s_or_b32 s7, vcc_lo, s7
	s_and_not1_b32 exec_lo, exec_lo, s7
	s_cbranch_execz .LBB13_42
.LBB13_35:                              ; =>This Loop Header: Depth=1
                                        ;     Child Loop BB13_37 Depth 2
                                        ;     Child Loop BB13_41 Depth 2
	v_mov_b32_e32 v3, s18
	v_mov_b32_e32 v1, s5
	s_and_not1_b32 vcc_lo, exec_lo, s6
	s_cbranch_vccnz .LBB13_39
; %bb.36:                               ;   in Loop: Header=BB13_35 Depth=1
	v_mov_b32_e32 v3, s18
	v_mov_b32_e32 v1, s5
	s_mov_b32 s22, 0
	.p2align	6
.LBB13_37:                              ;   Parent Loop BB13_35 Depth=1
                                        ; =>  This Inner Loop Header: Depth=2
	s_delay_alu instid0(VALU_DEP_1) | instskip(NEXT) | instid1(VALU_DEP_1)
	v_add_nc_u32_e32 v2, v1, v3
	v_lshrrev_b32_e32 v4, 31, v2
	s_delay_alu instid0(VALU_DEP_1) | instskip(NEXT) | instid1(VALU_DEP_1)
	v_add_nc_u32_e32 v2, v2, v4
	v_ashrrev_i32_e32 v9, 1, v2
	s_delay_alu instid0(VALU_DEP_1) | instskip(NEXT) | instid1(VALU_DEP_1)
	v_ashrrev_i32_e32 v10, 31, v9
	v_lshlrev_b64 v[10:11], 2, v[9:10]
	s_delay_alu instid0(VALU_DEP_1) | instskip(NEXT) | instid1(VALU_DEP_2)
	v_add_co_u32 v10, vcc_lo, s8, v10
	v_add_co_ci_u32_e32 v11, vcc_lo, s9, v11, vcc_lo
	global_load_b32 v2, v[10:11], off
	s_waitcnt vmcnt(0)
	v_subrev_nc_u32_e32 v2, s20, v2
	s_delay_alu instid0(VALU_DEP_1) | instskip(SKIP_1) | instid1(VALU_DEP_1)
	v_cmp_gt_i32_e32 vcc_lo, v2, v5
	v_cndmask_b32_e32 v1, v1, v9, vcc_lo
	v_dual_cndmask_b32 v3, v9, v3 :: v_dual_add_nc_u32 v2, -1, v1
	s_delay_alu instid0(VALU_DEP_1) | instskip(NEXT) | instid1(VALU_DEP_2)
	v_cmp_ge_i32_e32 vcc_lo, v3, v1
	v_cmp_eq_u32_e64 s2, v3, v2
	s_delay_alu instid0(VALU_DEP_1) | instskip(NEXT) | instid1(SALU_CYCLE_1)
	s_or_b32 s2, vcc_lo, s2
	s_and_b32 s2, exec_lo, s2
	s_delay_alu instid0(SALU_CYCLE_1) | instskip(NEXT) | instid1(SALU_CYCLE_1)
	s_or_b32 s22, s2, s22
	s_and_not1_b32 exec_lo, exec_lo, s22
	s_cbranch_execnz .LBB13_37
; %bb.38:                               ;   in Loop: Header=BB13_35 Depth=1
	s_or_b32 exec_lo, exec_lo, s22
.LBB13_39:                              ;   in Loop: Header=BB13_35 Depth=1
	s_delay_alu instid0(VALU_DEP_1) | instskip(SKIP_2) | instid1(VALU_DEP_2)
	v_ashrrev_i32_e32 v2, 31, v1
	v_ashrrev_i32_e32 v6, 31, v5
	s_mov_b32 s2, exec_lo
	v_lshlrev_b64 v[9:10], 2, v[1:2]
	s_delay_alu instid0(VALU_DEP_2) | instskip(NEXT) | instid1(VALU_DEP_2)
	v_lshlrev_b64 v[11:12], 2, v[5:6]
	v_add_co_u32 v9, vcc_lo, s8, v9
	s_delay_alu instid0(VALU_DEP_3)
	v_add_co_ci_u32_e32 v10, vcc_lo, s9, v10, vcc_lo
	global_load_b32 v2, v[9:10], off
	v_add_co_u32 v9, vcc_lo, s10, v11
	v_add_co_ci_u32_e32 v10, vcc_lo, s11, v12, vcc_lo
	global_load_b32 v4, v[9:10], off
	s_waitcnt vmcnt(1)
	v_subrev_nc_u32_e32 v2, s20, v2
	s_delay_alu instid0(VALU_DEP_1) | instskip(SKIP_3) | instid1(VALU_DEP_1)
	v_cmp_gt_i32_e32 vcc_lo, v2, v5
	v_cndmask_b32_e32 v2, v1, v3, vcc_lo
	s_waitcnt vmcnt(0)
	v_subrev_nc_u32_e32 v1, s20, v4
	v_cmpx_ne_u32_e64 v1, v2
	s_cbranch_execz .LBB13_34
; %bb.40:                               ;   in Loop: Header=BB13_35 Depth=1
	v_lshlrev_b64 v[3:4], 3, v[5:6]
	s_mov_b32 s22, 0
	s_delay_alu instid0(VALU_DEP_1) | instskip(NEXT) | instid1(VALU_DEP_2)
	v_add_co_u32 v3, vcc_lo, s12, v3
	v_add_co_ci_u32_e32 v4, vcc_lo, s13, v4, vcc_lo
	global_load_b64 v[11:12], v[3:4], off
	v_ashrrev_i32_e32 v3, 31, v2
	s_delay_alu instid0(VALU_DEP_1) | instskip(NEXT) | instid1(VALU_DEP_1)
	v_lshlrev_b64 v[2:3], 3, v[2:3]
	v_add_co_u32 v2, vcc_lo, s14, v2
	s_delay_alu instid0(VALU_DEP_2) | instskip(SKIP_2) | instid1(VALU_DEP_1)
	v_add_co_ci_u32_e32 v3, vcc_lo, s15, v3, vcc_lo
	global_load_b64 v[14:15], v[2:3], off
	v_ashrrev_i32_e32 v2, 31, v1
	v_lshlrev_b64 v[1:2], 3, v[1:2]
	s_delay_alu instid0(VALU_DEP_1) | instskip(NEXT) | instid1(VALU_DEP_2)
	v_add_co_u32 v9, vcc_lo, s16, v1
	v_add_co_ci_u32_e32 v10, vcc_lo, s17, v2, vcc_lo
	global_load_b64 v[3:4], v[9:10], off
	s_waitcnt vmcnt(2)
	v_mul_f64 v[1:2], v[7:8], v[11:12]
	s_waitcnt vmcnt(1)
	s_delay_alu instid0(VALU_DEP_1)
	v_mul_f64 v[11:12], v[1:2], v[14:15]
.LBB13_41:                              ;   Parent Loop BB13_35 Depth=1
                                        ; =>  This Inner Loop Header: Depth=2
	s_waitcnt vmcnt(0)
	s_delay_alu instid0(VALU_DEP_1)
	v_add_f64 v[1:2], v[3:4], v[11:12]
	global_atomic_cmpswap_b64 v[1:2], v[9:10], v[1:4], off glc
	s_waitcnt vmcnt(0)
	v_cmp_eq_u64_e32 vcc_lo, v[1:2], v[3:4]
	v_dual_mov_b32 v4, v2 :: v_dual_mov_b32 v3, v1
	s_or_b32 s22, vcc_lo, s22
	s_delay_alu instid0(SALU_CYCLE_1)
	s_and_not1_b32 exec_lo, exec_lo, s22
	s_cbranch_execnz .LBB13_41
	s_branch .LBB13_34
.LBB13_42:
	s_or_b32 exec_lo, exec_lo, s4
	s_mov_b32 s2, 0
.LBB13_43:
	s_delay_alu instid0(SALU_CYCLE_1)
	s_and_b32 vcc_lo, exec_lo, s2
	s_cbranch_vccz .LBB13_190
; %bb.44:
	s_ashr_i32 s3, s18, 31
	s_mov_b32 s2, s18
	s_sub_i32 s7, 0, s21
	s_lshl_b64 s[2:3], s[2:3], 2
	v_cvt_f32_u32_e32 v1, s21
	s_add_u32 s2, s8, s2
	s_addc_u32 s3, s9, s3
	s_load_b32 s22, s[2:3], 0x0
	s_delay_alu instid0(VALU_DEP_1)
	v_rcp_iflag_f32_e32 v1, v1
	s_clause 0x1
	s_load_b64 s[4:5], s[0:1], 0x4
	s_load_b32 s1, s[0:1], 0x64
	s_waitcnt_depctr 0xfff
	v_mul_f32_e32 v1, 0x4f7ffffe, v1
	s_delay_alu instid0(VALU_DEP_1) | instskip(SKIP_2) | instid1(VALU_DEP_2)
	v_cvt_u32_f32_e32 v1, v1
	s_waitcnt lgkmcnt(0)
	v_add_nc_u32_e32 v5, s22, v13
	v_readfirstlane_b32 s6, v1
	s_delay_alu instid0(VALU_DEP_2) | instskip(NEXT) | instid1(VALU_DEP_2)
	v_add_nc_u32_e32 v17, 0x300, v5
	s_mul_i32 s7, s7, s6
	s_delay_alu instid0(VALU_DEP_1) | instskip(SKIP_2) | instid1(SALU_CYCLE_1)
	v_cmp_le_i32_e32 vcc_lo, s4, v17
	s_mul_hi_u32 s4, s6, s7
	s_and_saveexec_b32 s0, vcc_lo
	s_xor_b32 s7, exec_lo, s0
	s_cbranch_execz .LBB13_49
; %bb.45:
	s_ashr_i32 s25, s19, 31
	s_mov_b32 s24, s19
	s_delay_alu instid0(SALU_CYCLE_1) | instskip(NEXT) | instid1(SALU_CYCLE_1)
	s_lshl_b64 s[24:25], s[24:25], 2
	s_add_u32 s24, s8, s24
	s_addc_u32 s25, s9, s25
	s_load_b32 s0, s[24:25], 0x0
	s_mov_b32 s24, exec_lo
	s_waitcnt lgkmcnt(0)
	s_sub_i32 s23, s0, s22
	s_delay_alu instid0(SALU_CYCLE_1)
	v_cmpx_gt_i32_e64 s23, v0
	s_cbranch_execz .LBB13_48
; %bb.46:
	v_mov_b32_e32 v1, v0
	v_mov_b32_e32 v2, v16
	s_sub_i32 s25, s22, s20
	s_mov_b32 s26, 0
	.p2align	6
.LBB13_47:                              ; =>This Inner Loop Header: Depth=1
	s_delay_alu instid0(VALU_DEP_2) | instskip(SKIP_1) | instid1(VALU_DEP_2)
	v_add_nc_u32_e32 v3, s25, v1
	v_add_nc_u32_e32 v1, 0x100, v1
	v_ashrrev_i32_e32 v4, 31, v3
	s_delay_alu instid0(VALU_DEP_1) | instskip(NEXT) | instid1(VALU_DEP_1)
	v_lshlrev_b64 v[3:4], 3, v[3:4]
	v_add_co_u32 v3, s0, s12, v3
	s_delay_alu instid0(VALU_DEP_1)
	v_add_co_ci_u32_e64 v4, s0, s13, v4, s0
	v_cmp_le_i32_e64 s0, s23, v1
	global_load_b64 v[3:4], v[3:4], off
	s_or_b32 s26, s0, s26
	s_waitcnt vmcnt(0)
	v_mul_f64 v[3:4], v[7:8], v[3:4]
	ds_store_b64 v2, v[3:4]
	v_add_nc_u32_e32 v2, 0x800, v2
	s_and_not1_b32 exec_lo, exec_lo, s26
	s_cbranch_execnz .LBB13_47
.LBB13_48:
	s_or_b32 exec_lo, exec_lo, s24
                                        ; implicit-def: $vgpr7_vgpr8
.LBB13_49:
	s_or_saveexec_b32 s7, s7
	v_ashrrev_i32_e32 v6, 31, v5
	s_and_b32 s1, s1, 0xffff
	s_add_i32 s6, s6, s4
	s_xor_b32 exec_lo, exec_lo, s7
	s_cbranch_execz .LBB13_51
; %bb.50:
	v_lshlrev_b64 v[1:2], 3, v[5:6]
	s_delay_alu instid0(VALU_DEP_1) | instskip(NEXT) | instid1(VALU_DEP_1)
	v_add_co_u32 v1, s0, s12, v1
	v_add_co_ci_u32_e64 v2, s0, s13, v2, s0
	s_delay_alu instid0(VALU_DEP_2) | instskip(NEXT) | instid1(VALU_DEP_1)
	v_add_co_u32 v3, s0, 0x1000, v1
	v_add_co_ci_u32_e64 v4, s0, 0, v2, s0
	s_clause 0x3
	global_load_b64 v[9:10], v[1:2], off
	global_load_b64 v[1:2], v[1:2], off offset:2048
	global_load_b64 v[11:12], v[3:4], off
	global_load_b64 v[3:4], v[3:4], off offset:2048
	s_waitcnt vmcnt(3)
	v_mul_f64 v[9:10], v[7:8], v[9:10]
	s_waitcnt vmcnt(2)
	v_mul_f64 v[1:2], v[7:8], v[1:2]
	;; [unrolled: 2-line block ×4, first 2 shown]
	ds_store_2addr_stride64_b64 v16, v[9:10], v[1:2] offset1:4
	ds_store_2addr_stride64_b64 v16, v[11:12], v[3:4] offset0:8 offset1:12
.LBB13_51:
	s_or_b32 exec_lo, exec_lo, s7
	s_mul_hi_u32 s4, s1, s6
	s_mov_b32 s6, exec_lo
	v_cmpx_gt_i32_e64 s5, v0
	s_cbranch_execz .LBB13_54
; %bb.52:
	v_dual_mov_b32 v1, 0 :: v_dual_mov_b32 v4, v0
	v_lshl_add_u32 v3, v0, 3, 0x2000
	s_mov_b32 s7, 0
	s_delay_alu instid0(VALU_DEP_2)
	v_mov_b32_e32 v2, v1
.LBB13_53:                              ; =>This Inner Loop Header: Depth=1
	s_delay_alu instid0(VALU_DEP_3) | instskip(SKIP_3) | instid1(VALU_DEP_1)
	v_add_nc_u32_e32 v4, 0x100, v4
	ds_store_b64 v3, v[1:2]
	v_add_nc_u32_e32 v3, 0x800, v3
	v_cmp_le_i32_e64 s0, s5, v4
	s_or_b32 s7, s0, s7
	s_delay_alu instid0(SALU_CYCLE_1)
	s_and_not1_b32 exec_lo, exec_lo, s7
	s_cbranch_execnz .LBB13_53
.LBB13_54:
	s_or_b32 exec_lo, exec_lo, s6
	s_sub_i32 s0, s19, s5
	s_cmp_ge_i32 s19, s5
	s_waitcnt lgkmcnt(0)
	s_cselect_b32 s12, s0, 0
	s_barrier
	buffer_gl0_inv
	s_and_saveexec_b32 s0, vcc_lo
	s_delay_alu instid0(SALU_CYCLE_1)
	s_xor_b32 s6, exec_lo, s0
	s_cbranch_execz .LBB13_75
; %bb.55:
	s_ashr_i32 s25, s19, 31
	s_mov_b32 s24, s19
	s_mov_b32 s13, exec_lo
	s_lshl_b64 s[24:25], s[24:25], 2
	s_delay_alu instid0(SALU_CYCLE_1) | instskip(SKIP_4) | instid1(SALU_CYCLE_1)
	s_add_u32 s24, s8, s24
	s_addc_u32 s25, s9, s25
	s_load_b32 s0, s[24:25], 0x0
	s_waitcnt lgkmcnt(0)
	s_sub_i32 s7, s0, s22
	v_cmpx_gt_i32_e64 s7, v0
	s_cbranch_execz .LBB13_74
; %bb.56:
	s_add_i32 s23, s19, -1
	s_mov_b32 s26, 0
	s_cmp_gt_i32 s23, s18
	s_mov_b32 s27, 0
	s_cselect_b32 s24, -1, 0
	s_add_i32 s25, s19, -2
	s_delay_alu instid0(SALU_CYCLE_1) | instskip(SKIP_1) | instid1(SALU_CYCLE_1)
	s_cmp_lg_u32 s25, s18
	s_cselect_b32 s25, -1, 0
	s_and_b32 s24, s24, s25
	s_sub_i32 s25, s0, s20
	s_branch .LBB13_59
.LBB13_57:                              ;   in Loop: Header=BB13_59 Depth=1
	s_or_b32 exec_lo, exec_lo, s0
.LBB13_58:                              ;   in Loop: Header=BB13_59 Depth=1
	s_delay_alu instid0(SALU_CYCLE_1) | instskip(SKIP_2) | instid1(SALU_CYCLE_1)
	s_or_b32 exec_lo, exec_lo, s28
	v_ashrrev_i32_e32 v7, 31, v6
	s_addk_i32 s27, 0x100
	v_add_nc_u32_e32 v3, s27, v0
	s_delay_alu instid0(VALU_DEP_2) | instskip(NEXT) | instid1(VALU_DEP_1)
	v_lshlrev_b64 v[1:2], 3, v[6:7]
	v_add_co_u32 v1, vcc_lo, s14, v1
	s_delay_alu instid0(VALU_DEP_2) | instskip(NEXT) | instid1(VALU_DEP_4)
	v_add_co_ci_u32_e32 v2, vcc_lo, s15, v2, vcc_lo
	v_cmp_le_i32_e32 vcc_lo, s7, v3
	global_load_b64 v[1:2], v[1:2], off
	s_or_b32 s26, vcc_lo, s26
	s_waitcnt vmcnt(0) lgkmcnt(0)
	v_mul_f64 v[1:2], v[1:2], v[8:9]
	ds_store_b64 v14, v[1:2]
	s_and_not1_b32 exec_lo, exec_lo, s26
	s_cbranch_execz .LBB13_74
.LBB13_59:                              ; =>This Loop Header: Depth=1
                                        ;     Child Loop BB13_61 Depth 2
                                        ;     Child Loop BB13_68 Depth 2
	;; [unrolled: 1-line block ×3, first 2 shown]
	v_add_nc_u32_e32 v1, s27, v5
	v_mov_b32_e32 v7, s18
	v_mov_b32_e32 v3, s23
	s_and_not1_b32 vcc_lo, exec_lo, s24
	s_cbranch_vccnz .LBB13_63
; %bb.60:                               ;   in Loop: Header=BB13_59 Depth=1
	v_mov_b32_e32 v7, s18
	v_mov_b32_e32 v3, s23
	s_mov_b32 s28, 0
	.p2align	6
.LBB13_61:                              ;   Parent Loop BB13_59 Depth=1
                                        ; =>  This Inner Loop Header: Depth=2
	s_delay_alu instid0(VALU_DEP_1) | instskip(NEXT) | instid1(VALU_DEP_1)
	v_add_nc_u32_e32 v2, v3, v7
	v_lshrrev_b32_e32 v4, 31, v2
	s_delay_alu instid0(VALU_DEP_1) | instskip(NEXT) | instid1(VALU_DEP_1)
	v_add_nc_u32_e32 v2, v2, v4
	v_ashrrev_i32_e32 v8, 1, v2
	s_delay_alu instid0(VALU_DEP_1) | instskip(NEXT) | instid1(VALU_DEP_1)
	v_ashrrev_i32_e32 v9, 31, v8
	v_lshlrev_b64 v[9:10], 2, v[8:9]
	s_delay_alu instid0(VALU_DEP_1) | instskip(NEXT) | instid1(VALU_DEP_2)
	v_add_co_u32 v9, vcc_lo, s8, v9
	v_add_co_ci_u32_e32 v10, vcc_lo, s9, v10, vcc_lo
	global_load_b32 v2, v[9:10], off
	s_waitcnt vmcnt(0)
	v_subrev_nc_u32_e32 v2, s20, v2
	s_delay_alu instid0(VALU_DEP_1) | instskip(SKIP_2) | instid1(VALU_DEP_1)
	v_cmp_gt_i32_e32 vcc_lo, v2, v1
	v_cndmask_b32_e32 v7, v8, v7, vcc_lo
	v_cndmask_b32_e32 v3, v3, v8, vcc_lo
	v_add_nc_u32_e32 v2, -1, v3
	s_delay_alu instid0(VALU_DEP_3) | instskip(NEXT) | instid1(VALU_DEP_2)
	v_cmp_ge_i32_e32 vcc_lo, v7, v3
	v_cmp_eq_u32_e64 s0, v7, v2
	s_delay_alu instid0(VALU_DEP_1) | instskip(NEXT) | instid1(SALU_CYCLE_1)
	s_or_b32 s0, vcc_lo, s0
	s_and_b32 s0, exec_lo, s0
	s_delay_alu instid0(SALU_CYCLE_1) | instskip(NEXT) | instid1(SALU_CYCLE_1)
	s_or_b32 s28, s0, s28
	s_and_not1_b32 exec_lo, exec_lo, s28
	s_cbranch_execnz .LBB13_61
; %bb.62:                               ;   in Loop: Header=BB13_59 Depth=1
	s_or_b32 exec_lo, exec_lo, s28
.LBB13_63:                              ;   in Loop: Header=BB13_59 Depth=1
	s_delay_alu instid0(VALU_DEP_1) | instskip(SKIP_3) | instid1(VALU_DEP_4)
	v_ashrrev_i32_e32 v4, 31, v3
	v_ashrrev_i32_e32 v2, 31, v1
	v_cmp_le_i32_e64 s0, s25, v1
	v_lshl_add_u32 v14, s27, 3, v16
	v_lshlrev_b64 v[8:9], 2, v[3:4]
	s_delay_alu instid0(VALU_DEP_4) | instskip(NEXT) | instid1(VALU_DEP_2)
	v_lshlrev_b64 v[10:11], 2, v[1:2]
	v_add_co_u32 v8, vcc_lo, s8, v8
	s_delay_alu instid0(VALU_DEP_3) | instskip(NEXT) | instid1(VALU_DEP_3)
	v_add_co_ci_u32_e32 v9, vcc_lo, s9, v9, vcc_lo
	v_add_co_u32 v10, vcc_lo, s10, v10
	s_delay_alu instid0(VALU_DEP_4)
	v_add_co_ci_u32_e32 v11, vcc_lo, s11, v11, vcc_lo
	global_load_b32 v2, v[8:9], off
	global_load_b32 v4, v[10:11], off
                                        ; implicit-def: $vgpr8_vgpr9
	s_waitcnt vmcnt(1)
	v_subrev_nc_u32_e32 v2, s20, v2
	s_waitcnt vmcnt(0)
	v_subrev_nc_u32_e32 v6, s20, v4
	s_delay_alu instid0(VALU_DEP_2) | instskip(SKIP_1) | instid1(VALU_DEP_1)
	v_cmp_gt_i32_e32 vcc_lo, v2, v1
	v_cndmask_b32_e32 v2, v3, v7, vcc_lo
	v_cmp_eq_u32_e32 vcc_lo, v6, v2
	s_or_b32 s0, vcc_lo, s0
	s_delay_alu instid0(SALU_CYCLE_1) | instskip(NEXT) | instid1(SALU_CYCLE_1)
	s_and_saveexec_b32 s28, s0
	s_xor_b32 s0, exec_lo, s28
	s_cbranch_execz .LBB13_65
; %bb.64:                               ;   in Loop: Header=BB13_59 Depth=1
	ds_load_b64 v[8:9], v14
                                        ; implicit-def: $vgpr2
.LBB13_65:                              ;   in Loop: Header=BB13_59 Depth=1
	s_and_not1_saveexec_b32 s28, s0
	s_cbranch_execz .LBB13_58
; %bb.66:                               ;   in Loop: Header=BB13_59 Depth=1
	v_ashrrev_i32_e32 v3, 31, v2
	s_waitcnt lgkmcnt(0)
	ds_load_b64 v[8:9], v14
	v_cmp_le_i32_e64 s0, s19, v6
	v_lshlrev_b64 v[1:2], 3, v[2:3]
	s_delay_alu instid0(VALU_DEP_1) | instskip(NEXT) | instid1(VALU_DEP_2)
	v_add_co_u32 v1, vcc_lo, s14, v1
	v_add_co_ci_u32_e32 v2, vcc_lo, s15, v2, vcc_lo
	v_cmp_gt_i32_e32 vcc_lo, s12, v6
	global_load_b64 v[1:2], v[1:2], off
	s_or_b32 s0, vcc_lo, s0
	s_waitcnt vmcnt(0) lgkmcnt(0)
	v_mul_f64 v[10:11], v[8:9], v[1:2]
	s_and_saveexec_b32 s29, s0
	s_delay_alu instid0(SALU_CYCLE_1)
	s_xor_b32 s0, exec_lo, s29
	s_cbranch_execz .LBB13_70
; %bb.67:                               ;   in Loop: Header=BB13_59 Depth=1
	v_ashrrev_i32_e32 v7, 31, v6
	s_mov_b32 s29, 0
	s_delay_alu instid0(VALU_DEP_1) | instskip(NEXT) | instid1(VALU_DEP_1)
	v_lshlrev_b64 v[1:2], 3, v[6:7]
	v_add_co_u32 v12, vcc_lo, s16, v1
	s_delay_alu instid0(VALU_DEP_2)
	v_add_co_ci_u32_e32 v13, vcc_lo, s17, v2, vcc_lo
	global_load_b64 v[3:4], v[12:13], off
.LBB13_68:                              ;   Parent Loop BB13_59 Depth=1
                                        ; =>  This Inner Loop Header: Depth=2
	s_waitcnt vmcnt(0)
	v_add_f64 v[1:2], v[3:4], v[10:11]
	global_atomic_cmpswap_b64 v[1:2], v[12:13], v[1:4], off glc
	s_waitcnt vmcnt(0)
	v_cmp_eq_u64_e32 vcc_lo, v[1:2], v[3:4]
	v_dual_mov_b32 v4, v2 :: v_dual_mov_b32 v3, v1
	s_or_b32 s29, vcc_lo, s29
	s_delay_alu instid0(SALU_CYCLE_1)
	s_and_not1_b32 exec_lo, exec_lo, s29
	s_cbranch_execnz .LBB13_68
; %bb.69:                               ;   in Loop: Header=BB13_59 Depth=1
	s_or_b32 exec_lo, exec_lo, s29
                                        ; implicit-def: $vgpr10_vgpr11
.LBB13_70:                              ;   in Loop: Header=BB13_59 Depth=1
	s_and_not1_saveexec_b32 s0, s0
	s_cbranch_execz .LBB13_57
; %bb.71:                               ;   in Loop: Header=BB13_59 Depth=1
	v_subrev_nc_u32_e32 v1, s12, v6
	s_mov_b32 s29, 0
	s_delay_alu instid0(VALU_DEP_1)
	v_lshl_add_u32 v3, v1, 3, 0x2000
	ds_load_b64 v[1:2], v3
.LBB13_72:                              ;   Parent Loop BB13_59 Depth=1
                                        ; =>  This Inner Loop Header: Depth=2
	s_waitcnt lgkmcnt(0)
	v_add_f64 v[12:13], v[1:2], v[10:11]
	ds_cmpstore_rtn_b64 v[12:13], v3, v[12:13], v[1:2]
	s_waitcnt lgkmcnt(0)
	v_cmp_eq_u64_e32 vcc_lo, v[12:13], v[1:2]
	v_dual_mov_b32 v1, v12 :: v_dual_mov_b32 v2, v13
	s_or_b32 s29, vcc_lo, s29
	s_delay_alu instid0(SALU_CYCLE_1)
	s_and_not1_b32 exec_lo, exec_lo, s29
	s_cbranch_execnz .LBB13_72
; %bb.73:                               ;   in Loop: Header=BB13_59 Depth=1
	s_or_b32 exec_lo, exec_lo, s29
	s_branch .LBB13_57
.LBB13_74:
	s_or_b32 exec_lo, exec_lo, s13
                                        ; implicit-def: $vgpr17
                                        ; implicit-def: $vgpr5
.LBB13_75:
	s_and_not1_saveexec_b32 s13, s6
	s_cbranch_execz .LBB13_149
; %bb.76:
	s_add_i32 s23, s19, -1
	v_mov_b32_e32 v3, s18
	s_cmp_le_i32 s23, s18
	v_mov_b32_e32 v1, s23
	s_cselect_b32 s0, -1, 0
	s_add_i32 s6, s19, -2
	s_delay_alu instid0(SALU_CYCLE_1) | instskip(SKIP_1) | instid1(SALU_CYCLE_1)
	s_cmp_eq_u32 s6, s18
	s_cselect_b32 s6, -1, 0
	s_or_b32 s6, s0, s6
	s_delay_alu instid0(SALU_CYCLE_1)
	s_and_b32 vcc_lo, exec_lo, s6
	s_cbranch_vccnz .LBB13_80
; %bb.77:
	v_mov_b32_e32 v3, s18
	v_mov_b32_e32 v1, s23
	s_mov_b32 s7, 0
	.p2align	6
.LBB13_78:                              ; =>This Inner Loop Header: Depth=1
	s_delay_alu instid0(VALU_DEP_1) | instskip(NEXT) | instid1(VALU_DEP_1)
	v_add_nc_u32_e32 v2, v1, v3
	v_lshrrev_b32_e32 v4, 31, v2
	s_delay_alu instid0(VALU_DEP_1) | instskip(NEXT) | instid1(VALU_DEP_1)
	v_add_nc_u32_e32 v2, v2, v4
	v_ashrrev_i32_e32 v7, 1, v2
	s_delay_alu instid0(VALU_DEP_1) | instskip(NEXT) | instid1(VALU_DEP_1)
	v_ashrrev_i32_e32 v8, 31, v7
	v_lshlrev_b64 v[8:9], 2, v[7:8]
	s_delay_alu instid0(VALU_DEP_1) | instskip(NEXT) | instid1(VALU_DEP_2)
	v_add_co_u32 v8, vcc_lo, s8, v8
	v_add_co_ci_u32_e32 v9, vcc_lo, s9, v9, vcc_lo
	global_load_b32 v2, v[8:9], off
	s_waitcnt vmcnt(0)
	v_subrev_nc_u32_e32 v2, s20, v2
	s_delay_alu instid0(VALU_DEP_1) | instskip(SKIP_1) | instid1(VALU_DEP_1)
	v_cmp_gt_i32_e32 vcc_lo, v2, v5
	v_cndmask_b32_e32 v1, v1, v7, vcc_lo
	v_dual_cndmask_b32 v3, v7, v3 :: v_dual_add_nc_u32 v2, -1, v1
	s_delay_alu instid0(VALU_DEP_1) | instskip(NEXT) | instid1(VALU_DEP_2)
	v_cmp_ge_i32_e32 vcc_lo, v3, v1
	v_cmp_eq_u32_e64 s0, v3, v2
	s_delay_alu instid0(VALU_DEP_1) | instskip(NEXT) | instid1(SALU_CYCLE_1)
	s_or_b32 s0, vcc_lo, s0
	s_and_b32 s0, exec_lo, s0
	s_delay_alu instid0(SALU_CYCLE_1) | instskip(NEXT) | instid1(SALU_CYCLE_1)
	s_or_b32 s7, s0, s7
	s_and_not1_b32 exec_lo, exec_lo, s7
	s_cbranch_execnz .LBB13_78
; %bb.79:
	s_or_b32 exec_lo, exec_lo, s7
.LBB13_80:
	v_ashrrev_i32_e32 v2, 31, v1
	v_lshlrev_b64 v[9:10], 2, v[5:6]
	s_xor_b32 s24, s6, -1
	s_ashr_i32 s7, s19, 31
	s_mov_b32 s6, s19
	v_lshlrev_b64 v[7:8], 2, v[1:2]
	s_lshl_b64 s[6:7], s[6:7], 2
	s_mov_b32 s0, exec_lo
	s_add_u32 s6, s8, s6
	s_addc_u32 s7, s9, s7
	s_delay_alu instid0(VALU_DEP_1)
	v_add_co_u32 v7, vcc_lo, s8, v7
	v_add_co_ci_u32_e32 v8, vcc_lo, s9, v8, vcc_lo
	v_add_co_u32 v6, vcc_lo, s10, v9
	global_load_b32 v2, v[7:8], off
	v_add_co_ci_u32_e32 v7, vcc_lo, s11, v10, vcc_lo
                                        ; implicit-def: $vgpr10_vgpr11
	global_load_b32 v4, v[6:7], off
	s_waitcnt vmcnt(1)
	v_subrev_nc_u32_e32 v2, s20, v2
	s_delay_alu instid0(VALU_DEP_1) | instskip(SKIP_3) | instid1(VALU_DEP_1)
	v_cmp_gt_i32_e32 vcc_lo, v2, v5
	s_waitcnt vmcnt(0)
	v_subrev_nc_u32_e32 v8, s20, v4
	v_cndmask_b32_e32 v1, v1, v3, vcc_lo
	v_cmpx_ne_u32_e64 v8, v1
	s_xor_b32 s10, exec_lo, s0
	s_cbranch_execz .LBB13_92
; %bb.81:
	s_load_b32 s0, s[6:7], 0x0
	ds_load_b64 v[10:11], v16
	s_mov_b32 s11, exec_lo
	s_waitcnt lgkmcnt(0)
	s_sub_i32 s0, s0, s20
	s_delay_alu instid0(SALU_CYCLE_1)
	v_cmpx_gt_i32_e64 s0, v5
	s_cbranch_execz .LBB13_91
; %bb.82:
	v_ashrrev_i32_e32 v2, 31, v1
	v_cmp_le_i32_e64 s0, s19, v8
	s_delay_alu instid0(VALU_DEP_2) | instskip(NEXT) | instid1(VALU_DEP_1)
	v_lshlrev_b64 v[1:2], 3, v[1:2]
	v_add_co_u32 v1, vcc_lo, s14, v1
	s_delay_alu instid0(VALU_DEP_2)
	v_add_co_ci_u32_e32 v2, vcc_lo, s15, v2, vcc_lo
	v_cmp_gt_i32_e32 vcc_lo, s12, v8
	global_load_b64 v[1:2], v[1:2], off
	s_or_b32 s0, vcc_lo, s0
	s_waitcnt vmcnt(0)
	v_mul_f64 v[12:13], v[10:11], v[1:2]
	s_and_saveexec_b32 s25, s0
	s_delay_alu instid0(SALU_CYCLE_1)
	s_xor_b32 s0, exec_lo, s25
	s_cbranch_execz .LBB13_86
; %bb.83:
	v_ashrrev_i32_e32 v9, 31, v8
	s_mov_b32 s25, 0
	s_delay_alu instid0(VALU_DEP_1) | instskip(NEXT) | instid1(VALU_DEP_1)
	v_lshlrev_b64 v[1:2], 3, v[8:9]
	v_add_co_u32 v14, vcc_lo, s16, v1
	s_delay_alu instid0(VALU_DEP_2)
	v_add_co_ci_u32_e32 v15, vcc_lo, s17, v2, vcc_lo
	global_load_b64 v[3:4], v[14:15], off
.LBB13_84:                              ; =>This Inner Loop Header: Depth=1
	s_waitcnt vmcnt(0)
	v_add_f64 v[1:2], v[3:4], v[12:13]
	global_atomic_cmpswap_b64 v[1:2], v[14:15], v[1:4], off glc
	s_waitcnt vmcnt(0)
	v_cmp_eq_u64_e32 vcc_lo, v[1:2], v[3:4]
	v_dual_mov_b32 v4, v2 :: v_dual_mov_b32 v3, v1
	s_or_b32 s25, vcc_lo, s25
	s_delay_alu instid0(SALU_CYCLE_1)
	s_and_not1_b32 exec_lo, exec_lo, s25
	s_cbranch_execnz .LBB13_84
; %bb.85:
	s_or_b32 exec_lo, exec_lo, s25
                                        ; implicit-def: $vgpr12_vgpr13
.LBB13_86:
	s_and_not1_saveexec_b32 s0, s0
	s_cbranch_execz .LBB13_90
; %bb.87:
	v_subrev_nc_u32_e32 v1, s12, v8
	s_mov_b32 s25, 0
	s_delay_alu instid0(VALU_DEP_1)
	v_lshl_add_u32 v3, v1, 3, 0x2000
	ds_load_b64 v[1:2], v3
.LBB13_88:                              ; =>This Inner Loop Header: Depth=1
	s_waitcnt lgkmcnt(0)
	v_add_f64 v[14:15], v[1:2], v[12:13]
	ds_cmpstore_rtn_b64 v[14:15], v3, v[14:15], v[1:2]
	s_waitcnt lgkmcnt(0)
	v_cmp_eq_u64_e32 vcc_lo, v[14:15], v[1:2]
	v_dual_mov_b32 v1, v14 :: v_dual_mov_b32 v2, v15
	s_or_b32 s25, vcc_lo, s25
	s_delay_alu instid0(SALU_CYCLE_1)
	s_and_not1_b32 exec_lo, exec_lo, s25
	s_cbranch_execnz .LBB13_88
; %bb.89:
	s_or_b32 exec_lo, exec_lo, s25
.LBB13_90:
	s_delay_alu instid0(SALU_CYCLE_1)
	s_or_b32 exec_lo, exec_lo, s0
.LBB13_91:
	s_delay_alu instid0(SALU_CYCLE_1)
	s_or_b32 exec_lo, exec_lo, s11
.LBB13_92:
	s_and_not1_saveexec_b32 s0, s10
	s_cbranch_execz .LBB13_94
; %bb.93:
	ds_load_b64 v[10:11], v16
.LBB13_94:
	s_or_b32 exec_lo, exec_lo, s0
	v_ashrrev_i32_e32 v9, 31, v8
	v_cndmask_b32_e64 v18, 0, 1, s24
	v_dual_mov_b32 v4, s18 :: v_dual_add_nc_u32 v3, 0x100, v5
	s_delay_alu instid0(VALU_DEP_3) | instskip(NEXT) | instid1(VALU_DEP_1)
	v_lshlrev_b64 v[1:2], 3, v[8:9]
	v_add_co_u32 v1, vcc_lo, s14, v1
	s_delay_alu instid0(VALU_DEP_2)
	v_add_co_ci_u32_e32 v2, vcc_lo, s15, v2, vcc_lo
	s_and_not1_b32 vcc_lo, exec_lo, s24
	global_load_b64 v[1:2], v[1:2], off
	s_waitcnt vmcnt(0) lgkmcnt(0)
	v_mul_f64 v[8:9], v[1:2], v[10:11]
	v_mov_b32_e32 v1, s23
	ds_store_b64 v16, v[8:9]
	s_cbranch_vccnz .LBB13_98
; %bb.95:
	v_dual_mov_b32 v4, s18 :: v_dual_mov_b32 v1, s23
	s_mov_b32 s10, 0
	.p2align	6
.LBB13_96:                              ; =>This Inner Loop Header: Depth=1
	s_delay_alu instid0(VALU_DEP_1) | instskip(NEXT) | instid1(VALU_DEP_1)
	v_add_nc_u32_e32 v2, v1, v4
	v_lshrrev_b32_e32 v8, 31, v2
	s_delay_alu instid0(VALU_DEP_1) | instskip(NEXT) | instid1(VALU_DEP_1)
	v_add_nc_u32_e32 v2, v2, v8
	v_ashrrev_i32_e32 v8, 1, v2
	s_delay_alu instid0(VALU_DEP_1) | instskip(NEXT) | instid1(VALU_DEP_1)
	v_ashrrev_i32_e32 v9, 31, v8
	v_lshlrev_b64 v[9:10], 2, v[8:9]
	s_delay_alu instid0(VALU_DEP_1) | instskip(NEXT) | instid1(VALU_DEP_2)
	v_add_co_u32 v9, vcc_lo, s8, v9
	v_add_co_ci_u32_e32 v10, vcc_lo, s9, v10, vcc_lo
	global_load_b32 v2, v[9:10], off
	s_waitcnt vmcnt(0)
	v_subrev_nc_u32_e32 v2, s20, v2
	s_delay_alu instid0(VALU_DEP_1) | instskip(SKIP_2) | instid1(VALU_DEP_2)
	v_cmp_gt_i32_e32 vcc_lo, v2, v3
	v_cndmask_b32_e32 v1, v1, v8, vcc_lo
	v_cndmask_b32_e32 v4, v8, v4, vcc_lo
	v_add_nc_u32_e32 v2, -1, v1
	s_delay_alu instid0(VALU_DEP_2) | instskip(NEXT) | instid1(VALU_DEP_2)
	v_cmp_ge_i32_e32 vcc_lo, v4, v1
	v_cmp_eq_u32_e64 s0, v4, v2
	s_delay_alu instid0(VALU_DEP_1) | instskip(NEXT) | instid1(SALU_CYCLE_1)
	s_or_b32 s0, vcc_lo, s0
	s_and_b32 s0, exec_lo, s0
	s_delay_alu instid0(SALU_CYCLE_1) | instskip(NEXT) | instid1(SALU_CYCLE_1)
	s_or_b32 s10, s0, s10
	s_and_not1_b32 exec_lo, exec_lo, s10
	s_cbranch_execnz .LBB13_96
; %bb.97:
	s_or_b32 exec_lo, exec_lo, s10
.LBB13_98:
	v_ashrrev_i32_e32 v2, 31, v1
                                        ; implicit-def: $vgpr10_vgpr11
	s_mov_b32 s0, exec_lo
	s_delay_alu instid0(VALU_DEP_1) | instskip(NEXT) | instid1(VALU_DEP_1)
	v_lshlrev_b64 v[8:9], 2, v[1:2]
	v_add_co_u32 v8, vcc_lo, s8, v8
	s_delay_alu instid0(VALU_DEP_2)
	v_add_co_ci_u32_e32 v9, vcc_lo, s9, v9, vcc_lo
	global_load_b32 v2, v[8:9], off
	global_load_b32 v8, v[6:7], off offset:1024
	s_waitcnt vmcnt(1)
	v_subrev_nc_u32_e32 v2, s20, v2
	s_waitcnt vmcnt(0)
	v_subrev_nc_u32_e32 v8, s20, v8
	s_delay_alu instid0(VALU_DEP_2) | instskip(SKIP_1) | instid1(VALU_DEP_1)
	v_cmp_gt_i32_e32 vcc_lo, v2, v3
	v_cndmask_b32_e32 v1, v1, v4, vcc_lo
	v_cmpx_ne_u32_e64 v8, v1
	s_xor_b32 s10, exec_lo, s0
	s_cbranch_execz .LBB13_110
; %bb.99:
	s_load_b32 s0, s[6:7], 0x0
	ds_load_b64 v[10:11], v16 offset:2048
	s_mov_b32 s11, exec_lo
	s_waitcnt lgkmcnt(0)
	s_sub_i32 s0, s0, s20
	s_delay_alu instid0(SALU_CYCLE_1)
	v_cmpx_gt_i32_e64 s0, v3
	s_cbranch_execz .LBB13_109
; %bb.100:
	v_ashrrev_i32_e32 v2, 31, v1
	v_cmp_le_i32_e64 s0, s19, v8
	s_delay_alu instid0(VALU_DEP_2) | instskip(NEXT) | instid1(VALU_DEP_1)
	v_lshlrev_b64 v[1:2], 3, v[1:2]
	v_add_co_u32 v1, vcc_lo, s14, v1
	s_delay_alu instid0(VALU_DEP_2)
	v_add_co_ci_u32_e32 v2, vcc_lo, s15, v2, vcc_lo
	v_cmp_gt_i32_e32 vcc_lo, s12, v8
	global_load_b64 v[1:2], v[1:2], off
	s_or_b32 s0, vcc_lo, s0
	s_waitcnt vmcnt(0)
	v_mul_f64 v[12:13], v[10:11], v[1:2]
	s_and_saveexec_b32 s24, s0
	s_delay_alu instid0(SALU_CYCLE_1)
	s_xor_b32 s0, exec_lo, s24
	s_cbranch_execz .LBB13_104
; %bb.101:
	v_ashrrev_i32_e32 v9, 31, v8
	s_mov_b32 s24, 0
	s_delay_alu instid0(VALU_DEP_1) | instskip(NEXT) | instid1(VALU_DEP_1)
	v_lshlrev_b64 v[1:2], 3, v[8:9]
	v_add_co_u32 v14, vcc_lo, s16, v1
	s_delay_alu instid0(VALU_DEP_2)
	v_add_co_ci_u32_e32 v15, vcc_lo, s17, v2, vcc_lo
	global_load_b64 v[3:4], v[14:15], off
.LBB13_102:                             ; =>This Inner Loop Header: Depth=1
	s_waitcnt vmcnt(0)
	v_add_f64 v[1:2], v[3:4], v[12:13]
	global_atomic_cmpswap_b64 v[1:2], v[14:15], v[1:4], off glc
	s_waitcnt vmcnt(0)
	v_cmp_eq_u64_e32 vcc_lo, v[1:2], v[3:4]
	v_dual_mov_b32 v4, v2 :: v_dual_mov_b32 v3, v1
	s_or_b32 s24, vcc_lo, s24
	s_delay_alu instid0(SALU_CYCLE_1)
	s_and_not1_b32 exec_lo, exec_lo, s24
	s_cbranch_execnz .LBB13_102
; %bb.103:
	s_or_b32 exec_lo, exec_lo, s24
                                        ; implicit-def: $vgpr12_vgpr13
.LBB13_104:
	s_and_not1_saveexec_b32 s0, s0
	s_cbranch_execz .LBB13_108
; %bb.105:
	v_subrev_nc_u32_e32 v1, s12, v8
	s_mov_b32 s24, 0
	s_delay_alu instid0(VALU_DEP_1)
	v_lshl_add_u32 v3, v1, 3, 0x2000
	ds_load_b64 v[1:2], v3
.LBB13_106:                             ; =>This Inner Loop Header: Depth=1
	s_waitcnt lgkmcnt(0)
	v_add_f64 v[14:15], v[1:2], v[12:13]
	ds_cmpstore_rtn_b64 v[14:15], v3, v[14:15], v[1:2]
	s_waitcnt lgkmcnt(0)
	v_cmp_eq_u64_e32 vcc_lo, v[14:15], v[1:2]
	v_dual_mov_b32 v1, v14 :: v_dual_mov_b32 v2, v15
	s_or_b32 s24, vcc_lo, s24
	s_delay_alu instid0(SALU_CYCLE_1)
	s_and_not1_b32 exec_lo, exec_lo, s24
	s_cbranch_execnz .LBB13_106
; %bb.107:
	s_or_b32 exec_lo, exec_lo, s24
.LBB13_108:
	s_delay_alu instid0(SALU_CYCLE_1)
	s_or_b32 exec_lo, exec_lo, s0
.LBB13_109:
	s_delay_alu instid0(SALU_CYCLE_1)
	s_or_b32 exec_lo, exec_lo, s11
.LBB13_110:
	s_and_not1_saveexec_b32 s0, s10
	s_cbranch_execz .LBB13_112
; %bb.111:
	ds_load_b64 v[10:11], v16 offset:2048
.LBB13_112:
	s_or_b32 exec_lo, exec_lo, s0
	v_ashrrev_i32_e32 v9, 31, v8
	v_dual_mov_b32 v4, s18 :: v_dual_add_nc_u32 v3, 0x200, v5
	s_delay_alu instid0(VALU_DEP_2) | instskip(NEXT) | instid1(VALU_DEP_1)
	v_lshlrev_b64 v[1:2], 3, v[8:9]
	v_add_co_u32 v1, vcc_lo, s14, v1
	s_delay_alu instid0(VALU_DEP_2)
	v_add_co_ci_u32_e32 v2, vcc_lo, s15, v2, vcc_lo
	v_cmp_ne_u32_e32 vcc_lo, 1, v18
	global_load_b64 v[1:2], v[1:2], off
	s_and_b32 vcc_lo, exec_lo, vcc_lo
	s_waitcnt vmcnt(0) lgkmcnt(0)
	v_mul_f64 v[8:9], v[1:2], v[10:11]
	v_mov_b32_e32 v1, s23
	ds_store_b64 v16, v[8:9] offset:2048
	s_cbranch_vccnz .LBB13_116
; %bb.113:
	v_dual_mov_b32 v4, s18 :: v_dual_mov_b32 v1, s23
	s_mov_b32 s10, 0
	.p2align	6
.LBB13_114:                             ; =>This Inner Loop Header: Depth=1
	s_delay_alu instid0(VALU_DEP_1) | instskip(NEXT) | instid1(VALU_DEP_1)
	v_add_nc_u32_e32 v2, v1, v4
	v_lshrrev_b32_e32 v5, 31, v2
	s_delay_alu instid0(VALU_DEP_1) | instskip(NEXT) | instid1(VALU_DEP_1)
	v_add_nc_u32_e32 v2, v2, v5
	v_ashrrev_i32_e32 v8, 1, v2
	s_delay_alu instid0(VALU_DEP_1) | instskip(NEXT) | instid1(VALU_DEP_1)
	v_ashrrev_i32_e32 v9, 31, v8
	v_lshlrev_b64 v[9:10], 2, v[8:9]
	s_delay_alu instid0(VALU_DEP_1) | instskip(NEXT) | instid1(VALU_DEP_2)
	v_add_co_u32 v9, vcc_lo, s8, v9
	v_add_co_ci_u32_e32 v10, vcc_lo, s9, v10, vcc_lo
	global_load_b32 v2, v[9:10], off
	s_waitcnt vmcnt(0)
	v_subrev_nc_u32_e32 v2, s20, v2
	s_delay_alu instid0(VALU_DEP_1) | instskip(SKIP_2) | instid1(VALU_DEP_2)
	v_cmp_gt_i32_e32 vcc_lo, v2, v3
	v_cndmask_b32_e32 v1, v1, v8, vcc_lo
	v_cndmask_b32_e32 v4, v8, v4, vcc_lo
	v_add_nc_u32_e32 v2, -1, v1
	s_delay_alu instid0(VALU_DEP_2) | instskip(NEXT) | instid1(VALU_DEP_2)
	v_cmp_ge_i32_e32 vcc_lo, v4, v1
	v_cmp_eq_u32_e64 s0, v4, v2
	s_delay_alu instid0(VALU_DEP_1) | instskip(NEXT) | instid1(SALU_CYCLE_1)
	s_or_b32 s0, vcc_lo, s0
	s_and_b32 s0, exec_lo, s0
	s_delay_alu instid0(SALU_CYCLE_1) | instskip(NEXT) | instid1(SALU_CYCLE_1)
	s_or_b32 s10, s0, s10
	s_and_not1_b32 exec_lo, exec_lo, s10
	s_cbranch_execnz .LBB13_114
; %bb.115:
	s_or_b32 exec_lo, exec_lo, s10
.LBB13_116:
	v_ashrrev_i32_e32 v2, 31, v1
                                        ; implicit-def: $vgpr10_vgpr11
	s_mov_b32 s0, exec_lo
	s_delay_alu instid0(VALU_DEP_1) | instskip(NEXT) | instid1(VALU_DEP_1)
	v_lshlrev_b64 v[8:9], 2, v[1:2]
	v_add_co_u32 v8, vcc_lo, s8, v8
	s_delay_alu instid0(VALU_DEP_2)
	v_add_co_ci_u32_e32 v9, vcc_lo, s9, v9, vcc_lo
	global_load_b32 v2, v[8:9], off
	global_load_b32 v5, v[6:7], off offset:2048
	s_waitcnt vmcnt(1)
	v_subrev_nc_u32_e32 v2, s20, v2
	s_waitcnt vmcnt(0)
	v_subrev_nc_u32_e32 v8, s20, v5
	s_delay_alu instid0(VALU_DEP_2) | instskip(SKIP_1) | instid1(VALU_DEP_1)
	v_cmp_gt_i32_e32 vcc_lo, v2, v3
	v_cndmask_b32_e32 v1, v1, v4, vcc_lo
	v_cmpx_ne_u32_e64 v8, v1
	s_xor_b32 s10, exec_lo, s0
	s_cbranch_execz .LBB13_128
; %bb.117:
	s_load_b32 s0, s[6:7], 0x0
	ds_load_b64 v[10:11], v16 offset:4096
	s_mov_b32 s11, exec_lo
	s_waitcnt lgkmcnt(0)
	s_sub_i32 s0, s0, s20
	s_delay_alu instid0(SALU_CYCLE_1)
	v_cmpx_gt_i32_e64 s0, v3
	s_cbranch_execz .LBB13_127
; %bb.118:
	v_ashrrev_i32_e32 v2, 31, v1
	v_cmp_le_i32_e64 s0, s19, v8
	s_delay_alu instid0(VALU_DEP_2) | instskip(NEXT) | instid1(VALU_DEP_1)
	v_lshlrev_b64 v[1:2], 3, v[1:2]
	v_add_co_u32 v1, vcc_lo, s14, v1
	s_delay_alu instid0(VALU_DEP_2)
	v_add_co_ci_u32_e32 v2, vcc_lo, s15, v2, vcc_lo
	v_cmp_gt_i32_e32 vcc_lo, s12, v8
	global_load_b64 v[1:2], v[1:2], off
	s_or_b32 s0, vcc_lo, s0
	s_waitcnt vmcnt(0)
	v_mul_f64 v[12:13], v[10:11], v[1:2]
	s_and_saveexec_b32 s24, s0
	s_delay_alu instid0(SALU_CYCLE_1)
	s_xor_b32 s0, exec_lo, s24
	s_cbranch_execz .LBB13_122
; %bb.119:
	v_ashrrev_i32_e32 v9, 31, v8
	s_mov_b32 s24, 0
	s_delay_alu instid0(VALU_DEP_1) | instskip(NEXT) | instid1(VALU_DEP_1)
	v_lshlrev_b64 v[1:2], 3, v[8:9]
	v_add_co_u32 v14, vcc_lo, s16, v1
	s_delay_alu instid0(VALU_DEP_2)
	v_add_co_ci_u32_e32 v15, vcc_lo, s17, v2, vcc_lo
	global_load_b64 v[3:4], v[14:15], off
.LBB13_120:                             ; =>This Inner Loop Header: Depth=1
	s_waitcnt vmcnt(0)
	v_add_f64 v[1:2], v[3:4], v[12:13]
	global_atomic_cmpswap_b64 v[1:2], v[14:15], v[1:4], off glc
	s_waitcnt vmcnt(0)
	v_cmp_eq_u64_e32 vcc_lo, v[1:2], v[3:4]
	v_dual_mov_b32 v4, v2 :: v_dual_mov_b32 v3, v1
	s_or_b32 s24, vcc_lo, s24
	s_delay_alu instid0(SALU_CYCLE_1)
	s_and_not1_b32 exec_lo, exec_lo, s24
	s_cbranch_execnz .LBB13_120
; %bb.121:
	s_or_b32 exec_lo, exec_lo, s24
                                        ; implicit-def: $vgpr12_vgpr13
.LBB13_122:
	s_and_not1_saveexec_b32 s0, s0
	s_cbranch_execz .LBB13_126
; %bb.123:
	v_subrev_nc_u32_e32 v1, s12, v8
	s_mov_b32 s24, 0
	s_delay_alu instid0(VALU_DEP_1)
	v_lshl_add_u32 v3, v1, 3, 0x2000
	ds_load_b64 v[1:2], v3
.LBB13_124:                             ; =>This Inner Loop Header: Depth=1
	s_waitcnt lgkmcnt(0)
	v_add_f64 v[4:5], v[1:2], v[12:13]
	ds_cmpstore_rtn_b64 v[4:5], v3, v[4:5], v[1:2]
	s_waitcnt lgkmcnt(0)
	v_cmp_eq_u64_e32 vcc_lo, v[4:5], v[1:2]
	v_dual_mov_b32 v1, v4 :: v_dual_mov_b32 v2, v5
	s_or_b32 s24, vcc_lo, s24
	s_delay_alu instid0(SALU_CYCLE_1)
	s_and_not1_b32 exec_lo, exec_lo, s24
	s_cbranch_execnz .LBB13_124
; %bb.125:
	s_or_b32 exec_lo, exec_lo, s24
.LBB13_126:
	s_delay_alu instid0(SALU_CYCLE_1)
	s_or_b32 exec_lo, exec_lo, s0
.LBB13_127:
	s_delay_alu instid0(SALU_CYCLE_1)
	s_or_b32 exec_lo, exec_lo, s11
.LBB13_128:
	s_and_not1_saveexec_b32 s0, s10
	s_cbranch_execz .LBB13_130
; %bb.129:
	ds_load_b64 v[10:11], v16 offset:4096
.LBB13_130:
	s_or_b32 exec_lo, exec_lo, s0
	v_ashrrev_i32_e32 v9, 31, v8
	v_mov_b32_e32 v3, s18
	s_delay_alu instid0(VALU_DEP_2) | instskip(NEXT) | instid1(VALU_DEP_1)
	v_lshlrev_b64 v[1:2], 3, v[8:9]
	v_add_co_u32 v1, vcc_lo, s14, v1
	s_delay_alu instid0(VALU_DEP_2)
	v_add_co_ci_u32_e32 v2, vcc_lo, s15, v2, vcc_lo
	v_cmp_ne_u32_e32 vcc_lo, 1, v18
	global_load_b64 v[1:2], v[1:2], off
	s_and_b32 vcc_lo, exec_lo, vcc_lo
	s_waitcnt vmcnt(0) lgkmcnt(0)
	v_mul_f64 v[4:5], v[1:2], v[10:11]
	v_mov_b32_e32 v1, s23
	ds_store_b64 v16, v[4:5] offset:4096
	s_cbranch_vccnz .LBB13_134
; %bb.131:
	v_mov_b32_e32 v3, s18
	v_mov_b32_e32 v1, s23
	s_mov_b32 s10, 0
	.p2align	6
.LBB13_132:                             ; =>This Inner Loop Header: Depth=1
	s_delay_alu instid0(VALU_DEP_1) | instskip(NEXT) | instid1(VALU_DEP_1)
	v_add_nc_u32_e32 v2, v1, v3
	v_lshrrev_b32_e32 v4, 31, v2
	s_delay_alu instid0(VALU_DEP_1) | instskip(NEXT) | instid1(VALU_DEP_1)
	v_add_nc_u32_e32 v2, v2, v4
	v_ashrrev_i32_e32 v4, 1, v2
	s_delay_alu instid0(VALU_DEP_1) | instskip(NEXT) | instid1(VALU_DEP_1)
	v_ashrrev_i32_e32 v5, 31, v4
	v_lshlrev_b64 v[8:9], 2, v[4:5]
	s_delay_alu instid0(VALU_DEP_1) | instskip(NEXT) | instid1(VALU_DEP_2)
	v_add_co_u32 v8, vcc_lo, s8, v8
	v_add_co_ci_u32_e32 v9, vcc_lo, s9, v9, vcc_lo
	global_load_b32 v2, v[8:9], off
	s_waitcnt vmcnt(0)
	v_subrev_nc_u32_e32 v2, s20, v2
	s_delay_alu instid0(VALU_DEP_1) | instskip(SKIP_2) | instid1(VALU_DEP_1)
	v_cmp_gt_i32_e32 vcc_lo, v2, v17
	v_cndmask_b32_e32 v3, v4, v3, vcc_lo
	v_cndmask_b32_e32 v1, v1, v4, vcc_lo
	v_add_nc_u32_e32 v2, -1, v1
	s_delay_alu instid0(VALU_DEP_3) | instskip(NEXT) | instid1(VALU_DEP_2)
	v_cmp_ge_i32_e32 vcc_lo, v3, v1
	v_cmp_eq_u32_e64 s0, v3, v2
	s_delay_alu instid0(VALU_DEP_1) | instskip(NEXT) | instid1(SALU_CYCLE_1)
	s_or_b32 s0, vcc_lo, s0
	s_and_b32 s0, exec_lo, s0
	s_delay_alu instid0(SALU_CYCLE_1) | instskip(NEXT) | instid1(SALU_CYCLE_1)
	s_or_b32 s10, s0, s10
	s_and_not1_b32 exec_lo, exec_lo, s10
	s_cbranch_execnz .LBB13_132
; %bb.133:
	s_or_b32 exec_lo, exec_lo, s10
.LBB13_134:
	v_ashrrev_i32_e32 v2, 31, v1
	s_mov_b32 s0, exec_lo
	s_delay_alu instid0(VALU_DEP_1) | instskip(NEXT) | instid1(VALU_DEP_1)
	v_lshlrev_b64 v[4:5], 2, v[1:2]
	v_add_co_u32 v4, vcc_lo, s8, v4
	s_delay_alu instid0(VALU_DEP_2)
	v_add_co_ci_u32_e32 v5, vcc_lo, s9, v5, vcc_lo
	global_load_b32 v2, v[4:5], off
	global_load_b32 v4, v[6:7], off offset:3072
                                        ; implicit-def: $vgpr7_vgpr8
	s_waitcnt vmcnt(1)
	v_subrev_nc_u32_e32 v2, s20, v2
	s_waitcnt vmcnt(0)
	v_subrev_nc_u32_e32 v5, s20, v4
	s_delay_alu instid0(VALU_DEP_2) | instskip(SKIP_1) | instid1(VALU_DEP_1)
	v_cmp_gt_i32_e32 vcc_lo, v2, v17
	v_cndmask_b32_e32 v1, v1, v3, vcc_lo
	v_cmpx_ne_u32_e64 v5, v1
	s_xor_b32 s10, exec_lo, s0
	s_cbranch_execz .LBB13_146
; %bb.135:
	s_load_b32 s0, s[6:7], 0x0
	ds_load_b64 v[7:8], v16 offset:6144
	s_mov_b32 s6, exec_lo
	s_waitcnt lgkmcnt(0)
	s_sub_i32 s0, s0, s20
	s_delay_alu instid0(SALU_CYCLE_1)
	v_cmpx_gt_i32_e64 s0, v17
	s_cbranch_execz .LBB13_145
; %bb.136:
	v_ashrrev_i32_e32 v2, 31, v1
	v_cmp_le_i32_e64 s0, s19, v5
	s_delay_alu instid0(VALU_DEP_2) | instskip(NEXT) | instid1(VALU_DEP_1)
	v_lshlrev_b64 v[1:2], 3, v[1:2]
	v_add_co_u32 v1, vcc_lo, s14, v1
	s_delay_alu instid0(VALU_DEP_2)
	v_add_co_ci_u32_e32 v2, vcc_lo, s15, v2, vcc_lo
	v_cmp_gt_i32_e32 vcc_lo, s12, v5
	global_load_b64 v[1:2], v[1:2], off
	s_or_b32 s0, vcc_lo, s0
	s_waitcnt vmcnt(0)
	v_mul_f64 v[9:10], v[7:8], v[1:2]
	s_and_saveexec_b32 s7, s0
	s_delay_alu instid0(SALU_CYCLE_1)
	s_xor_b32 s0, exec_lo, s7
	s_cbranch_execz .LBB13_140
; %bb.137:
	v_ashrrev_i32_e32 v6, 31, v5
	s_mov_b32 s7, 0
	s_delay_alu instid0(VALU_DEP_1) | instskip(NEXT) | instid1(VALU_DEP_1)
	v_lshlrev_b64 v[1:2], 3, v[5:6]
	v_add_co_u32 v11, vcc_lo, s16, v1
	s_delay_alu instid0(VALU_DEP_2)
	v_add_co_ci_u32_e32 v12, vcc_lo, s17, v2, vcc_lo
	global_load_b64 v[3:4], v[11:12], off
.LBB13_138:                             ; =>This Inner Loop Header: Depth=1
	s_waitcnt vmcnt(0)
	v_add_f64 v[1:2], v[3:4], v[9:10]
	global_atomic_cmpswap_b64 v[1:2], v[11:12], v[1:4], off glc
	s_waitcnt vmcnt(0)
	v_cmp_eq_u64_e32 vcc_lo, v[1:2], v[3:4]
	v_dual_mov_b32 v4, v2 :: v_dual_mov_b32 v3, v1
	s_or_b32 s7, vcc_lo, s7
	s_delay_alu instid0(SALU_CYCLE_1)
	s_and_not1_b32 exec_lo, exec_lo, s7
	s_cbranch_execnz .LBB13_138
; %bb.139:
	s_or_b32 exec_lo, exec_lo, s7
                                        ; implicit-def: $vgpr9_vgpr10
.LBB13_140:
	s_and_not1_saveexec_b32 s0, s0
	s_cbranch_execz .LBB13_144
; %bb.141:
	v_subrev_nc_u32_e32 v1, s12, v5
	s_mov_b32 s7, 0
	s_delay_alu instid0(VALU_DEP_1)
	v_lshl_add_u32 v3, v1, 3, 0x2000
	ds_load_b64 v[1:2], v3
.LBB13_142:                             ; =>This Inner Loop Header: Depth=1
	s_waitcnt lgkmcnt(0)
	v_add_f64 v[11:12], v[1:2], v[9:10]
	ds_cmpstore_rtn_b64 v[11:12], v3, v[11:12], v[1:2]
	s_waitcnt lgkmcnt(0)
	v_cmp_eq_u64_e32 vcc_lo, v[11:12], v[1:2]
	v_dual_mov_b32 v1, v11 :: v_dual_mov_b32 v2, v12
	s_or_b32 s7, vcc_lo, s7
	s_delay_alu instid0(SALU_CYCLE_1)
	s_and_not1_b32 exec_lo, exec_lo, s7
	s_cbranch_execnz .LBB13_142
; %bb.143:
	s_or_b32 exec_lo, exec_lo, s7
.LBB13_144:
	s_delay_alu instid0(SALU_CYCLE_1)
	s_or_b32 exec_lo, exec_lo, s0
.LBB13_145:
	s_delay_alu instid0(SALU_CYCLE_1)
	s_or_b32 exec_lo, exec_lo, s6
.LBB13_146:
	s_and_not1_saveexec_b32 s0, s10
	s_cbranch_execz .LBB13_148
; %bb.147:
	ds_load_b64 v[7:8], v16 offset:6144
.LBB13_148:
	s_or_b32 exec_lo, exec_lo, s0
	v_ashrrev_i32_e32 v6, 31, v5
	s_delay_alu instid0(VALU_DEP_1) | instskip(NEXT) | instid1(VALU_DEP_1)
	v_lshlrev_b64 v[1:2], 3, v[5:6]
	v_add_co_u32 v1, vcc_lo, s14, v1
	s_delay_alu instid0(VALU_DEP_2)
	v_add_co_ci_u32_e32 v2, vcc_lo, s15, v2, vcc_lo
	global_load_b64 v[1:2], v[1:2], off
	s_waitcnt vmcnt(0) lgkmcnt(0)
	v_mul_f64 v[1:2], v[1:2], v[7:8]
	ds_store_b64 v16, v[1:2] offset:6144
.LBB13_149:
	s_or_b32 exec_lo, exec_lo, s13
	s_min_i32 s7, s19, s5
	s_mov_b32 s5, exec_lo
	s_sub_i32 s0, s7, s21
	s_waitcnt lgkmcnt(0)
	s_barrier
	buffer_gl0_inv
	v_cmpx_gt_i32_e64 s0, v0
	s_cbranch_execz .LBB13_154
; %bb.150:
	v_mov_b32_e32 v9, v0
	s_mov_b32 s6, 0
	.p2align	6
.LBB13_151:                             ; =>This Loop Header: Depth=1
                                        ;     Child Loop BB13_152 Depth 2
	s_delay_alu instid0(VALU_DEP_1) | instskip(SKIP_1) | instid1(VALU_DEP_1)
	v_add_nc_u32_e32 v1, s12, v9
	s_mov_b32 s10, 0
	v_ashrrev_i32_e32 v2, 31, v1
	s_delay_alu instid0(VALU_DEP_1) | instskip(NEXT) | instid1(VALU_DEP_1)
	v_lshlrev_b64 v[1:2], 3, v[1:2]
	v_add_co_u32 v5, vcc_lo, s16, v1
	s_delay_alu instid0(VALU_DEP_2)
	v_add_co_ci_u32_e32 v6, vcc_lo, s17, v2, vcc_lo
	v_lshl_add_u32 v1, v9, 3, 0x2000
	global_load_b64 v[3:4], v[5:6], off
	ds_load_b64 v[7:8], v1
.LBB13_152:                             ;   Parent Loop BB13_151 Depth=1
                                        ; =>  This Inner Loop Header: Depth=2
	s_waitcnt vmcnt(0) lgkmcnt(0)
	v_add_f64 v[1:2], v[3:4], v[7:8]
	global_atomic_cmpswap_b64 v[1:2], v[5:6], v[1:4], off glc
	s_waitcnt vmcnt(0)
	v_cmp_eq_u64_e32 vcc_lo, v[1:2], v[3:4]
	v_dual_mov_b32 v4, v2 :: v_dual_mov_b32 v3, v1
	s_or_b32 s10, vcc_lo, s10
	s_delay_alu instid0(SALU_CYCLE_1)
	s_and_not1_b32 exec_lo, exec_lo, s10
	s_cbranch_execnz .LBB13_152
; %bb.153:                              ;   in Loop: Header=BB13_151 Depth=1
	s_or_b32 exec_lo, exec_lo, s10
	v_add_nc_u32_e32 v9, 0x100, v9
	s_delay_alu instid0(VALU_DEP_1) | instskip(SKIP_1) | instid1(SALU_CYCLE_1)
	v_cmp_le_i32_e32 vcc_lo, s0, v9
	s_or_b32 s6, vcc_lo, s6
	s_and_not1_b32 exec_lo, exec_lo, s6
	s_cbranch_execnz .LBB13_151
.LBB13_154:
	s_or_b32 exec_lo, exec_lo, s5
	s_mul_i32 s5, s4, s21
	s_add_i32 s6, s4, 1
	s_sub_i32 s5, s1, s5
	v_add_nc_u32_e32 v5, s18, v0
	s_sub_i32 s10, s5, s21
	s_cmp_ge_u32 s5, s21
	s_cselect_b32 s4, s6, s4
	s_cselect_b32 s5, s10, s5
	s_add_i32 s6, s4, 1
	s_cmp_ge_u32 s5, s21
	s_barrier
	s_cselect_b32 s4, s6, s4
	s_mov_b32 s6, -1
	s_add_i32 s4, s4, -1
	buffer_gl0_inv
	s_ashr_i32 s5, s4, 1
	s_delay_alu instid0(SALU_CYCLE_1) | instskip(NEXT) | instid1(SALU_CYCLE_1)
	s_or_b32 s4, s5, s4
	s_ashr_i32 s5, s4, 2
	s_delay_alu instid0(SALU_CYCLE_1) | instskip(NEXT) | instid1(SALU_CYCLE_1)
	s_or_b32 s4, s5, s4
	;; [unrolled: 3-line block ×5, first 2 shown]
	s_add_i32 s4, s4, 1
	s_delay_alu instid0(SALU_CYCLE_1) | instskip(NEXT) | instid1(SALU_CYCLE_1)
	s_ashr_i32 s5, s4, 1
	s_cmp_gt_i32 s5, 1
	s_cbranch_scc1 .LBB13_165
; %bb.155:
	s_mov_b32 s6, exec_lo
	v_cmpx_gt_i32_e64 s19, v5
	s_cbranch_execz .LBB13_164
; %bb.156:
	s_sub_i32 s7, s7, s19
	v_mov_b32_e32 v6, v5
	s_lshl_b32 s11, s22, 3
	s_lshl_b32 s7, s7, 3
	s_mov_b32 s10, 0
	s_addk_i32 s7, 0x2000
	s_sub_i32 s11, 0, s11
.LBB13_157:                             ; =>This Loop Header: Depth=1
                                        ;     Child Loop BB13_159 Depth 2
                                        ;     Child Loop BB13_162 Depth 2
	v_ashrrev_i32_e32 v7, 31, v6
	s_mov_b32 s12, exec_lo
	s_delay_alu instid0(VALU_DEP_1) | instskip(NEXT) | instid1(VALU_DEP_1)
	v_lshlrev_b64 v[1:2], 2, v[6:7]
	v_add_co_u32 v1, vcc_lo, s8, v1
	s_delay_alu instid0(VALU_DEP_2)
	v_add_co_ci_u32_e32 v2, vcc_lo, s9, v2, vcc_lo
	global_load_b64 v[3:4], v[1:2], off
	v_mov_b32_e32 v1, 0
	v_mov_b32_e32 v2, 0
	s_waitcnt vmcnt(0)
	v_cmpx_lt_i32_e64 v3, v4
	s_cbranch_execz .LBB13_161
; %bb.158:                              ;   in Loop: Header=BB13_157 Depth=1
	v_mov_b32_e32 v1, 0
	v_subrev_nc_u32_e32 v4, s22, v4
	v_subrev_nc_u32_e32 v8, s22, v3
	v_mov_b32_e32 v2, 0
	v_lshl_add_u32 v3, v3, 3, s11
	s_mov_b32 s13, 0
.LBB13_159:                             ;   Parent Loop BB13_157 Depth=1
                                        ; =>  This Inner Loop Header: Depth=2
	ds_load_b64 v[9:10], v3
	v_add_nc_u32_e32 v8, 1, v8
	v_add_nc_u32_e32 v3, 8, v3
	s_delay_alu instid0(VALU_DEP_2)
	v_cmp_ge_i32_e32 vcc_lo, v8, v4
	s_or_b32 s13, vcc_lo, s13
	s_waitcnt lgkmcnt(0)
	v_add_f64 v[1:2], v[1:2], v[9:10]
	s_and_not1_b32 exec_lo, exec_lo, s13
	s_cbranch_execnz .LBB13_159
; %bb.160:                              ;   in Loop: Header=BB13_157 Depth=1
	s_or_b32 exec_lo, exec_lo, s13
.LBB13_161:                             ;   in Loop: Header=BB13_157 Depth=1
	s_delay_alu instid0(SALU_CYCLE_1)
	s_or_b32 exec_lo, exec_lo, s12
	v_lshlrev_b64 v[3:4], 3, v[6:7]
	v_lshl_add_u32 v9, v6, 3, s7
	s_mov_b32 s12, 0
	ds_load_b64 v[9:10], v9
	v_add_co_u32 v7, vcc_lo, s16, v3
	v_add_co_ci_u32_e32 v8, vcc_lo, s17, v4, vcc_lo
	global_load_b64 v[3:4], v[7:8], off
	s_waitcnt lgkmcnt(0)
	v_add_f64 v[9:10], v[1:2], v[9:10]
.LBB13_162:                             ;   Parent Loop BB13_157 Depth=1
                                        ; =>  This Inner Loop Header: Depth=2
	s_waitcnt vmcnt(0)
	s_delay_alu instid0(VALU_DEP_1)
	v_add_f64 v[1:2], v[3:4], v[9:10]
	global_atomic_cmpswap_b64 v[1:2], v[7:8], v[1:4], off glc
	s_waitcnt vmcnt(0)
	v_cmp_eq_u64_e32 vcc_lo, v[1:2], v[3:4]
	v_dual_mov_b32 v4, v2 :: v_dual_mov_b32 v3, v1
	s_or_b32 s12, vcc_lo, s12
	s_delay_alu instid0(SALU_CYCLE_1)
	s_and_not1_b32 exec_lo, exec_lo, s12
	s_cbranch_execnz .LBB13_162
; %bb.163:                              ;   in Loop: Header=BB13_157 Depth=1
	s_or_b32 exec_lo, exec_lo, s12
	v_add_nc_u32_e32 v6, s1, v6
	s_delay_alu instid0(VALU_DEP_1) | instskip(SKIP_1) | instid1(SALU_CYCLE_1)
	v_cmp_le_i32_e32 vcc_lo, s19, v6
	s_or_b32 s10, vcc_lo, s10
	s_and_not1_b32 exec_lo, exec_lo, s10
	s_cbranch_execnz .LBB13_157
.LBB13_164:
	s_or_b32 exec_lo, exec_lo, s6
	s_mov_b32 s6, 0
.LBB13_165:
	s_delay_alu instid0(SALU_CYCLE_1)
	s_and_not1_b32 vcc_lo, exec_lo, s6
	s_cbranch_vccnz .LBB13_190
; %bb.166:
	v_cvt_f32_u32_e32 v1, s5
	s_sub_i32 s1, 0, s5
	v_mov_b32_e32 v6, 0
	v_mov_b32_e32 v7, 0
	s_delay_alu instid0(VALU_DEP_3) | instskip(SKIP_2) | instid1(VALU_DEP_1)
	v_rcp_iflag_f32_e32 v1, v1
	s_waitcnt_depctr 0xfff
	v_mul_f32_e32 v1, 0x4f7ffffe, v1
	v_cvt_u32_f32_e32 v1, v1
	s_delay_alu instid0(VALU_DEP_1) | instskip(SKIP_1) | instid1(VALU_DEP_1)
	v_mul_lo_u32 v2, s1, v1
	s_mov_b32 s1, exec_lo
	v_mul_hi_u32 v2, v1, v2
	s_delay_alu instid0(VALU_DEP_1) | instskip(NEXT) | instid1(VALU_DEP_1)
	v_add_nc_u32_e32 v1, v1, v2
	v_mul_hi_u32 v1, v0, v1
	s_delay_alu instid0(VALU_DEP_1) | instskip(SKIP_1) | instid1(VALU_DEP_2)
	v_mul_lo_u32 v2, v1, s5
	v_add_nc_u32_e32 v3, 1, v1
	v_sub_nc_u32_e32 v2, v0, v2
	s_delay_alu instid0(VALU_DEP_1) | instskip(SKIP_1) | instid1(VALU_DEP_2)
	v_subrev_nc_u32_e32 v4, s5, v2
	v_cmp_le_u32_e32 vcc_lo, s5, v2
	v_dual_cndmask_b32 v1, v1, v3 :: v_dual_cndmask_b32 v2, v2, v4
	s_delay_alu instid0(VALU_DEP_1) | instskip(NEXT) | instid1(VALU_DEP_2)
	v_add_nc_u32_e32 v3, 1, v1
	v_cmp_le_u32_e32 vcc_lo, s5, v2
	s_delay_alu instid0(VALU_DEP_2) | instskip(NEXT) | instid1(VALU_DEP_1)
	v_cndmask_b32_e32 v1, v1, v3, vcc_lo
	v_lshlrev_b32_e32 v2, 2, v1
	global_load_b64 v[2:3], v2, s[2:3]
	v_cmpx_gt_i32_e64 s21, v1
	s_cbranch_execz .LBB13_180
; %bb.167:
	s_abs_i32 s2, s5
	s_waitcnt vmcnt(0)
	v_subrev_nc_u32_e32 v4, s22, v3
	v_cvt_f32_u32_e32 v1, s2
	s_sub_i32 s3, 0, s2
	s_delay_alu instid0(VALU_DEP_1) | instskip(SKIP_2) | instid1(VALU_DEP_1)
	v_rcp_iflag_f32_e32 v1, v1
	s_waitcnt_depctr 0xfff
	v_mul_f32_e32 v1, 0x4f7ffffe, v1
	v_cvt_u32_f32_e32 v6, v1
	v_subrev_nc_u32_e32 v1, s22, v2
	s_delay_alu instid0(VALU_DEP_2) | instskip(NEXT) | instid1(VALU_DEP_2)
	v_mul_lo_u32 v7, s3, v6
	v_sub_nc_u32_e32 v3, v4, v1
	s_ashr_i32 s3, s5, 31
	s_delay_alu instid0(VALU_DEP_1) | instskip(NEXT) | instid1(VALU_DEP_3)
	v_sub_nc_u32_e32 v8, 0, v3
	v_mul_hi_u32 v7, v6, v7
	s_delay_alu instid0(VALU_DEP_2) | instskip(SKIP_1) | instid1(VALU_DEP_3)
	v_max_i32_e32 v8, v3, v8
	v_ashrrev_i32_e32 v3, 31, v3
	v_add_nc_u32_e32 v9, v6, v7
	s_delay_alu instid0(VALU_DEP_2) | instskip(NEXT) | instid1(VALU_DEP_2)
	v_xor_b32_e32 v3, s3, v3
	v_mad_u64_u32 v[6:7], null, v8, v9, 0
	s_delay_alu instid0(VALU_DEP_1) | instskip(NEXT) | instid1(VALU_DEP_1)
	v_mul_lo_u32 v6, v7, s2
	v_sub_nc_u32_e32 v6, v8, v6
	v_add_nc_u32_e32 v8, 1, v7
	s_delay_alu instid0(VALU_DEP_2) | instskip(SKIP_1) | instid1(VALU_DEP_2)
	v_subrev_nc_u32_e32 v9, s2, v6
	v_cmp_le_u32_e32 vcc_lo, s2, v6
	v_dual_cndmask_b32 v7, v7, v8 :: v_dual_cndmask_b32 v6, v6, v9
	s_delay_alu instid0(VALU_DEP_1) | instskip(NEXT) | instid1(VALU_DEP_2)
	v_add_nc_u32_e32 v8, 1, v7
	v_cmp_le_u32_e32 vcc_lo, s2, v6
	s_add_i32 s2, s5, -1
	s_delay_alu instid0(VALU_DEP_2) | instskip(SKIP_2) | instid1(VALU_DEP_2)
	v_cndmask_b32_e32 v6, v7, v8, vcc_lo
	v_and_b32_e32 v8, s2, v0
	s_mov_b32 s2, exec_lo
	v_xor_b32_e32 v6, v6, v3
	s_delay_alu instid0(VALU_DEP_1) | instskip(SKIP_2) | instid1(VALU_DEP_3)
	v_sub_nc_u32_e32 v9, v6, v3
	v_mov_b32_e32 v6, 0
	v_mov_b32_e32 v7, 0
	v_cmpx_lt_i32_e32 0, v9
	s_cbranch_execz .LBB13_177
; %bb.168:
	v_dual_mov_b32 v6, 0 :: v_dual_mov_b32 v3, 0
	v_mov_b32_e32 v7, 0
	s_mov_b32 s3, exec_lo
	v_cmpx_lt_u32_e32 7, v9
	s_cbranch_execz .LBB13_172
; %bb.169:
	v_dual_mov_b32 v6, 0 :: v_dual_add_nc_u32 v3, v2, v8
	s_lshl_b32 s6, s5, 6
	s_lshl_b32 s8, s5, 3
	s_mov_b32 s7, 0
	s_delay_alu instid0(VALU_DEP_1) | instskip(SKIP_3) | instid1(VALU_DEP_3)
	v_subrev_nc_u32_e32 v10, s22, v3
	v_and_b32_e32 v3, 0x7ffffff8, v9
	v_mov_b32_e32 v7, 0
	s_mov_b32 s9, 0
	v_lshlrev_b32_e32 v10, 3, v10
	s_set_inst_prefetch_distance 0x1
	.p2align	6
.LBB13_170:                             ; =>This Inner Loop Header: Depth=1
	ds_load_b64 v[11:12], v10
	v_add_nc_u32_e32 v13, s8, v10
	s_add_i32 s9, s9, 8
	v_add_nc_u32_e32 v10, s6, v10
	v_cmp_eq_u32_e32 vcc_lo, s9, v3
	s_or_b32 s7, vcc_lo, s7
	s_waitcnt lgkmcnt(0)
	v_add_f64 v[6:7], v[6:7], v[11:12]
	ds_load_b64 v[11:12], v13
	v_add_nc_u32_e32 v13, s8, v13
	s_delay_alu instid0(VALU_DEP_1) | instskip(NEXT) | instid1(VALU_DEP_1)
	v_add_nc_u32_e32 v15, s8, v13
	v_add_nc_u32_e32 v21, s8, v15
	ds_load_b64 v[13:14], v13
	ds_load_b64 v[17:18], v15
	;; [unrolled: 1-line block ×3, first 2 shown]
	s_waitcnt lgkmcnt(3)
	v_add_f64 v[6:7], v[6:7], v[11:12]
	s_waitcnt lgkmcnt(2)
	s_delay_alu instid0(VALU_DEP_1)
	v_add_f64 v[6:7], v[6:7], v[13:14]
	v_add_nc_u32_e32 v13, s8, v21
	ds_load_b64 v[11:12], v13
	v_add_nc_u32_e32 v15, s8, v13
	ds_load_b64 v[13:14], v15
	s_waitcnt lgkmcnt(3)
	v_add_f64 v[6:7], v[6:7], v[17:18]
	s_waitcnt lgkmcnt(2)
	s_delay_alu instid0(VALU_DEP_1) | instskip(SKIP_1) | instid1(VALU_DEP_1)
	v_add_f64 v[6:7], v[6:7], v[19:20]
	s_waitcnt lgkmcnt(1)
	v_add_f64 v[6:7], v[6:7], v[11:12]
	v_add_nc_u32_e32 v11, s8, v15
	ds_load_b64 v[11:12], v11
	s_waitcnt lgkmcnt(1)
	v_add_f64 v[6:7], v[6:7], v[13:14]
	s_waitcnt lgkmcnt(0)
	s_delay_alu instid0(VALU_DEP_1)
	v_add_f64 v[6:7], v[6:7], v[11:12]
	s_and_not1_b32 exec_lo, exec_lo, s7
	s_cbranch_execnz .LBB13_170
; %bb.171:
	s_set_inst_prefetch_distance 0x2
	s_or_b32 exec_lo, exec_lo, s7
.LBB13_172:
	s_delay_alu instid0(SALU_CYCLE_1) | instskip(SKIP_3) | instid1(VALU_DEP_1)
	s_or_b32 exec_lo, exec_lo, s3
	v_and_b32_e32 v10, 7, v9
	s_mov_b32 s6, 0
	s_mov_b32 s3, exec_lo
	v_cmpx_ne_u32_e32 0, v10
	s_cbranch_execz .LBB13_176
; %bb.173:
	v_mul_lo_u32 v3, v3, s5
	s_lshl_b32 s7, s5, 3
	s_delay_alu instid0(VALU_DEP_1) | instskip(NEXT) | instid1(VALU_DEP_1)
	v_add3_u32 v2, v2, v8, v3
	v_subrev_nc_u32_e32 v2, s22, v2
	s_delay_alu instid0(VALU_DEP_1)
	v_lshlrev_b32_e32 v2, 3, v2
.LBB13_174:                             ; =>This Inner Loop Header: Depth=1
	ds_load_b64 v[11:12], v2
	v_add_nc_u32_e32 v10, -1, v10
	v_add_nc_u32_e32 v2, s7, v2
	s_delay_alu instid0(VALU_DEP_2)
	v_cmp_eq_u32_e32 vcc_lo, 0, v10
	s_or_b32 s6, vcc_lo, s6
	s_waitcnt lgkmcnt(0)
	v_add_f64 v[6:7], v[6:7], v[11:12]
	s_and_not1_b32 exec_lo, exec_lo, s6
	s_cbranch_execnz .LBB13_174
; %bb.175:
	s_or_b32 exec_lo, exec_lo, s6
.LBB13_176:
	s_delay_alu instid0(SALU_CYCLE_1)
	s_or_b32 exec_lo, exec_lo, s3
.LBB13_177:
	s_delay_alu instid0(SALU_CYCLE_1) | instskip(SKIP_2) | instid1(VALU_DEP_1)
	s_or_b32 exec_lo, exec_lo, s2
	v_mad_u64_u32 v[2:3], null, v9, s5, v[1:2]
	s_mov_b32 s2, exec_lo
	v_sub_nc_u32_e32 v1, v4, v2
	s_delay_alu instid0(VALU_DEP_1)
	v_cmpx_lt_i32_e64 v8, v1
	s_cbranch_execz .LBB13_179
; %bb.178:
	v_add_lshl_u32 v1, v2, v8, 3
	ds_load_b64 v[1:2], v1
	s_waitcnt lgkmcnt(0)
	v_add_f64 v[6:7], v[6:7], v[1:2]
.LBB13_179:
	s_or_b32 exec_lo, exec_lo, s2
.LBB13_180:
	s_delay_alu instid0(SALU_CYCLE_1)
	s_or_b32 exec_lo, exec_lo, s1
	v_cmp_gt_i32_e32 vcc_lo, s21, v0
	s_waitcnt vmcnt(0)
	s_barrier
	buffer_gl0_inv
	ds_store_b64 v16, v[6:7]
	s_waitcnt lgkmcnt(0)
	s_barrier
	buffer_gl0_inv
	s_and_b32 exec_lo, exec_lo, vcc_lo
	s_cbranch_execz .LBB13_190
; %bb.181:
	v_mul_lo_u32 v1, s5, v0
	v_mov_b32_e32 v7, 0
	v_mov_b32_e32 v8, 0
	s_cmp_lt_u32 s5, 8
	s_cbranch_scc1 .LBB13_184
; %bb.182:
	s_delay_alu instid0(VALU_DEP_3)
	v_lshlrev_b32_e32 v2, 3, v1
	s_and_b32 s1, s5, 0x7ffffff8
	s_mov_b32 s2, 0
	.p2align	6
.LBB13_183:                             ; =>This Inner Loop Header: Depth=1
	ds_load_2addr_b64 v[9:12], v2 offset1:1
	ds_load_2addr_b64 v[13:16], v2 offset0:2 offset1:3
	s_add_i32 s2, s2, 8
	s_delay_alu instid0(SALU_CYCLE_1) | instskip(SKIP_2) | instid1(VALU_DEP_1)
	s_cmp_eq_u32 s1, s2
	s_waitcnt lgkmcnt(1)
	v_add_f64 v[3:4], v[7:8], v[9:10]
	v_add_f64 v[3:4], v[3:4], v[11:12]
	s_waitcnt lgkmcnt(0)
	s_delay_alu instid0(VALU_DEP_1)
	v_add_f64 v[3:4], v[3:4], v[13:14]
	ds_load_2addr_b64 v[6:9], v2 offset0:4 offset1:5
	ds_load_2addr_b64 v[10:13], v2 offset0:6 offset1:7
	v_add_nc_u32_e32 v2, 64, v2
	v_add_f64 v[3:4], v[3:4], v[15:16]
	s_waitcnt lgkmcnt(1)
	s_delay_alu instid0(VALU_DEP_1) | instskip(NEXT) | instid1(VALU_DEP_1)
	v_add_f64 v[3:4], v[3:4], v[6:7]
	v_add_f64 v[3:4], v[3:4], v[8:9]
	s_waitcnt lgkmcnt(0)
	s_delay_alu instid0(VALU_DEP_1) | instskip(NEXT) | instid1(VALU_DEP_1)
	v_add_f64 v[3:4], v[3:4], v[10:11]
	v_add_f64 v[7:8], v[3:4], v[12:13]
	s_cbranch_scc0 .LBB13_183
	s_branch .LBB13_185
.LBB13_184:
	s_mov_b32 s1, 0
.LBB13_185:
	s_bfe_u32 s2, s4, 0x30001
	s_delay_alu instid0(SALU_CYCLE_1)
	s_cmp_eq_u32 s2, 0
	s_cbranch_scc1 .LBB13_188
; %bb.186:
	v_add_lshl_u32 v1, s1, v1, 3
.LBB13_187:                             ; =>This Inner Loop Header: Depth=1
	ds_load_b64 v[2:3], v1
	v_add_nc_u32_e32 v1, 8, v1
	s_add_i32 s2, s2, -1
	s_delay_alu instid0(SALU_CYCLE_1)
	s_cmp_lg_u32 s2, 0
	s_waitcnt lgkmcnt(0)
	v_add_f64 v[7:8], v[7:8], v[2:3]
	s_cbranch_scc1 .LBB13_187
.LBB13_188:
	v_ashrrev_i32_e32 v6, 31, v5
	v_lshlrev_b32_e32 v0, 3, v0
	s_lshl_b32 s0, s0, 3
	s_delay_alu instid0(VALU_DEP_2) | instskip(NEXT) | instid1(VALU_DEP_2)
	v_lshlrev_b64 v[1:2], 3, v[5:6]
	v_add3_u32 v0, 0x2000, s0, v0
	s_mov_b32 s0, 0
	s_delay_alu instid0(VALU_DEP_2) | instskip(NEXT) | instid1(VALU_DEP_3)
	v_add_co_u32 v4, vcc_lo, s16, v1
	v_add_co_ci_u32_e32 v5, vcc_lo, s17, v2, vcc_lo
	ds_load_b64 v[0:1], v0
	global_load_b64 v[2:3], v[4:5], off
	s_waitcnt lgkmcnt(0)
	v_add_f64 v[6:7], v[7:8], v[0:1]
.LBB13_189:                             ; =>This Inner Loop Header: Depth=1
	s_waitcnt vmcnt(0)
	s_delay_alu instid0(VALU_DEP_1)
	v_add_f64 v[0:1], v[2:3], v[6:7]
	global_atomic_cmpswap_b64 v[0:1], v[4:5], v[0:3], off glc
	s_waitcnt vmcnt(0)
	v_cmp_eq_u64_e32 vcc_lo, v[0:1], v[2:3]
	v_dual_mov_b32 v3, v1 :: v_dual_mov_b32 v2, v0
	s_or_b32 s0, vcc_lo, s0
	s_delay_alu instid0(SALU_CYCLE_1)
	s_and_not1_b32 exec_lo, exec_lo, s0
	s_cbranch_execnz .LBB13_189
.LBB13_190:
	s_endpgm
	.section	.rodata,"a",@progbits
	.p2align	6, 0x0
	.amdhsa_kernel _ZN9rocsparseL27csrmvn_symm_adaptive_kernelIiiddddEEvbT_S1_PKS1_NS_24const_host_device_scalarIT4_EES3_PKT0_PKT1_PKT2_S6_PT3_21rocsparse_index_base_b
		.amdhsa_group_segment_fixed_size 8192
		.amdhsa_private_segment_fixed_size 0
		.amdhsa_kernarg_size 344
		.amdhsa_user_sgpr_count 15
		.amdhsa_user_sgpr_dispatch_ptr 0
		.amdhsa_user_sgpr_queue_ptr 0
		.amdhsa_user_sgpr_kernarg_segment_ptr 1
		.amdhsa_user_sgpr_dispatch_id 0
		.amdhsa_user_sgpr_private_segment_size 0
		.amdhsa_wavefront_size32 1
		.amdhsa_uses_dynamic_stack 0
		.amdhsa_enable_private_segment 0
		.amdhsa_system_sgpr_workgroup_id_x 1
		.amdhsa_system_sgpr_workgroup_id_y 0
		.amdhsa_system_sgpr_workgroup_id_z 0
		.amdhsa_system_sgpr_workgroup_info 0
		.amdhsa_system_vgpr_workitem_id 0
		.amdhsa_next_free_vgpr 22
		.amdhsa_next_free_sgpr 31
		.amdhsa_reserve_vcc 1
		.amdhsa_float_round_mode_32 0
		.amdhsa_float_round_mode_16_64 0
		.amdhsa_float_denorm_mode_32 3
		.amdhsa_float_denorm_mode_16_64 3
		.amdhsa_dx10_clamp 1
		.amdhsa_ieee_mode 1
		.amdhsa_fp16_overflow 0
		.amdhsa_workgroup_processor_mode 1
		.amdhsa_memory_ordered 1
		.amdhsa_forward_progress 0
		.amdhsa_shared_vgpr_count 0
		.amdhsa_exception_fp_ieee_invalid_op 0
		.amdhsa_exception_fp_denorm_src 0
		.amdhsa_exception_fp_ieee_div_zero 0
		.amdhsa_exception_fp_ieee_overflow 0
		.amdhsa_exception_fp_ieee_underflow 0
		.amdhsa_exception_fp_ieee_inexact 0
		.amdhsa_exception_int_div_zero 0
	.end_amdhsa_kernel
	.section	.text._ZN9rocsparseL27csrmvn_symm_adaptive_kernelIiiddddEEvbT_S1_PKS1_NS_24const_host_device_scalarIT4_EES3_PKT0_PKT1_PKT2_S6_PT3_21rocsparse_index_base_b,"axG",@progbits,_ZN9rocsparseL27csrmvn_symm_adaptive_kernelIiiddddEEvbT_S1_PKS1_NS_24const_host_device_scalarIT4_EES3_PKT0_PKT1_PKT2_S6_PT3_21rocsparse_index_base_b,comdat
.Lfunc_end13:
	.size	_ZN9rocsparseL27csrmvn_symm_adaptive_kernelIiiddddEEvbT_S1_PKS1_NS_24const_host_device_scalarIT4_EES3_PKT0_PKT1_PKT2_S6_PT3_21rocsparse_index_base_b, .Lfunc_end13-_ZN9rocsparseL27csrmvn_symm_adaptive_kernelIiiddddEEvbT_S1_PKS1_NS_24const_host_device_scalarIT4_EES3_PKT0_PKT1_PKT2_S6_PT3_21rocsparse_index_base_b
                                        ; -- End function
	.section	.AMDGPU.csdata,"",@progbits
; Kernel info:
; codeLenInByte = 8504
; NumSgprs: 33
; NumVgprs: 22
; ScratchSize: 0
; MemoryBound: 0
; FloatMode: 240
; IeeeMode: 1
; LDSByteSize: 8192 bytes/workgroup (compile time only)
; SGPRBlocks: 4
; VGPRBlocks: 2
; NumSGPRsForWavesPerEU: 33
; NumVGPRsForWavesPerEU: 22
; Occupancy: 16
; WaveLimiterHint : 1
; COMPUTE_PGM_RSRC2:SCRATCH_EN: 0
; COMPUTE_PGM_RSRC2:USER_SGPR: 15
; COMPUTE_PGM_RSRC2:TRAP_HANDLER: 0
; COMPUTE_PGM_RSRC2:TGID_X_EN: 1
; COMPUTE_PGM_RSRC2:TGID_Y_EN: 0
; COMPUTE_PGM_RSRC2:TGID_Z_EN: 0
; COMPUTE_PGM_RSRC2:TIDIG_COMP_CNT: 0
	.section	.text._ZL33csrmvn_symm_large_adaptive_kernelIiiddddEvbT_PKS0_N9rocsparse24const_host_device_scalarIT4_EES2_PKT0_PKT1_PKT2_S6_PT3_21rocsparse_index_base_b,"axG",@progbits,_ZL33csrmvn_symm_large_adaptive_kernelIiiddddEvbT_PKS0_N9rocsparse24const_host_device_scalarIT4_EES2_PKT0_PKT1_PKT2_S6_PT3_21rocsparse_index_base_b,comdat
	.globl	_ZL33csrmvn_symm_large_adaptive_kernelIiiddddEvbT_PKS0_N9rocsparse24const_host_device_scalarIT4_EES2_PKT0_PKT1_PKT2_S6_PT3_21rocsparse_index_base_b ; -- Begin function _ZL33csrmvn_symm_large_adaptive_kernelIiiddddEvbT_PKS0_N9rocsparse24const_host_device_scalarIT4_EES2_PKT0_PKT1_PKT2_S6_PT3_21rocsparse_index_base_b
	.p2align	8
	.type	_ZL33csrmvn_symm_large_adaptive_kernelIiiddddEvbT_PKS0_N9rocsparse24const_host_device_scalarIT4_EES2_PKT0_PKT1_PKT2_S6_PT3_21rocsparse_index_base_b,@function
_ZL33csrmvn_symm_large_adaptive_kernelIiiddddEvbT_PKS0_N9rocsparse24const_host_device_scalarIT4_EES2_PKT0_PKT1_PKT2_S6_PT3_21rocsparse_index_base_b: ; @_ZL33csrmvn_symm_large_adaptive_kernelIiiddddEvbT_PKS0_N9rocsparse24const_host_device_scalarIT4_EES2_PKT0_PKT1_PKT2_S6_PT3_21rocsparse_index_base_b
; %bb.0:
	s_clause 0x2
	s_load_b64 s[6:7], s[0:1], 0x48
	s_load_b64 s[8:9], s[0:1], 0x10
	;; [unrolled: 1-line block ×3, first 2 shown]
	s_mov_b32 s4, s15
	s_waitcnt lgkmcnt(0)
	s_bitcmp1_b32 s7, 0
	v_dual_mov_b32 v4, s8 :: v_dual_mov_b32 v5, s9
	s_cselect_b32 s5, -1, 0
	s_delay_alu instid0(SALU_CYCLE_1)
	s_and_b32 vcc_lo, exec_lo, s5
	s_xor_b32 s5, s5, -1
	s_cbranch_vccnz .LBB14_2
; %bb.1:
	v_dual_mov_b32 v1, s8 :: v_dual_mov_b32 v2, s9
	flat_load_b64 v[4:5], v[1:2]
.LBB14_2:
	v_dual_mov_b32 v1, s2 :: v_dual_mov_b32 v2, s3
	s_and_not1_b32 vcc_lo, exec_lo, s5
	s_cbranch_vccnz .LBB14_4
; %bb.3:
	v_dual_mov_b32 v1, s2 :: v_dual_mov_b32 v2, s3
	flat_load_b64 v[1:2], v[1:2]
.LBB14_4:
	s_waitcnt vmcnt(0) lgkmcnt(0)
	v_cmp_neq_f64_e32 vcc_lo, 0, v[4:5]
	v_cmp_neq_f64_e64 s2, 1.0, v[1:2]
	s_delay_alu instid0(VALU_DEP_1) | instskip(NEXT) | instid1(SALU_CYCLE_1)
	s_or_b32 s2, vcc_lo, s2
	s_and_saveexec_b32 s3, s2
	s_cbranch_execz .LBB14_41
; %bb.5:
	s_load_b64 s[8:9], s[0:1], 0x8
	s_mov_b32 s2, 0
	s_ashr_i32 s5, s4, 31
	s_mov_b32 s3, s2
	v_dual_mov_b32 v1, s2 :: v_dual_lshlrev_b32 v10, 3, v0
	v_mov_b32_e32 v2, s3
	s_lshl_b64 s[4:5], s[4:5], 2
	ds_store_2addr_stride64_b64 v10, v[1:2], v[1:2] offset1:4
	ds_store_2addr_stride64_b64 v10, v[1:2], v[1:2] offset0:8 offset1:12
	s_waitcnt lgkmcnt(0)
	s_barrier
	buffer_gl0_inv
	s_add_u32 s4, s8, s4
	s_addc_u32 s5, s9, s5
	s_load_b64 s[16:17], s[4:5], 0x0
	s_clause 0x1
	s_load_b256 s[8:15], s[0:1], 0x18
	s_load_b64 s[18:19], s[0:1], 0x40
	s_waitcnt lgkmcnt(0)
	s_cmp_lt_i32 s16, s17
	s_cbranch_scc1 .LBB14_7
; %bb.6:
	s_ashr_i32 s1, s16, 31
	s_mov_b32 s0, s16
	s_delay_alu instid0(SALU_CYCLE_1) | instskip(NEXT) | instid1(SALU_CYCLE_1)
	s_lshl_b64 s[0:1], s[0:1], 2
	s_add_u32 s0, s8, s0
	s_addc_u32 s1, s9, s1
	s_load_b32 s7, s[0:1], 0x0
	v_subrev_nc_u32_e32 v11, s6, v0
	s_and_not1_b32 vcc_lo, exec_lo, s2
	s_cbranch_vccz .LBB14_8
	s_branch .LBB14_31
.LBB14_7:
                                        ; implicit-def: $sgpr7
	v_subrev_nc_u32_e32 v11, s6, v0
.LBB14_8:
	s_ashr_i32 s1, s16, 31
	s_mov_b32 s0, s16
	v_cmp_gt_u32_e32 vcc_lo, 0x100, v0
	s_lshl_b64 s[0:1], s[0:1], 2
	v_cmp_gt_u32_e64 s2, 4, v0
	s_add_u32 s0, s8, s0
	s_addc_u32 s1, s9, s1
	v_cmp_eq_u32_e64 s3, 0, v0
	s_waitcnt lgkmcnt(0)
	s_load_b32 s7, s[0:1], 0x0
	v_cmp_gt_u32_e64 s0, 64, v0
	v_cmp_gt_u32_e64 s1, 16, v0
	v_mov_b32_e32 v12, 0
	s_add_u32 s24, s8, 4
	s_addc_u32 s25, s9, 0
	s_mov_b32 s20, s16
	s_waitcnt lgkmcnt(0)
	s_mov_b32 s26, s7
	s_branch .LBB14_10
.LBB14_9:                               ;   in Loop: Header=BB14_10 Depth=1
	s_or_b32 exec_lo, exec_lo, s5
	s_add_i32 s20, s20, 1
	s_delay_alu instid0(SALU_CYCLE_1)
	s_cmp_ge_i32 s20, s17
	s_cbranch_scc1 .LBB14_31
.LBB14_10:                              ; =>This Loop Header: Depth=1
                                        ;     Child Loop BB14_12 Depth 2
                                        ;     Child Loop BB14_26 Depth 2
                                        ;     Child Loop BB14_29 Depth 2
	s_ashr_i32 s21, s20, 31
	s_mov_b32 s22, s26
	s_lshl_b64 s[4:5], s[20:21], 2
	v_mov_b32_e32 v2, 0
	s_add_u32 s4, s24, s4
	s_addc_u32 s5, s25, s5
	v_dual_mov_b32 v3, 0 :: v_dual_add_nc_u32 v0, s22, v11
	s_load_b32 s26, s[4:5], 0x0
	s_mov_b32 s22, exec_lo
	s_waitcnt lgkmcnt(0)
	s_sub_i32 s23, s26, s6
	s_delay_alu instid0(SALU_CYCLE_1)
	v_cmpx_gt_i32_e64 s23, v0
	s_cbranch_execz .LBB14_14
; %bb.11:                               ;   in Loop: Header=BB14_10 Depth=1
	v_ashrrev_i32_e32 v1, 31, v0
	v_mov_b32_e32 v2, 0
	v_mov_b32_e32 v3, 0
	s_mov_b32 s27, 0
	s_delay_alu instid0(VALU_DEP_3) | instskip(SKIP_1) | instid1(VALU_DEP_2)
	v_lshlrev_b64 v[6:7], 2, v[0:1]
	v_lshlrev_b64 v[8:9], 3, v[0:1]
	v_add_co_u32 v6, s4, s10, v6
	s_delay_alu instid0(VALU_DEP_1) | instskip(NEXT) | instid1(VALU_DEP_3)
	v_add_co_ci_u32_e64 v7, s4, s11, v7, s4
	v_add_co_u32 v8, s4, s12, v8
	s_delay_alu instid0(VALU_DEP_1)
	v_add_co_ci_u32_e64 v9, s4, s13, v9, s4
	s_set_inst_prefetch_distance 0x1
	.p2align	6
.LBB14_12:                              ;   Parent Loop BB14_10 Depth=1
                                        ; =>  This Inner Loop Header: Depth=2
	global_load_b32 v1, v[6:7], off
	v_add_nc_u32_e32 v0, 0x100, v0
	s_waitcnt vmcnt(0)
	v_subrev_nc_u32_e32 v13, s6, v1
	s_delay_alu instid0(VALU_DEP_1) | instskip(NEXT) | instid1(VALU_DEP_1)
	v_ashrrev_i32_e32 v14, 31, v13
	v_lshlrev_b64 v[13:14], 3, v[13:14]
	s_delay_alu instid0(VALU_DEP_1) | instskip(NEXT) | instid1(VALU_DEP_1)
	v_add_co_u32 v13, s4, s14, v13
	v_add_co_ci_u32_e64 v14, s4, s15, v14, s4
	v_add_co_u32 v6, s4, 0x400, v6
	global_load_b64 v[15:16], v[8:9], off
	global_load_b64 v[13:14], v[13:14], off
	v_add_co_ci_u32_e64 v7, s4, 0, v7, s4
	v_cmp_le_i32_e64 s4, s23, v0
	v_add_co_u32 v8, s5, 0x800, v8
	s_delay_alu instid0(VALU_DEP_1) | instskip(NEXT) | instid1(VALU_DEP_3)
	v_add_co_ci_u32_e64 v9, s5, 0, v9, s5
	s_or_b32 s27, s4, s27
	s_waitcnt vmcnt(0)
	v_fma_f64 v[2:3], v[15:16], v[13:14], v[2:3]
	s_and_not1_b32 exec_lo, exec_lo, s27
	s_cbranch_execnz .LBB14_12
; %bb.13:                               ;   in Loop: Header=BB14_10 Depth=1
	s_set_inst_prefetch_distance 0x2
	s_or_b32 exec_lo, exec_lo, s27
.LBB14_14:                              ;   in Loop: Header=BB14_10 Depth=1
	s_delay_alu instid0(SALU_CYCLE_1)
	s_or_b32 exec_lo, exec_lo, s22
	ds_store_b64 v10, v[2:3]
	s_waitcnt lgkmcnt(0)
	s_barrier
	buffer_gl0_inv
	s_and_saveexec_b32 s4, vcc_lo
	s_cbranch_execz .LBB14_16
; %bb.15:                               ;   in Loop: Header=BB14_10 Depth=1
	ds_load_2addr_stride64_b64 v[0:3], v10 offset1:4
	ds_load_2addr_stride64_b64 v[6:9], v10 offset0:8 offset1:12
	s_waitcnt lgkmcnt(0)
	v_add_f64 v[2:3], v[2:3], v[6:7]
	s_delay_alu instid0(VALU_DEP_1) | instskip(NEXT) | instid1(VALU_DEP_1)
	v_add_f64 v[2:3], v[2:3], v[8:9]
	v_add_f64 v[0:1], v[0:1], v[2:3]
	ds_store_b64 v10, v[0:1]
.LBB14_16:                              ;   in Loop: Header=BB14_10 Depth=1
	s_or_b32 exec_lo, exec_lo, s4
	s_waitcnt lgkmcnt(0)
	s_barrier
	buffer_gl0_inv
	s_and_saveexec_b32 s4, s0
	s_cbranch_execz .LBB14_18
; %bb.17:                               ;   in Loop: Header=BB14_10 Depth=1
	ds_load_2addr_stride64_b64 v[0:3], v10 offset1:1
	ds_load_2addr_stride64_b64 v[6:9], v10 offset0:2 offset1:3
	s_waitcnt lgkmcnt(0)
	v_add_f64 v[2:3], v[2:3], v[6:7]
	s_delay_alu instid0(VALU_DEP_1) | instskip(NEXT) | instid1(VALU_DEP_1)
	v_add_f64 v[2:3], v[2:3], v[8:9]
	v_add_f64 v[0:1], v[0:1], v[2:3]
	ds_store_b64 v10, v[0:1]
.LBB14_18:                              ;   in Loop: Header=BB14_10 Depth=1
	s_or_b32 exec_lo, exec_lo, s4
	s_waitcnt lgkmcnt(0)
	s_barrier
	buffer_gl0_inv
	s_and_saveexec_b32 s4, s1
	s_cbranch_execz .LBB14_20
; %bb.19:                               ;   in Loop: Header=BB14_10 Depth=1
	ds_load_2addr_b64 v[0:3], v10 offset1:16
	ds_load_2addr_b64 v[6:9], v10 offset0:32 offset1:48
	s_waitcnt lgkmcnt(0)
	v_add_f64 v[2:3], v[2:3], v[6:7]
	s_delay_alu instid0(VALU_DEP_1) | instskip(NEXT) | instid1(VALU_DEP_1)
	v_add_f64 v[2:3], v[2:3], v[8:9]
	v_add_f64 v[0:1], v[0:1], v[2:3]
	ds_store_b64 v10, v[0:1]
.LBB14_20:                              ;   in Loop: Header=BB14_10 Depth=1
	s_or_b32 exec_lo, exec_lo, s4
	s_waitcnt lgkmcnt(0)
	s_barrier
	buffer_gl0_inv
	s_and_saveexec_b32 s4, s2
	s_cbranch_execz .LBB14_22
; %bb.21:                               ;   in Loop: Header=BB14_10 Depth=1
	ds_load_2addr_b64 v[0:3], v10 offset1:4
	ds_load_2addr_b64 v[6:9], v10 offset0:8 offset1:12
	s_waitcnt lgkmcnt(0)
	v_add_f64 v[2:3], v[2:3], v[6:7]
	s_delay_alu instid0(VALU_DEP_1) | instskip(NEXT) | instid1(VALU_DEP_1)
	v_add_f64 v[2:3], v[2:3], v[8:9]
	v_add_f64 v[0:1], v[0:1], v[2:3]
	ds_store_b64 v10, v[0:1]
.LBB14_22:                              ;   in Loop: Header=BB14_10 Depth=1
	s_or_b32 exec_lo, exec_lo, s4
	s_waitcnt lgkmcnt(0)
	s_barrier
	buffer_gl0_inv
	s_and_saveexec_b32 s4, s3
	s_cbranch_execz .LBB14_24
; %bb.23:                               ;   in Loop: Header=BB14_10 Depth=1
	ds_load_2addr_b64 v[0:3], v12 offset0:1 offset1:2
	ds_load_b64 v[6:7], v10
	s_waitcnt lgkmcnt(1)
	v_add_f64 v[0:1], v[0:1], v[2:3]
	ds_load_b64 v[2:3], v12 offset:24
	s_waitcnt lgkmcnt(0)
	v_add_f64 v[0:1], v[0:1], v[2:3]
	s_delay_alu instid0(VALU_DEP_1)
	v_add_f64 v[0:1], v[6:7], v[0:1]
	ds_store_b64 v10, v[0:1]
.LBB14_24:                              ;   in Loop: Header=BB14_10 Depth=1
	s_or_b32 exec_lo, exec_lo, s4
	s_waitcnt lgkmcnt(0)
	s_barrier
	buffer_gl0_inv
	s_and_saveexec_b32 s5, s3
	s_cbranch_execz .LBB14_9
; %bb.25:                               ;   in Loop: Header=BB14_10 Depth=1
	ds_load_b64 v[0:1], v12
	v_mov_b32_e32 v6, 0
	v_bfrev_b32_e32 v7, 1
	s_mov_b32 s4, exec_lo
	s_waitcnt lgkmcnt(0)
	v_mul_f64 v[0:1], v[4:5], v[0:1]
.LBB14_26:                              ;   Parent Loop BB14_10 Depth=1
                                        ; =>  This Inner Loop Header: Depth=2
	s_ctz_i32_b32 s27, s4
	s_delay_alu instid0(VALU_DEP_1) | instid1(SALU_CYCLE_1)
	v_readlane_b32 s23, v1, s27
	s_delay_alu instid0(VALU_DEP_2) | instskip(NEXT) | instid1(VALU_DEP_1)
	v_readlane_b32 s22, v0, s27
	v_add_f64 v[6:7], v[6:7], s[22:23]
	s_lshl_b32 s22, 1, s27
	s_delay_alu instid0(SALU_CYCLE_1) | instskip(NEXT) | instid1(SALU_CYCLE_1)
	s_and_not1_b32 s4, s4, s22
	s_cmp_lg_u32 s4, 0
	s_cbranch_scc1 .LBB14_26
; %bb.27:                               ;   in Loop: Header=BB14_10 Depth=1
	v_mbcnt_lo_u32_b32 v0, exec_lo, 0
	s_mov_b32 s22, exec_lo
	s_delay_alu instid0(VALU_DEP_1)
	v_cmpx_eq_u32_e32 0, v0
	s_xor_b32 s22, exec_lo, s22
	s_cbranch_execz .LBB14_9
; %bb.28:                               ;   in Loop: Header=BB14_10 Depth=1
	s_lshl_b64 s[22:23], s[20:21], 3
	s_mov_b32 s21, 0
	s_add_u32 s22, s18, s22
	s_addc_u32 s23, s19, s23
	global_load_b64 v[2:3], v12, s[22:23]
.LBB14_29:                              ;   Parent Loop BB14_10 Depth=1
                                        ; =>  This Inner Loop Header: Depth=2
	s_waitcnt vmcnt(0)
	v_add_f64 v[0:1], v[2:3], v[6:7]
	global_atomic_cmpswap_b64 v[0:1], v12, v[0:3], s[22:23] glc
	s_waitcnt vmcnt(0)
	v_cmp_eq_u64_e64 s4, v[0:1], v[2:3]
	v_dual_mov_b32 v3, v1 :: v_dual_mov_b32 v2, v0
	s_delay_alu instid0(VALU_DEP_2) | instskip(NEXT) | instid1(SALU_CYCLE_1)
	s_or_b32 s21, s4, s21
	s_and_not1_b32 exec_lo, exec_lo, s21
	s_cbranch_execnz .LBB14_29
; %bb.30:                               ;   in Loop: Header=BB14_10 Depth=1
	s_or_b32 exec_lo, exec_lo, s21
	s_branch .LBB14_9
.LBB14_31:
	s_ashr_i32 s1, s17, 31
	s_mov_b32 s0, s17
	s_waitcnt lgkmcnt(0)
	v_add_nc_u32_e32 v6, s7, v11
	s_lshl_b64 s[0:1], s[0:1], 2
	s_delay_alu instid0(SALU_CYCLE_1) | instskip(SKIP_4) | instid1(SALU_CYCLE_1)
	s_add_u32 s0, s8, s0
	s_addc_u32 s1, s9, s1
	s_load_b32 s0, s[0:1], 0x0
	s_waitcnt lgkmcnt(0)
	s_sub_i32 s1, s0, s6
	v_cmp_gt_i32_e32 vcc_lo, s1, v6
	s_and_b32 exec_lo, exec_lo, vcc_lo
	s_cbranch_execz .LBB14_41
; %bb.32:
	s_add_i32 s2, s17, -1
	s_mov_b32 s4, 0
	s_cmp_gt_i32 s2, s16
	s_cselect_b32 s0, -1, 0
	s_add_i32 s3, s17, -2
	s_delay_alu instid0(SALU_CYCLE_1) | instskip(SKIP_1) | instid1(SALU_CYCLE_1)
	s_cmp_lg_u32 s3, s16
	s_cselect_b32 s3, -1, 0
	s_and_b32 s3, s0, s3
	s_branch .LBB14_34
.LBB14_33:                              ;   in Loop: Header=BB14_34 Depth=1
	s_or_b32 exec_lo, exec_lo, s0
	v_add_nc_u32_e32 v6, 0x100, v6
	s_delay_alu instid0(VALU_DEP_1) | instskip(SKIP_1) | instid1(SALU_CYCLE_1)
	v_cmp_le_i32_e32 vcc_lo, s1, v6
	s_or_b32 s4, vcc_lo, s4
	s_and_not1_b32 exec_lo, exec_lo, s4
	s_cbranch_execz .LBB14_41
.LBB14_34:                              ; =>This Loop Header: Depth=1
                                        ;     Child Loop BB14_36 Depth 2
                                        ;     Child Loop BB14_40 Depth 2
	v_mov_b32_e32 v2, s16
	v_mov_b32_e32 v0, s2
	s_and_not1_b32 vcc_lo, exec_lo, s3
	s_cbranch_vccnz .LBB14_38
; %bb.35:                               ;   in Loop: Header=BB14_34 Depth=1
	v_mov_b32_e32 v2, s16
	v_mov_b32_e32 v0, s2
	s_mov_b32 s5, 0
	.p2align	6
.LBB14_36:                              ;   Parent Loop BB14_34 Depth=1
                                        ; =>  This Inner Loop Header: Depth=2
	s_delay_alu instid0(VALU_DEP_1) | instskip(NEXT) | instid1(VALU_DEP_1)
	v_add_nc_u32_e32 v1, v0, v2
	v_lshrrev_b32_e32 v3, 31, v1
	s_delay_alu instid0(VALU_DEP_1) | instskip(NEXT) | instid1(VALU_DEP_1)
	v_add_nc_u32_e32 v1, v1, v3
	v_ashrrev_i32_e32 v7, 1, v1
	s_delay_alu instid0(VALU_DEP_1) | instskip(NEXT) | instid1(VALU_DEP_1)
	v_ashrrev_i32_e32 v8, 31, v7
	v_lshlrev_b64 v[8:9], 2, v[7:8]
	s_delay_alu instid0(VALU_DEP_1) | instskip(NEXT) | instid1(VALU_DEP_2)
	v_add_co_u32 v8, vcc_lo, s8, v8
	v_add_co_ci_u32_e32 v9, vcc_lo, s9, v9, vcc_lo
	global_load_b32 v1, v[8:9], off
	s_waitcnt vmcnt(0)
	v_subrev_nc_u32_e32 v1, s6, v1
	s_delay_alu instid0(VALU_DEP_1) | instskip(SKIP_2) | instid1(VALU_DEP_1)
	v_cmp_gt_i32_e32 vcc_lo, v1, v6
	v_cndmask_b32_e32 v2, v7, v2, vcc_lo
	v_cndmask_b32_e32 v0, v0, v7, vcc_lo
	v_add_nc_u32_e32 v1, -1, v0
	s_delay_alu instid0(VALU_DEP_3) | instskip(NEXT) | instid1(VALU_DEP_2)
	v_cmp_ge_i32_e32 vcc_lo, v2, v0
	v_cmp_eq_u32_e64 s0, v2, v1
	s_delay_alu instid0(VALU_DEP_1) | instskip(NEXT) | instid1(SALU_CYCLE_1)
	s_or_b32 s0, vcc_lo, s0
	s_and_b32 s0, exec_lo, s0
	s_delay_alu instid0(SALU_CYCLE_1) | instskip(NEXT) | instid1(SALU_CYCLE_1)
	s_or_b32 s5, s0, s5
	s_and_not1_b32 exec_lo, exec_lo, s5
	s_cbranch_execnz .LBB14_36
; %bb.37:                               ;   in Loop: Header=BB14_34 Depth=1
	s_or_b32 exec_lo, exec_lo, s5
.LBB14_38:                              ;   in Loop: Header=BB14_34 Depth=1
	s_delay_alu instid0(VALU_DEP_1) | instskip(SKIP_2) | instid1(VALU_DEP_2)
	v_ashrrev_i32_e32 v1, 31, v0
	v_ashrrev_i32_e32 v7, 31, v6
	s_mov_b32 s0, exec_lo
	v_lshlrev_b64 v[8:9], 2, v[0:1]
	s_delay_alu instid0(VALU_DEP_2) | instskip(NEXT) | instid1(VALU_DEP_2)
	v_lshlrev_b64 v[10:11], 2, v[6:7]
	v_add_co_u32 v8, vcc_lo, s8, v8
	s_delay_alu instid0(VALU_DEP_3)
	v_add_co_ci_u32_e32 v9, vcc_lo, s9, v9, vcc_lo
	global_load_b32 v1, v[8:9], off
	v_add_co_u32 v8, vcc_lo, s10, v10
	v_add_co_ci_u32_e32 v9, vcc_lo, s11, v11, vcc_lo
	global_load_b32 v3, v[8:9], off
	s_waitcnt vmcnt(1)
	v_subrev_nc_u32_e32 v1, s6, v1
	s_delay_alu instid0(VALU_DEP_1) | instskip(SKIP_3) | instid1(VALU_DEP_1)
	v_cmp_gt_i32_e32 vcc_lo, v1, v6
	v_cndmask_b32_e32 v1, v0, v2, vcc_lo
	s_waitcnt vmcnt(0)
	v_subrev_nc_u32_e32 v0, s6, v3
	v_cmpx_ne_u32_e64 v0, v1
	s_cbranch_execz .LBB14_33
; %bb.39:                               ;   in Loop: Header=BB14_34 Depth=1
	v_lshlrev_b64 v[2:3], 3, v[6:7]
	s_mov_b32 s5, 0
	s_delay_alu instid0(VALU_DEP_1) | instskip(NEXT) | instid1(VALU_DEP_2)
	v_add_co_u32 v2, vcc_lo, s12, v2
	v_add_co_ci_u32_e32 v3, vcc_lo, s13, v3, vcc_lo
	global_load_b64 v[9:10], v[2:3], off
	v_ashrrev_i32_e32 v2, 31, v1
	s_delay_alu instid0(VALU_DEP_1) | instskip(NEXT) | instid1(VALU_DEP_1)
	v_lshlrev_b64 v[1:2], 3, v[1:2]
	v_add_co_u32 v1, vcc_lo, s14, v1
	s_delay_alu instid0(VALU_DEP_2) | instskip(SKIP_2) | instid1(VALU_DEP_1)
	v_add_co_ci_u32_e32 v2, vcc_lo, s15, v2, vcc_lo
	global_load_b64 v[11:12], v[1:2], off
	v_ashrrev_i32_e32 v1, 31, v0
	v_lshlrev_b64 v[0:1], 3, v[0:1]
	s_delay_alu instid0(VALU_DEP_1) | instskip(NEXT) | instid1(VALU_DEP_2)
	v_add_co_u32 v7, vcc_lo, s18, v0
	v_add_co_ci_u32_e32 v8, vcc_lo, s19, v1, vcc_lo
	global_load_b64 v[2:3], v[7:8], off
	s_waitcnt vmcnt(2)
	v_mul_f64 v[0:1], v[4:5], v[9:10]
	s_waitcnt vmcnt(1)
	s_delay_alu instid0(VALU_DEP_1)
	v_mul_f64 v[9:10], v[0:1], v[11:12]
.LBB14_40:                              ;   Parent Loop BB14_34 Depth=1
                                        ; =>  This Inner Loop Header: Depth=2
	s_waitcnt vmcnt(0)
	s_delay_alu instid0(VALU_DEP_1)
	v_add_f64 v[0:1], v[2:3], v[9:10]
	global_atomic_cmpswap_b64 v[0:1], v[7:8], v[0:3], off glc
	s_waitcnt vmcnt(0)
	v_cmp_eq_u64_e32 vcc_lo, v[0:1], v[2:3]
	v_dual_mov_b32 v3, v1 :: v_dual_mov_b32 v2, v0
	s_or_b32 s5, vcc_lo, s5
	s_delay_alu instid0(SALU_CYCLE_1)
	s_and_not1_b32 exec_lo, exec_lo, s5
	s_cbranch_execnz .LBB14_40
	s_branch .LBB14_33
.LBB14_41:
	s_endpgm
	.section	.rodata,"a",@progbits
	.p2align	6, 0x0
	.amdhsa_kernel _ZL33csrmvn_symm_large_adaptive_kernelIiiddddEvbT_PKS0_N9rocsparse24const_host_device_scalarIT4_EES2_PKT0_PKT1_PKT2_S6_PT3_21rocsparse_index_base_b
		.amdhsa_group_segment_fixed_size 8192
		.amdhsa_private_segment_fixed_size 0
		.amdhsa_kernarg_size 80
		.amdhsa_user_sgpr_count 15
		.amdhsa_user_sgpr_dispatch_ptr 0
		.amdhsa_user_sgpr_queue_ptr 0
		.amdhsa_user_sgpr_kernarg_segment_ptr 1
		.amdhsa_user_sgpr_dispatch_id 0
		.amdhsa_user_sgpr_private_segment_size 0
		.amdhsa_wavefront_size32 1
		.amdhsa_uses_dynamic_stack 0
		.amdhsa_enable_private_segment 0
		.amdhsa_system_sgpr_workgroup_id_x 1
		.amdhsa_system_sgpr_workgroup_id_y 0
		.amdhsa_system_sgpr_workgroup_id_z 0
		.amdhsa_system_sgpr_workgroup_info 0
		.amdhsa_system_vgpr_workitem_id 0
		.amdhsa_next_free_vgpr 17
		.amdhsa_next_free_sgpr 28
		.amdhsa_reserve_vcc 1
		.amdhsa_float_round_mode_32 0
		.amdhsa_float_round_mode_16_64 0
		.amdhsa_float_denorm_mode_32 3
		.amdhsa_float_denorm_mode_16_64 3
		.amdhsa_dx10_clamp 1
		.amdhsa_ieee_mode 1
		.amdhsa_fp16_overflow 0
		.amdhsa_workgroup_processor_mode 1
		.amdhsa_memory_ordered 1
		.amdhsa_forward_progress 0
		.amdhsa_shared_vgpr_count 0
		.amdhsa_exception_fp_ieee_invalid_op 0
		.amdhsa_exception_fp_denorm_src 0
		.amdhsa_exception_fp_ieee_div_zero 0
		.amdhsa_exception_fp_ieee_overflow 0
		.amdhsa_exception_fp_ieee_underflow 0
		.amdhsa_exception_fp_ieee_inexact 0
		.amdhsa_exception_int_div_zero 0
	.end_amdhsa_kernel
	.section	.text._ZL33csrmvn_symm_large_adaptive_kernelIiiddddEvbT_PKS0_N9rocsparse24const_host_device_scalarIT4_EES2_PKT0_PKT1_PKT2_S6_PT3_21rocsparse_index_base_b,"axG",@progbits,_ZL33csrmvn_symm_large_adaptive_kernelIiiddddEvbT_PKS0_N9rocsparse24const_host_device_scalarIT4_EES2_PKT0_PKT1_PKT2_S6_PT3_21rocsparse_index_base_b,comdat
.Lfunc_end14:
	.size	_ZL33csrmvn_symm_large_adaptive_kernelIiiddddEvbT_PKS0_N9rocsparse24const_host_device_scalarIT4_EES2_PKT0_PKT1_PKT2_S6_PT3_21rocsparse_index_base_b, .Lfunc_end14-_ZL33csrmvn_symm_large_adaptive_kernelIiiddddEvbT_PKS0_N9rocsparse24const_host_device_scalarIT4_EES2_PKT0_PKT1_PKT2_S6_PT3_21rocsparse_index_base_b
                                        ; -- End function
	.section	.AMDGPU.csdata,"",@progbits
; Kernel info:
; codeLenInByte = 2044
; NumSgprs: 30
; NumVgprs: 17
; ScratchSize: 0
; MemoryBound: 0
; FloatMode: 240
; IeeeMode: 1
; LDSByteSize: 8192 bytes/workgroup (compile time only)
; SGPRBlocks: 3
; VGPRBlocks: 2
; NumSGPRsForWavesPerEU: 30
; NumVGPRsForWavesPerEU: 17
; Occupancy: 16
; WaveLimiterHint : 1
; COMPUTE_PGM_RSRC2:SCRATCH_EN: 0
; COMPUTE_PGM_RSRC2:USER_SGPR: 15
; COMPUTE_PGM_RSRC2:TRAP_HANDLER: 0
; COMPUTE_PGM_RSRC2:TGID_X_EN: 1
; COMPUTE_PGM_RSRC2:TGID_Y_EN: 0
; COMPUTE_PGM_RSRC2:TGID_Z_EN: 0
; COMPUTE_PGM_RSRC2:TIDIG_COMP_CNT: 0
	.section	.text._ZN9rocsparseL22csrmvn_adaptive_kernelIliddddEEvbT_PKS1_PjPKT0_NS_24const_host_device_scalarIT4_EES3_S7_PKT1_PKT2_SA_PT3_21rocsparse_index_base_b,"axG",@progbits,_ZN9rocsparseL22csrmvn_adaptive_kernelIliddddEEvbT_PKS1_PjPKT0_NS_24const_host_device_scalarIT4_EES3_S7_PKT1_PKT2_SA_PT3_21rocsparse_index_base_b,comdat
	.globl	_ZN9rocsparseL22csrmvn_adaptive_kernelIliddddEEvbT_PKS1_PjPKT0_NS_24const_host_device_scalarIT4_EES3_S7_PKT1_PKT2_SA_PT3_21rocsparse_index_base_b ; -- Begin function _ZN9rocsparseL22csrmvn_adaptive_kernelIliddddEEvbT_PKS1_PjPKT0_NS_24const_host_device_scalarIT4_EES3_S7_PKT1_PKT2_SA_PT3_21rocsparse_index_base_b
	.p2align	8
	.type	_ZN9rocsparseL22csrmvn_adaptive_kernelIliddddEEvbT_PKS1_PjPKT0_NS_24const_host_device_scalarIT4_EES3_S7_PKT1_PKT2_SA_PT3_21rocsparse_index_base_b,@function
_ZN9rocsparseL22csrmvn_adaptive_kernelIliddddEEvbT_PKS1_PjPKT0_NS_24const_host_device_scalarIT4_EES3_S7_PKT1_PKT2_SA_PT3_21rocsparse_index_base_b: ; @_ZN9rocsparseL22csrmvn_adaptive_kernelIliddddEEvbT_PKS1_PjPKT0_NS_24const_host_device_scalarIT4_EES3_S7_PKT1_PKT2_SA_PT3_21rocsparse_index_base_b
; %bb.0:
	s_clause 0x2
	s_load_b64 s[30:31], s[0:1], 0x60
	s_load_b64 s[4:5], s[0:1], 0x28
	s_load_b64 s[2:3], s[0:1], 0x50
	s_mov_b32 s36, s15
	s_waitcnt lgkmcnt(0)
	s_bitcmp1_b32 s31, 0
	v_dual_mov_b32 v8, s5 :: v_dual_mov_b32 v7, s4
	s_cselect_b32 s6, -1, 0
	s_delay_alu instid0(SALU_CYCLE_1)
	s_and_b32 vcc_lo, exec_lo, s6
	s_xor_b32 s6, s6, -1
	s_cbranch_vccnz .LBB15_2
; %bb.1:
	v_dual_mov_b32 v1, s4 :: v_dual_mov_b32 v2, s5
	flat_load_b64 v[7:8], v[1:2]
.LBB15_2:
	v_dual_mov_b32 v6, s3 :: v_dual_mov_b32 v5, s2
	s_and_not1_b32 vcc_lo, exec_lo, s6
	s_cbranch_vccnz .LBB15_4
; %bb.3:
	v_dual_mov_b32 v1, s2 :: v_dual_mov_b32 v2, s3
	flat_load_b64 v[5:6], v[1:2]
.LBB15_4:
	s_waitcnt vmcnt(0) lgkmcnt(0)
	v_cmp_neq_f64_e32 vcc_lo, 0, v[7:8]
	v_cmp_neq_f64_e64 s2, 1.0, v[5:6]
	s_delay_alu instid0(VALU_DEP_1) | instskip(NEXT) | instid1(SALU_CYCLE_1)
	s_or_b32 s2, vcc_lo, s2
	s_and_saveexec_b32 s3, s2
	s_cbranch_execz .LBB15_116
; %bb.5:
	s_clause 0x2
	s_load_b64 s[2:3], s[0:1], 0x10
	s_load_b64 s[6:7], s[0:1], 0x20
	;; [unrolled: 1-line block ×3, first 2 shown]
	s_ashr_i32 s37, s36, 31
	s_delay_alu instid0(SALU_CYCLE_1)
	s_lshl_b64 s[4:5], s[36:37], 3
	s_waitcnt lgkmcnt(0)
	s_add_u32 s2, s2, s4
	s_addc_u32 s3, s3, s5
	s_lshl_b64 s[38:39], s[36:37], 2
	s_load_b128 s[20:23], s[2:3], 0x0
	s_load_b256 s[12:19], s[0:1], 0x30
	s_mov_b32 s3, -1
	s_waitcnt lgkmcnt(0)
	s_sub_i32 s2, s22, s20
	s_add_u32 s4, s6, s38
	s_addc_u32 s5, s7, s39
	s_lshl_b64 s[34:35], s[20:21], 3
	s_delay_alu instid0(SALU_CYCLE_1)
	s_add_u32 s26, s12, s34
	s_addc_u32 s27, s13, s35
	s_load_b32 s31, s[4:5], 0x0
	s_load_b64 s[28:29], s[26:27], 0x0
	s_cmp_lt_i32 s2, 2
	s_cbranch_scc0 .LBB15_72
; %bb.6:
	s_cmp_lg_u32 s2, 1
	s_cselect_b32 s2, -1, 0
	s_waitcnt lgkmcnt(0)
	s_cmp_lg_u32 s31, 0
	s_cselect_b32 s3, -1, 0
	s_delay_alu instid0(SALU_CYCLE_1) | instskip(NEXT) | instid1(SALU_CYCLE_1)
	s_or_b32 s2, s2, s3
	s_and_b32 vcc_lo, exec_lo, s2
	s_mov_b32 s2, -1
	s_cbranch_vccnz .LBB15_35
; %bb.7:
	v_cmp_le_i64_e64 s2, s[22:23], s[20:21]
	s_delay_alu instid0(VALU_DEP_1)
	s_and_b32 vcc_lo, exec_lo, s2
	s_cbranch_vccnz .LBB15_34
; %bb.8:
	v_cmp_neq_f64_e64 s2, 0, v[5:6]
	v_sub_co_u32 v13, s3, v0, s30
	s_delay_alu instid0(VALU_DEP_1)
	v_sub_co_ci_u32_e64 v14, null, 0, 0, s3
	v_dual_mov_b32 v16, 0 :: v_dual_lshlrev_b32 v15, 3, v0
	v_cmp_gt_u32_e64 s3, 0x80, v0
	v_cmp_gt_u32_e64 s4, 64, v0
	;; [unrolled: 1-line block ×7, first 2 shown]
	v_cmp_eq_u32_e64 s10, 0, v0
	s_add_u32 s33, s12, 8
	s_addc_u32 s37, s13, 0
	s_mov_b64 s[42:43], s[28:29]
	s_mov_b64 s[40:41], s[20:21]
	s_branch .LBB15_11
.LBB15_9:                               ;   in Loop: Header=BB15_11 Depth=1
	s_or_b32 exec_lo, exec_lo, s46
	s_add_u32 s44, s24, s44
	s_addc_u32 s45, s25, s45
	s_waitcnt lgkmcnt(0)
	global_store_b64 v16, v[1:2], s[44:45]
.LBB15_10:                              ;   in Loop: Header=BB15_11 Depth=1
	s_or_b32 exec_lo, exec_lo, s11
	s_add_u32 s40, s40, 1
	s_addc_u32 s41, s41, 0
	s_delay_alu instid0(SALU_CYCLE_1) | instskip(NEXT) | instid1(VALU_DEP_1)
	v_cmp_ge_i64_e64 s11, s[40:41], s[22:23]
	s_and_b32 vcc_lo, exec_lo, s11
	s_cbranch_vccnz .LBB15_34
.LBB15_11:                              ; =>This Loop Header: Depth=1
                                        ;     Child Loop BB15_13 Depth 2
	s_lshl_b64 s[44:45], s[40:41], 3
	s_mov_b64 s[48:49], s[42:43]
	s_add_u32 s46, s33, s44
	s_addc_u32 s47, s37, s45
	v_add_co_u32 v1, vcc_lo, s48, v13
	s_load_b64 s[42:43], s[46:47], 0x0
	v_mov_b32_e32 v3, 0
	v_add_co_ci_u32_e32 v2, vcc_lo, s49, v14, vcc_lo
	v_mov_b32_e32 v4, 0
	s_mov_b32 s48, exec_lo
	s_waitcnt lgkmcnt(0)
	s_sub_u32 s46, s42, s30
	s_subb_u32 s47, s43, 0
	s_delay_alu instid0(SALU_CYCLE_1)
	v_cmpx_gt_i64_e64 s[46:47], v[1:2]
	s_cbranch_execz .LBB15_15
; %bb.12:                               ;   in Loop: Header=BB15_11 Depth=1
	v_lshlrev_b64 v[9:10], 3, v[1:2]
	v_lshlrev_b64 v[11:12], 2, v[1:2]
	v_mov_b32_e32 v3, 0
	v_mov_b32_e32 v4, 0
	s_mov_b32 s49, 0
	s_delay_alu instid0(VALU_DEP_4)
	v_add_co_u32 v9, vcc_lo, s16, v9
	v_add_co_ci_u32_e32 v10, vcc_lo, s17, v10, vcc_lo
	v_add_co_u32 v11, vcc_lo, s14, v11
	v_add_co_ci_u32_e32 v12, vcc_lo, s15, v12, vcc_lo
	s_set_inst_prefetch_distance 0x1
	.p2align	6
.LBB15_13:                              ;   Parent Loop BB15_11 Depth=1
                                        ; =>  This Inner Loop Header: Depth=2
	global_load_b32 v19, v[11:12], off
	global_load_b64 v[17:18], v[9:10], off
	v_add_co_u32 v11, s11, 0x400, v11
	s_delay_alu instid0(VALU_DEP_1) | instskip(SKIP_4) | instid1(VALU_DEP_2)
	v_add_co_ci_u32_e64 v12, s11, 0, v12, s11
	s_waitcnt vmcnt(1)
	v_subrev_nc_u32_e32 v19, s30, v19
	s_waitcnt vmcnt(0)
	v_mul_f64 v[17:18], v[7:8], v[17:18]
	v_ashrrev_i32_e32 v20, 31, v19
	s_delay_alu instid0(VALU_DEP_1) | instskip(NEXT) | instid1(VALU_DEP_1)
	v_lshlrev_b64 v[19:20], 3, v[19:20]
	v_add_co_u32 v19, vcc_lo, s18, v19
	s_delay_alu instid0(VALU_DEP_2)
	v_add_co_ci_u32_e32 v20, vcc_lo, s19, v20, vcc_lo
	v_add_co_u32 v1, vcc_lo, 0x100, v1
	v_add_co_ci_u32_e32 v2, vcc_lo, 0, v2, vcc_lo
	global_load_b64 v[19:20], v[19:20], off
	v_add_co_u32 v9, vcc_lo, 0x800, v9
	v_add_co_ci_u32_e32 v10, vcc_lo, 0, v10, vcc_lo
	v_cmp_le_i64_e32 vcc_lo, s[46:47], v[1:2]
	s_or_b32 s49, vcc_lo, s49
	s_waitcnt vmcnt(0)
	v_fma_f64 v[3:4], v[17:18], v[19:20], v[3:4]
	s_and_not1_b32 exec_lo, exec_lo, s49
	s_cbranch_execnz .LBB15_13
; %bb.14:                               ;   in Loop: Header=BB15_11 Depth=1
	s_set_inst_prefetch_distance 0x2
	s_or_b32 exec_lo, exec_lo, s49
.LBB15_15:                              ;   in Loop: Header=BB15_11 Depth=1
	s_delay_alu instid0(SALU_CYCLE_1)
	s_or_b32 exec_lo, exec_lo, s48
	ds_store_b64 v15, v[3:4]
	s_waitcnt lgkmcnt(0)
	s_waitcnt_vscnt null, 0x0
	s_barrier
	buffer_gl0_inv
	s_and_saveexec_b32 s11, s3
	s_cbranch_execz .LBB15_17
; %bb.16:                               ;   in Loop: Header=BB15_11 Depth=1
	ds_load_2addr_stride64_b64 v[1:4], v15 offset1:2
	s_waitcnt lgkmcnt(0)
	v_add_f64 v[1:2], v[1:2], v[3:4]
	ds_store_b64 v15, v[1:2]
.LBB15_17:                              ;   in Loop: Header=BB15_11 Depth=1
	s_or_b32 exec_lo, exec_lo, s11
	s_waitcnt lgkmcnt(0)
	s_barrier
	buffer_gl0_inv
	s_and_saveexec_b32 s11, s4
	s_cbranch_execz .LBB15_19
; %bb.18:                               ;   in Loop: Header=BB15_11 Depth=1
	ds_load_2addr_stride64_b64 v[1:4], v15 offset1:1
	s_waitcnt lgkmcnt(0)
	v_add_f64 v[1:2], v[1:2], v[3:4]
	ds_store_b64 v15, v[1:2]
.LBB15_19:                              ;   in Loop: Header=BB15_11 Depth=1
	s_or_b32 exec_lo, exec_lo, s11
	s_waitcnt lgkmcnt(0)
	s_barrier
	buffer_gl0_inv
	s_and_saveexec_b32 s11, s5
	s_cbranch_execz .LBB15_21
; %bb.20:                               ;   in Loop: Header=BB15_11 Depth=1
	ds_load_2addr_b64 v[1:4], v15 offset1:32
	s_waitcnt lgkmcnt(0)
	v_add_f64 v[1:2], v[1:2], v[3:4]
	ds_store_b64 v15, v[1:2]
.LBB15_21:                              ;   in Loop: Header=BB15_11 Depth=1
	s_or_b32 exec_lo, exec_lo, s11
	s_waitcnt lgkmcnt(0)
	s_barrier
	buffer_gl0_inv
	s_and_saveexec_b32 s11, s6
	s_cbranch_execz .LBB15_23
; %bb.22:                               ;   in Loop: Header=BB15_11 Depth=1
	ds_load_2addr_b64 v[1:4], v15 offset1:16
	s_waitcnt lgkmcnt(0)
	v_add_f64 v[1:2], v[1:2], v[3:4]
	ds_store_b64 v15, v[1:2]
.LBB15_23:                              ;   in Loop: Header=BB15_11 Depth=1
	;; [unrolled: 12-line block ×5, first 2 shown]
	s_or_b32 exec_lo, exec_lo, s11
	s_waitcnt lgkmcnt(0)
	s_barrier
	buffer_gl0_inv
	s_and_saveexec_b32 s11, s10
	s_cbranch_execz .LBB15_31
; %bb.30:                               ;   in Loop: Header=BB15_11 Depth=1
	ds_load_b128 v[1:4], v16
	s_waitcnt lgkmcnt(0)
	v_add_f64 v[1:2], v[1:2], v[3:4]
	ds_store_b64 v16, v[1:2]
.LBB15_31:                              ;   in Loop: Header=BB15_11 Depth=1
	s_or_b32 exec_lo, exec_lo, s11
	s_waitcnt lgkmcnt(0)
	s_barrier
	buffer_gl0_inv
	s_and_saveexec_b32 s11, s10
	s_cbranch_execz .LBB15_10
; %bb.32:                               ;   in Loop: Header=BB15_11 Depth=1
	ds_load_b64 v[1:2], v16
	s_and_saveexec_b32 s46, s2
	s_cbranch_execz .LBB15_9
; %bb.33:                               ;   in Loop: Header=BB15_11 Depth=1
	s_add_u32 s48, s24, s44
	s_addc_u32 s49, s25, s45
	global_load_b64 v[3:4], v16, s[48:49]
	s_waitcnt vmcnt(0) lgkmcnt(0)
	v_fma_f64 v[1:2], v[5:6], v[3:4], v[1:2]
	s_branch .LBB15_9
.LBB15_34:
	s_mov_b32 s2, 0
.LBB15_35:
	s_delay_alu instid0(SALU_CYCLE_1)
	s_and_not1_b32 vcc_lo, exec_lo, s2
	s_cbranch_vccnz .LBB15_71
; %bb.36:
	s_load_b64 s[6:7], s[0:1], 0x18
	s_sub_i32 s8, s36, s31
	v_mov_b32_e32 v1, 0
	v_or_b32_e32 v3, s31, v0
	v_mov_b32_e32 v2, 0
	s_mov_b32 s10, exec_lo
	s_waitcnt lgkmcnt(0)
	s_add_u32 s4, s6, s38
	s_addc_u32 s5, s7, s39
	s_load_b32 s33, s[4:5], 0x0
	v_cmpx_eq_u32_e32 0, v3
	s_cbranch_execz .LBB15_40
; %bb.37:
	v_add_f64 v[1:2], v[5:6], -1.0
	s_add_u32 s2, s24, s34
	s_addc_u32 s3, s25, s35
	s_mov_b32 s11, exec_lo
	s_load_b64 s[2:3], s[2:3], 0x0
	v_mbcnt_lo_u32_b32 v3, s11, 0
	s_mov_b32 s36, exec_lo
	s_waitcnt vmcnt(0) expcnt(0) lgkmcnt(0)
	s_waitcnt_vscnt null, 0x0
	s_delay_alu instid0(VALU_DEP_1)
	v_cmpx_eq_u32_e32 0, v3
	s_cbranch_execz .LBB15_39
; %bb.38:
	s_ashr_i32 s9, s8, 31
	s_delay_alu instid0(SALU_CYCLE_1) | instskip(NEXT) | instid1(SALU_CYCLE_1)
	s_lshl_b64 s[38:39], s[8:9], 2
	s_add_u32 s38, s6, s38
	s_addc_u32 s39, s7, s39
	s_bcnt1_i32_b32 s9, s11
	s_delay_alu instid0(SALU_CYCLE_1) | instskip(NEXT) | instid1(SALU_CYCLE_1)
	s_and_b32 s9, s9, 1
	v_dual_mov_b32 v3, 0 :: v_dual_mov_b32 v4, s9
	global_atomic_xor_b32 v3, v4, s[38:39]
.LBB15_39:
	s_or_b32 exec_lo, exec_lo, s36
	s_delay_alu instid0(VALU_DEP_3)
	v_mul_f64 v[1:2], v[1:2], s[2:3]
.LBB15_40:
	s_or_b32 exec_lo, exec_lo, s10
	s_load_b64 s[2:3], s[26:27], 0x8
	s_mul_i32 s10, s31, 0xc00
	s_sub_u32 s11, s28, s30
	s_subb_u32 s36, s29, 0
	s_mul_hi_i32 s9, s31, 0xc00
	s_add_u32 s11, s11, s10
	s_addc_u32 s10, s36, s9
	v_add_co_u32 v3, s9, s11, v0
	s_delay_alu instid0(VALU_DEP_1) | instskip(SKIP_4) | instid1(SALU_CYCLE_1)
	v_add_co_ci_u32_e64 v4, null, s10, 0, s9
	s_mov_b32 s9, exec_lo
	s_waitcnt lgkmcnt(0)
	s_sub_u32 s2, s2, s30
	s_subb_u32 s3, s3, 0
	v_cmpx_gt_i64_e64 s[2:3], v[3:4]
	s_cbranch_execz .LBB15_44
; %bb.41:
	v_lshlrev_b64 v[9:10], 3, v[3:4]
	v_lshlrev_b64 v[11:12], 2, v[3:4]
	s_add_u32 s36, s11, 0xc00
	s_addc_u32 s37, s10, 0
	s_delay_alu instid0(SALU_CYCLE_1) | instskip(NEXT) | instid1(VALU_DEP_3)
	v_cmp_lt_i64_e64 s10, s[36:37], s[2:3]
	v_add_co_u32 v9, vcc_lo, s16, v9
	v_add_co_ci_u32_e32 v10, vcc_lo, s17, v10, vcc_lo
	v_add_co_u32 v11, vcc_lo, s14, v11
	v_add_co_ci_u32_e32 v12, vcc_lo, s15, v12, vcc_lo
	s_and_b32 s10, s10, exec_lo
	s_cselect_b32 s11, s37, s3
	s_cselect_b32 s10, s36, s2
	s_mov_b32 s3, 0
	s_set_inst_prefetch_distance 0x1
	.p2align	6
.LBB15_42:                              ; =>This Inner Loop Header: Depth=1
	global_load_b32 v15, v[11:12], off
	global_load_b64 v[13:14], v[9:10], off
	v_add_co_u32 v11, s2, 0x400, v11
	s_delay_alu instid0(VALU_DEP_1) | instskip(SKIP_4) | instid1(VALU_DEP_2)
	v_add_co_ci_u32_e64 v12, s2, 0, v12, s2
	s_waitcnt vmcnt(1)
	v_subrev_nc_u32_e32 v15, s30, v15
	s_waitcnt vmcnt(0)
	v_mul_f64 v[13:14], v[7:8], v[13:14]
	v_ashrrev_i32_e32 v16, 31, v15
	s_delay_alu instid0(VALU_DEP_1) | instskip(NEXT) | instid1(VALU_DEP_1)
	v_lshlrev_b64 v[15:16], 3, v[15:16]
	v_add_co_u32 v15, vcc_lo, s18, v15
	s_delay_alu instid0(VALU_DEP_2)
	v_add_co_ci_u32_e32 v16, vcc_lo, s19, v16, vcc_lo
	v_add_co_u32 v3, vcc_lo, 0x100, v3
	v_add_co_ci_u32_e32 v4, vcc_lo, 0, v4, vcc_lo
	global_load_b64 v[15:16], v[15:16], off
	v_add_co_u32 v9, vcc_lo, 0x800, v9
	v_add_co_ci_u32_e32 v10, vcc_lo, 0, v10, vcc_lo
	v_cmp_le_i64_e32 vcc_lo, s[10:11], v[3:4]
	s_or_b32 s3, vcc_lo, s3
	s_waitcnt vmcnt(0)
	v_fma_f64 v[1:2], v[13:14], v[15:16], v[1:2]
	s_and_not1_b32 exec_lo, exec_lo, s3
	s_cbranch_execnz .LBB15_42
; %bb.43:
	s_set_inst_prefetch_distance 0x2
	s_or_b32 exec_lo, exec_lo, s3
.LBB15_44:
	s_delay_alu instid0(SALU_CYCLE_1)
	s_or_b32 exec_lo, exec_lo, s9
	v_lshlrev_b32_e32 v3, 3, v0
	s_mov_b32 s2, exec_lo
	ds_store_b64 v3, v[1:2]
	s_waitcnt lgkmcnt(0)
	s_waitcnt_vscnt null, 0x0
	s_barrier
	buffer_gl0_inv
	v_cmpx_gt_u32_e32 0x80, v0
	s_cbranch_execz .LBB15_46
; %bb.45:
	ds_load_2addr_stride64_b64 v[9:12], v3 offset1:2
	s_waitcnt lgkmcnt(0)
	v_add_f64 v[1:2], v[9:10], v[11:12]
	ds_store_b64 v3, v[1:2]
.LBB15_46:
	s_or_b32 exec_lo, exec_lo, s2
	s_delay_alu instid0(SALU_CYCLE_1)
	s_mov_b32 s2, exec_lo
	s_waitcnt lgkmcnt(0)
	s_barrier
	buffer_gl0_inv
	v_cmpx_gt_u32_e32 64, v0
	s_cbranch_execz .LBB15_48
; %bb.47:
	ds_load_2addr_stride64_b64 v[9:12], v3 offset1:1
	s_waitcnt lgkmcnt(0)
	v_add_f64 v[1:2], v[9:10], v[11:12]
	ds_store_b64 v3, v[1:2]
.LBB15_48:
	s_or_b32 exec_lo, exec_lo, s2
	s_delay_alu instid0(SALU_CYCLE_1)
	s_mov_b32 s2, exec_lo
	s_waitcnt lgkmcnt(0)
	s_barrier
	buffer_gl0_inv
	v_cmpx_gt_u32_e32 32, v0
	s_cbranch_execz .LBB15_50
; %bb.49:
	ds_load_2addr_b64 v[9:12], v3 offset1:32
	s_waitcnt lgkmcnt(0)
	v_add_f64 v[1:2], v[9:10], v[11:12]
	ds_store_b64 v3, v[1:2]
.LBB15_50:
	s_or_b32 exec_lo, exec_lo, s2
	s_delay_alu instid0(SALU_CYCLE_1)
	s_mov_b32 s2, exec_lo
	s_waitcnt lgkmcnt(0)
	s_barrier
	buffer_gl0_inv
	v_cmpx_gt_u32_e32 16, v0
	s_cbranch_execz .LBB15_52
; %bb.51:
	ds_load_2addr_b64 v[9:12], v3 offset1:16
	s_waitcnt lgkmcnt(0)
	v_add_f64 v[1:2], v[9:10], v[11:12]
	ds_store_b64 v3, v[1:2]
.LBB15_52:
	;; [unrolled: 14-line block ×5, first 2 shown]
	s_or_b32 exec_lo, exec_lo, s2
	v_cmp_eq_u32_e32 vcc_lo, 0, v0
	s_waitcnt lgkmcnt(0)
	s_barrier
	buffer_gl0_inv
	s_and_saveexec_b32 s2, vcc_lo
	s_cbranch_execz .LBB15_60
; %bb.59:
	v_mov_b32_e32 v9, 0
	ds_load_b128 v[1:4], v9
	s_waitcnt lgkmcnt(0)
	v_add_f64 v[1:2], v[1:2], v[3:4]
	ds_store_b64 v9, v[1:2]
.LBB15_60:
	s_or_b32 exec_lo, exec_lo, s2
	s_waitcnt lgkmcnt(0)
	s_barrier
	buffer_gl0_inv
	s_and_saveexec_b32 s10, vcc_lo
	s_cbranch_execz .LBB15_70
; %bb.61:
	s_cmp_eq_u32 s31, 0
	s_cbranch_scc1 .LBB15_67
; %bb.62:
	s_ashr_i32 s9, s8, 31
	v_mov_b32_e32 v1, 0
	s_lshl_b64 s[2:3], s[8:9], 2
	s_delay_alu instid0(SALU_CYCLE_1)
	s_add_u32 s2, s6, s2
	s_addc_u32 s3, s7, s3
	s_branch .LBB15_64
.LBB15_63:                              ;   in Loop: Header=BB15_64 Depth=1
	s_or_b32 exec_lo, exec_lo, s6
	s_waitcnt vmcnt(0)
	v_readfirstlane_b32 s6, v2
	s_delay_alu instid0(VALU_DEP_1)
	s_cmp_eq_u32 s6, s33
	s_cbranch_scc0 .LBB15_66
.LBB15_64:                              ; =>This Inner Loop Header: Depth=1
	v_mbcnt_lo_u32_b32 v2, exec_lo, 0
	s_delay_alu instid0(VALU_DEP_1)
	v_cmp_eq_u32_e32 vcc_lo, 0, v2
                                        ; implicit-def: $vgpr2
	s_and_saveexec_b32 s6, vcc_lo
	s_cbranch_execz .LBB15_63
; %bb.65:                               ;   in Loop: Header=BB15_64 Depth=1
	global_load_b32 v2, v1, s[2:3] glc
	s_branch .LBB15_63
.LBB15_66:
	v_mov_b32_e32 v1, 0
	global_load_b32 v2, v1, s[4:5]
	s_waitcnt vmcnt(0)
	v_xor_b32_e32 v2, 1, v2
	global_store_b32 v1, v2, s[4:5]
.LBB15_67:
	s_mov_b32 s4, exec_lo
	s_delay_alu instid0(SALU_CYCLE_1) | instskip(NEXT) | instid1(VALU_DEP_1)
	v_mbcnt_lo_u32_b32 v1, s4, 0
	v_cmp_eq_u32_e32 vcc_lo, 0, v1
	s_and_b32 s2, exec_lo, vcc_lo
	s_delay_alu instid0(SALU_CYCLE_1)
	s_mov_b32 exec_lo, s2
	s_cbranch_execz .LBB15_70
; %bb.68:
	v_mov_b32_e32 v11, 0
	s_add_u32 s2, s24, s34
	s_addc_u32 s3, s25, s35
	s_bcnt1_i32_b32 s4, s4
	s_delay_alu instid0(SALU_CYCLE_1)
	v_cvt_f64_u32_e32 v[1:2], s4
	global_load_b64 v[3:4], v11, s[2:3]
	ds_load_b64 v[9:10], v11
	s_mov_b32 s4, 0
	s_waitcnt lgkmcnt(0)
	v_mul_f64 v[9:10], v[9:10], v[1:2]
.LBB15_69:                              ; =>This Inner Loop Header: Depth=1
	s_waitcnt vmcnt(0)
	s_delay_alu instid0(VALU_DEP_1)
	v_add_f64 v[1:2], v[3:4], v[9:10]
	global_atomic_cmpswap_b64 v[1:2], v11, v[1:4], s[2:3] glc
	s_waitcnt vmcnt(0)
	v_cmp_eq_u64_e32 vcc_lo, v[1:2], v[3:4]
	v_dual_mov_b32 v4, v2 :: v_dual_mov_b32 v3, v1
	s_or_b32 s4, vcc_lo, s4
	s_delay_alu instid0(SALU_CYCLE_1)
	s_and_not1_b32 exec_lo, exec_lo, s4
	s_cbranch_execnz .LBB15_69
.LBB15_70:
	s_or_b32 exec_lo, exec_lo, s10
.LBB15_71:
	s_mov_b32 s3, 0
.LBB15_72:
	s_delay_alu instid0(SALU_CYCLE_1)
	s_and_not1_b32 vcc_lo, exec_lo, s3
	s_cbranch_vccnz .LBB15_116
; %bb.73:
	s_load_b64 s[0:1], s[0:1], 0x8
	v_sub_co_u32 v1, s2, v0, s30
	s_delay_alu instid0(VALU_DEP_1) | instskip(SKIP_1) | instid1(VALU_DEP_2)
	v_sub_co_ci_u32_e64 v2, null, 0, 0, s2
	s_waitcnt lgkmcnt(0)
	v_add_co_u32 v1, vcc_lo, s28, v1
	s_delay_alu instid0(VALU_DEP_2) | instskip(NEXT) | instid1(VALU_DEP_2)
	v_add_co_ci_u32_e32 v2, vcc_lo, s29, v2, vcc_lo
	v_add_co_u32 v3, vcc_lo, 0x300, v1
	s_delay_alu instid0(VALU_DEP_2) | instskip(NEXT) | instid1(VALU_DEP_1)
	v_add_co_ci_u32_e32 v4, vcc_lo, 0, v2, vcc_lo
	v_cmp_le_i64_e32 vcc_lo, s[0:1], v[3:4]
	s_and_saveexec_b32 s0, vcc_lo
	s_delay_alu instid0(SALU_CYCLE_1)
	s_xor_b32 s1, exec_lo, s0
	s_cbranch_execz .LBB15_78
; %bb.74:
	s_lshl_b64 s[2:3], s[22:23], 3
	s_mov_b32 s4, exec_lo
	s_add_u32 s2, s12, s2
	s_addc_u32 s3, s13, s3
	s_load_b64 s[2:3], s[2:3], 0x0
	s_waitcnt lgkmcnt(0)
	s_sub_u32 s2, s2, s30
	s_subb_u32 s3, s3, 0
	s_delay_alu instid0(SALU_CYCLE_1)
	v_cmpx_gt_i64_e64 s[2:3], v[1:2]
	s_cbranch_execz .LBB15_77
; %bb.75:
	v_lshlrev_b64 v[3:4], 3, v[1:2]
	v_lshlrev_b64 v[9:10], 2, v[1:2]
	v_lshlrev_b32_e32 v11, 3, v0
	s_mov_b32 s5, 0
	s_delay_alu instid0(VALU_DEP_3) | instskip(NEXT) | instid1(VALU_DEP_4)
	v_add_co_u32 v3, vcc_lo, s16, v3
	v_add_co_ci_u32_e32 v4, vcc_lo, s17, v4, vcc_lo
	s_delay_alu instid0(VALU_DEP_4)
	v_add_co_u32 v9, vcc_lo, s14, v9
	v_add_co_ci_u32_e32 v10, vcc_lo, s15, v10, vcc_lo
	s_set_inst_prefetch_distance 0x1
	.p2align	6
.LBB15_76:                              ; =>This Inner Loop Header: Depth=1
	global_load_b32 v14, v[9:10], off
	global_load_b64 v[12:13], v[3:4], off
	s_waitcnt vmcnt(1)
	v_subrev_nc_u32_e32 v14, s30, v14
	s_waitcnt vmcnt(0)
	v_mul_f64 v[12:13], v[7:8], v[12:13]
	s_delay_alu instid0(VALU_DEP_2) | instskip(NEXT) | instid1(VALU_DEP_1)
	v_ashrrev_i32_e32 v15, 31, v14
	v_lshlrev_b64 v[14:15], 3, v[14:15]
	s_delay_alu instid0(VALU_DEP_1) | instskip(NEXT) | instid1(VALU_DEP_2)
	v_add_co_u32 v14, vcc_lo, s18, v14
	v_add_co_ci_u32_e32 v15, vcc_lo, s19, v15, vcc_lo
	v_add_co_u32 v1, vcc_lo, 0x100, v1
	v_add_co_ci_u32_e32 v2, vcc_lo, 0, v2, vcc_lo
	global_load_b64 v[14:15], v[14:15], off
	v_add_co_u32 v3, vcc_lo, 0x800, v3
	v_add_co_ci_u32_e32 v4, vcc_lo, 0, v4, vcc_lo
	v_cmp_le_i64_e64 s0, s[2:3], v[1:2]
	v_add_co_u32 v9, vcc_lo, 0x400, v9
	v_add_co_ci_u32_e32 v10, vcc_lo, 0, v10, vcc_lo
	s_delay_alu instid0(VALU_DEP_3)
	s_or_b32 s5, s0, s5
	s_waitcnt vmcnt(0)
	v_mul_f64 v[12:13], v[12:13], v[14:15]
	ds_store_b64 v11, v[12:13]
	v_add_nc_u32_e32 v11, 0x800, v11
	s_and_not1_b32 exec_lo, exec_lo, s5
	s_cbranch_execnz .LBB15_76
.LBB15_77:
	s_set_inst_prefetch_distance 0x2
	s_or_b32 exec_lo, exec_lo, s4
                                        ; implicit-def: $vgpr1_vgpr2
                                        ; implicit-def: $vgpr7_vgpr8
.LBB15_78:
	s_or_saveexec_b32 s0, s1
	v_lshlrev_b32_e32 v11, 3, v0
	s_xor_b32 exec_lo, exec_lo, s0
	s_cbranch_execz .LBB15_80
; %bb.79:
	v_lshlrev_b64 v[3:4], 2, v[1:2]
	v_lshlrev_b64 v[1:2], 3, v[1:2]
	s_delay_alu instid0(VALU_DEP_2) | instskip(NEXT) | instid1(VALU_DEP_3)
	v_add_co_u32 v3, vcc_lo, s14, v3
	v_add_co_ci_u32_e32 v4, vcc_lo, s15, v4, vcc_lo
	s_delay_alu instid0(VALU_DEP_3) | instskip(NEXT) | instid1(VALU_DEP_4)
	v_add_co_u32 v1, vcc_lo, s16, v1
	v_add_co_ci_u32_e32 v2, vcc_lo, s17, v2, vcc_lo
	s_clause 0x3
	global_load_b32 v14, v[3:4], off
	global_load_b32 v15, v[3:4], off offset:1024
	global_load_b32 v17, v[3:4], off offset:2048
	;; [unrolled: 1-line block ×3, first 2 shown]
	v_add_co_u32 v3, vcc_lo, 0x1000, v1
	v_add_co_ci_u32_e32 v4, vcc_lo, 0, v2, vcc_lo
	s_clause 0x3
	global_load_b64 v[9:10], v[1:2], off
	global_load_b64 v[1:2], v[1:2], off offset:2048
	global_load_b64 v[12:13], v[3:4], off
	global_load_b64 v[3:4], v[3:4], off offset:2048
	s_waitcnt vmcnt(7)
	v_subrev_nc_u32_e32 v14, s30, v14
	s_waitcnt vmcnt(6)
	v_subrev_nc_u32_e32 v16, s30, v15
	;; [unrolled: 2-line block ×4, first 2 shown]
	v_ashrrev_i32_e32 v15, 31, v14
	v_ashrrev_i32_e32 v17, 31, v16
	;; [unrolled: 1-line block ×3, first 2 shown]
	s_delay_alu instid0(VALU_DEP_4)
	v_ashrrev_i32_e32 v21, 31, v20
	s_waitcnt vmcnt(3)
	v_mul_f64 v[9:10], v[7:8], v[9:10]
	v_lshlrev_b64 v[14:15], 3, v[14:15]
	v_lshlrev_b64 v[16:17], 3, v[16:17]
	;; [unrolled: 1-line block ×4, first 2 shown]
	s_waitcnt vmcnt(2)
	v_mul_f64 v[1:2], v[7:8], v[1:2]
	s_waitcnt vmcnt(1)
	v_mul_f64 v[12:13], v[7:8], v[12:13]
	v_add_co_u32 v14, vcc_lo, s18, v14
	v_add_co_ci_u32_e32 v15, vcc_lo, s19, v15, vcc_lo
	v_add_co_u32 v16, vcc_lo, s18, v16
	v_add_co_ci_u32_e32 v17, vcc_lo, s19, v17, vcc_lo
	;; [unrolled: 2-line block ×4, first 2 shown]
	s_clause 0x3
	global_load_b64 v[14:15], v[14:15], off
	global_load_b64 v[16:17], v[16:17], off
	;; [unrolled: 1-line block ×4, first 2 shown]
	s_waitcnt vmcnt(4)
	v_mul_f64 v[3:4], v[7:8], v[3:4]
	s_waitcnt vmcnt(3)
	v_mul_f64 v[7:8], v[9:10], v[14:15]
	;; [unrolled: 2-line block ×4, first 2 shown]
	s_waitcnt vmcnt(0)
	s_delay_alu instid0(VALU_DEP_4)
	v_mul_f64 v[3:4], v[3:4], v[20:21]
	ds_store_2addr_stride64_b64 v11, v[7:8], v[1:2] offset1:4
	ds_store_2addr_stride64_b64 v11, v[9:10], v[3:4] offset0:8 offset1:12
.LBB15_80:
	s_or_b32 exec_lo, exec_lo, s0
	s_cmp_lt_i32 s31, 2
	s_mov_b32 s0, -1
	s_waitcnt lgkmcnt(0)
	s_waitcnt_vscnt null, 0x0
	s_barrier
	buffer_gl0_inv
	s_cbranch_scc0 .LBB15_91
; %bb.81:
	v_add_co_u32 v7, s0, s20, v0
	s_delay_alu instid0(VALU_DEP_1) | instskip(SKIP_1) | instid1(VALU_DEP_1)
	v_add_co_ci_u32_e64 v8, null, s21, 0, s0
	s_mov_b32 s2, exec_lo
	v_cmpx_gt_i64_e64 s[22:23], v[7:8]
	s_cbranch_execz .LBB15_90
; %bb.82:
	v_cmp_neq_f64_e32 vcc_lo, 0, v[5:6]
	s_lshl_b32 s0, s28, 3
	s_mov_b32 s3, 0
	s_sub_i32 s4, 0, s0
	s_branch .LBB15_84
.LBB15_83:                              ;   in Loop: Header=BB15_84 Depth=1
	s_or_b32 exec_lo, exec_lo, s1
	v_add_co_u32 v7, s0, 0x100, v7
	s_delay_alu instid0(VALU_DEP_1) | instskip(SKIP_1) | instid1(VALU_DEP_1)
	v_add_co_ci_u32_e64 v8, s0, 0, v8, s0
	v_add_co_u32 v9, s1, s24, v9
	v_add_co_ci_u32_e64 v10, s1, s25, v10, s1
	s_delay_alu instid0(VALU_DEP_3) | instskip(SKIP_2) | instid1(SALU_CYCLE_1)
	v_cmp_le_i64_e64 s0, s[22:23], v[7:8]
	global_store_b64 v[9:10], v[2:3], off
	s_or_b32 s3, s0, s3
	s_and_not1_b32 exec_lo, exec_lo, s3
	s_cbranch_execz .LBB15_90
.LBB15_84:                              ; =>This Loop Header: Depth=1
                                        ;     Child Loop BB15_86 Depth 2
	v_lshlrev_b64 v[9:10], 3, v[7:8]
	s_mov_b32 s1, exec_lo
	s_delay_alu instid0(VALU_DEP_1) | instskip(NEXT) | instid1(VALU_DEP_1)
	v_add_co_u32 v1, s0, s12, v9
	v_add_co_ci_u32_e64 v2, s0, s13, v10, s0
	global_load_b128 v[1:4], v[1:2], off
	s_waitcnt vmcnt(0)
	v_subrev_nc_u32_e32 v12, s28, v3
	v_mov_b32_e32 v2, 0
	v_subrev_nc_u32_e32 v4, s28, v1
	v_mov_b32_e32 v3, 0
	s_delay_alu instid0(VALU_DEP_2)
	v_cmpx_lt_i32_e64 v4, v12
	s_cbranch_execz .LBB15_88
; %bb.85:                               ;   in Loop: Header=BB15_84 Depth=1
	v_mov_b32_e32 v2, 0
	v_mov_b32_e32 v3, 0
	v_lshl_add_u32 v1, v1, 3, s4
	s_mov_b32 s5, 0
.LBB15_86:                              ;   Parent Loop BB15_84 Depth=1
                                        ; =>  This Inner Loop Header: Depth=2
	ds_load_b64 v[13:14], v1
	v_add_nc_u32_e32 v4, 1, v4
	v_add_nc_u32_e32 v1, 8, v1
	s_delay_alu instid0(VALU_DEP_2) | instskip(NEXT) | instid1(VALU_DEP_1)
	v_cmp_ge_i32_e64 s0, v4, v12
	s_or_b32 s5, s0, s5
	s_waitcnt lgkmcnt(0)
	v_add_f64 v[2:3], v[2:3], v[13:14]
	s_and_not1_b32 exec_lo, exec_lo, s5
	s_cbranch_execnz .LBB15_86
; %bb.87:                               ;   in Loop: Header=BB15_84 Depth=1
	s_or_b32 exec_lo, exec_lo, s5
.LBB15_88:                              ;   in Loop: Header=BB15_84 Depth=1
	s_delay_alu instid0(SALU_CYCLE_1)
	s_or_b32 exec_lo, exec_lo, s1
	s_and_saveexec_b32 s1, vcc_lo
	s_cbranch_execz .LBB15_83
; %bb.89:                               ;   in Loop: Header=BB15_84 Depth=1
	v_add_co_u32 v12, s0, s24, v9
	s_delay_alu instid0(VALU_DEP_1)
	v_add_co_ci_u32_e64 v13, s0, s25, v10, s0
	global_load_b64 v[12:13], v[12:13], off
	s_waitcnt vmcnt(0)
	v_fma_f64 v[2:3], v[5:6], v[12:13], v[2:3]
	s_branch .LBB15_83
.LBB15_90:
	s_or_b32 exec_lo, exec_lo, s2
	s_mov_b32 s0, 0
.LBB15_91:
	s_delay_alu instid0(SALU_CYCLE_1)
	s_and_not1_b32 vcc_lo, exec_lo, s0
	s_cbranch_vccnz .LBB15_116
; %bb.92:
	s_clz_i32_u32 s0, s31
	s_add_i32 s1, s31, -1
	s_xor_b32 s0, s0, 31
	v_mov_b32_e32 v3, 0
	v_lshrrev_b32_e32 v7, s0, v0
	v_and_b32_e32 v0, s1, v0
	v_mov_b32_e32 v4, 0
	s_mov_b32 s1, exec_lo
	s_delay_alu instid0(VALU_DEP_3) | instskip(NEXT) | instid1(VALU_DEP_1)
	v_add_co_u32 v1, s0, s20, v7
	v_add_co_ci_u32_e64 v2, null, s21, 0, s0
	s_delay_alu instid0(VALU_DEP_1)
	v_cmp_le_i64_e32 vcc_lo, s[22:23], v[1:2]
	v_cmpx_gt_i64_e64 s[22:23], v[1:2]
	s_cbranch_execz .LBB15_98
; %bb.93:
	v_lshlrev_b32_e32 v3, 3, v7
	s_mov_b32 s2, exec_lo
	s_clause 0x1
	global_load_b32 v4, v3, s[26:27]
	global_load_b32 v3, v3, s[26:27] offset:8
	s_waitcnt vmcnt(1)
	v_subrev_nc_u32_e32 v4, s28, v4
	s_waitcnt vmcnt(0)
	v_subrev_nc_u32_e32 v7, s28, v3
	s_delay_alu instid0(VALU_DEP_2) | instskip(SKIP_1) | instid1(VALU_DEP_2)
	v_dual_mov_b32 v3, 0 :: v_dual_add_nc_u32 v8, v0, v4
	v_mov_b32_e32 v4, 0
	v_cmpx_lt_i32_e64 v8, v7
	s_cbranch_execz .LBB15_97
; %bb.94:
	v_mov_b32_e32 v3, 0
	v_dual_mov_b32 v4, 0 :: v_dual_lshlrev_b32 v9, 3, v8
	s_lshl_b32 s4, s31, 3
	s_mov_b32 s3, 0
.LBB15_95:                              ; =>This Inner Loop Header: Depth=1
	ds_load_b64 v[12:13], v9
	v_add_nc_u32_e32 v8, s31, v8
	v_add_nc_u32_e32 v9, s4, v9
	s_delay_alu instid0(VALU_DEP_2) | instskip(NEXT) | instid1(VALU_DEP_1)
	v_cmp_ge_i32_e64 s0, v8, v7
	s_or_b32 s3, s0, s3
	s_waitcnt lgkmcnt(0)
	v_add_f64 v[3:4], v[3:4], v[12:13]
	s_and_not1_b32 exec_lo, exec_lo, s3
	s_cbranch_execnz .LBB15_95
; %bb.96:
	s_or_b32 exec_lo, exec_lo, s3
.LBB15_97:
	s_delay_alu instid0(SALU_CYCLE_1)
	s_or_b32 exec_lo, exec_lo, s2
.LBB15_98:
	s_delay_alu instid0(SALU_CYCLE_1)
	s_or_b32 exec_lo, exec_lo, s1
	s_cmpk_lt_i32 s31, 0x81
	s_waitcnt_vscnt null, 0x0
	s_barrier
	buffer_gl0_inv
	ds_store_b64 v11, v[3:4]
	s_waitcnt lgkmcnt(0)
	s_barrier
	buffer_gl0_inv
	s_cbranch_scc1 .LBB15_100
; %bb.99:
	ds_load_b64 v[7:8], v11 offset:1024
	s_waitcnt lgkmcnt(0)
	s_barrier
	buffer_gl0_inv
	v_add_f64 v[3:4], v[3:4], v[7:8]
	ds_store_b64 v11, v[3:4]
.LBB15_100:
	s_cmpk_lt_i32 s31, 0x41
	s_waitcnt lgkmcnt(0)
	s_barrier
	buffer_gl0_inv
	s_cbranch_scc1 .LBB15_102
; %bb.101:
	ds_load_b64 v[7:8], v11 offset:512
	s_waitcnt lgkmcnt(0)
	s_barrier
	buffer_gl0_inv
	v_add_f64 v[3:4], v[3:4], v[7:8]
	ds_store_b64 v11, v[3:4]
.LBB15_102:
	s_cmp_lt_i32 s31, 33
	s_waitcnt lgkmcnt(0)
	s_barrier
	buffer_gl0_inv
	s_cbranch_scc1 .LBB15_104
; %bb.103:
	ds_load_b64 v[7:8], v11 offset:256
	s_waitcnt lgkmcnt(0)
	s_barrier
	buffer_gl0_inv
	v_add_f64 v[3:4], v[3:4], v[7:8]
	ds_store_b64 v11, v[3:4]
.LBB15_104:
	s_cmp_lt_i32 s31, 17
	;; [unrolled: 13-line block ×4, first 2 shown]
	s_waitcnt lgkmcnt(0)
	s_barrier
	buffer_gl0_inv
	s_cbranch_scc1 .LBB15_110
; %bb.109:
	ds_load_b64 v[7:8], v11 offset:32
	s_waitcnt lgkmcnt(0)
	s_barrier
	buffer_gl0_inv
	v_add_f64 v[3:4], v[3:4], v[7:8]
	ds_store_b64 v11, v[3:4]
.LBB15_110:
	s_cmp_eq_u32 s31, 2
	s_waitcnt lgkmcnt(0)
	s_barrier
	buffer_gl0_inv
	s_cbranch_scc1 .LBB15_112
; %bb.111:
	ds_load_b64 v[7:8], v11 offset:16
	s_waitcnt lgkmcnt(0)
	s_barrier
	buffer_gl0_inv
	v_add_f64 v[3:4], v[3:4], v[7:8]
	ds_store_b64 v11, v[3:4]
.LBB15_112:
	s_waitcnt lgkmcnt(0)
	s_barrier
	buffer_gl0_inv
	ds_load_b64 v[7:8], v11 offset:8
	v_cmp_eq_u32_e64 s0, 0, v0
	s_xor_b32 s1, vcc_lo, -1
	s_waitcnt lgkmcnt(0)
	s_barrier
	buffer_gl0_inv
	s_and_b32 s0, s0, s1
	v_add_f64 v[3:4], v[3:4], v[7:8]
	ds_store_b64 v11, v[3:4]
	s_and_b32 exec_lo, exec_lo, s0
	s_cbranch_execz .LBB15_116
; %bb.113:
	v_lshlrev_b64 v[0:1], 3, v[1:2]
	s_mov_b32 s0, exec_lo
	v_cmpx_neq_f64_e32 0, v[5:6]
	s_cbranch_execz .LBB15_115
; %bb.114:
	s_delay_alu instid0(VALU_DEP_2) | instskip(NEXT) | instid1(VALU_DEP_3)
	v_add_co_u32 v7, vcc_lo, s24, v0
	v_add_co_ci_u32_e32 v8, vcc_lo, s25, v1, vcc_lo
	global_load_b64 v[7:8], v[7:8], off
	s_waitcnt vmcnt(0)
	v_fma_f64 v[3:4], v[5:6], v[7:8], v[3:4]
.LBB15_115:
	s_or_b32 exec_lo, exec_lo, s0
	s_delay_alu instid0(VALU_DEP_2)
	v_add_co_u32 v0, vcc_lo, s24, v0
	v_add_co_ci_u32_e32 v1, vcc_lo, s25, v1, vcc_lo
	global_store_b64 v[0:1], v[3:4], off
.LBB15_116:
	s_nop 0
	s_sendmsg sendmsg(MSG_DEALLOC_VGPRS)
	s_endpgm
	.section	.rodata,"a",@progbits
	.p2align	6, 0x0
	.amdhsa_kernel _ZN9rocsparseL22csrmvn_adaptive_kernelIliddddEEvbT_PKS1_PjPKT0_NS_24const_host_device_scalarIT4_EES3_S7_PKT1_PKT2_SA_PT3_21rocsparse_index_base_b
		.amdhsa_group_segment_fixed_size 8192
		.amdhsa_private_segment_fixed_size 0
		.amdhsa_kernarg_size 104
		.amdhsa_user_sgpr_count 15
		.amdhsa_user_sgpr_dispatch_ptr 0
		.amdhsa_user_sgpr_queue_ptr 0
		.amdhsa_user_sgpr_kernarg_segment_ptr 1
		.amdhsa_user_sgpr_dispatch_id 0
		.amdhsa_user_sgpr_private_segment_size 0
		.amdhsa_wavefront_size32 1
		.amdhsa_uses_dynamic_stack 0
		.amdhsa_enable_private_segment 0
		.amdhsa_system_sgpr_workgroup_id_x 1
		.amdhsa_system_sgpr_workgroup_id_y 0
		.amdhsa_system_sgpr_workgroup_id_z 0
		.amdhsa_system_sgpr_workgroup_info 0
		.amdhsa_system_vgpr_workitem_id 0
		.amdhsa_next_free_vgpr 22
		.amdhsa_next_free_sgpr 50
		.amdhsa_reserve_vcc 1
		.amdhsa_float_round_mode_32 0
		.amdhsa_float_round_mode_16_64 0
		.amdhsa_float_denorm_mode_32 3
		.amdhsa_float_denorm_mode_16_64 3
		.amdhsa_dx10_clamp 1
		.amdhsa_ieee_mode 1
		.amdhsa_fp16_overflow 0
		.amdhsa_workgroup_processor_mode 1
		.amdhsa_memory_ordered 1
		.amdhsa_forward_progress 0
		.amdhsa_shared_vgpr_count 0
		.amdhsa_exception_fp_ieee_invalid_op 0
		.amdhsa_exception_fp_denorm_src 0
		.amdhsa_exception_fp_ieee_div_zero 0
		.amdhsa_exception_fp_ieee_overflow 0
		.amdhsa_exception_fp_ieee_underflow 0
		.amdhsa_exception_fp_ieee_inexact 0
		.amdhsa_exception_int_div_zero 0
	.end_amdhsa_kernel
	.section	.text._ZN9rocsparseL22csrmvn_adaptive_kernelIliddddEEvbT_PKS1_PjPKT0_NS_24const_host_device_scalarIT4_EES3_S7_PKT1_PKT2_SA_PT3_21rocsparse_index_base_b,"axG",@progbits,_ZN9rocsparseL22csrmvn_adaptive_kernelIliddddEEvbT_PKS1_PjPKT0_NS_24const_host_device_scalarIT4_EES3_S7_PKT1_PKT2_SA_PT3_21rocsparse_index_base_b,comdat
.Lfunc_end15:
	.size	_ZN9rocsparseL22csrmvn_adaptive_kernelIliddddEEvbT_PKS1_PjPKT0_NS_24const_host_device_scalarIT4_EES3_S7_PKT1_PKT2_SA_PT3_21rocsparse_index_base_b, .Lfunc_end15-_ZN9rocsparseL22csrmvn_adaptive_kernelIliddddEEvbT_PKS1_PjPKT0_NS_24const_host_device_scalarIT4_EES3_S7_PKT1_PKT2_SA_PT3_21rocsparse_index_base_b
                                        ; -- End function
	.section	.AMDGPU.csdata,"",@progbits
; Kernel info:
; codeLenInByte = 4860
; NumSgprs: 52
; NumVgprs: 22
; ScratchSize: 0
; MemoryBound: 0
; FloatMode: 240
; IeeeMode: 1
; LDSByteSize: 8192 bytes/workgroup (compile time only)
; SGPRBlocks: 6
; VGPRBlocks: 2
; NumSGPRsForWavesPerEU: 52
; NumVGPRsForWavesPerEU: 22
; Occupancy: 16
; WaveLimiterHint : 1
; COMPUTE_PGM_RSRC2:SCRATCH_EN: 0
; COMPUTE_PGM_RSRC2:USER_SGPR: 15
; COMPUTE_PGM_RSRC2:TRAP_HANDLER: 0
; COMPUTE_PGM_RSRC2:TGID_X_EN: 1
; COMPUTE_PGM_RSRC2:TGID_Y_EN: 0
; COMPUTE_PGM_RSRC2:TGID_Z_EN: 0
; COMPUTE_PGM_RSRC2:TIDIG_COMP_CNT: 0
	.section	.text._ZN9rocsparseL27csrmvn_symm_adaptive_kernelIliddddEEvbT_S1_PKS1_NS_24const_host_device_scalarIT4_EES3_PKT0_PKT1_PKT2_S6_PT3_21rocsparse_index_base_b,"axG",@progbits,_ZN9rocsparseL27csrmvn_symm_adaptive_kernelIliddddEEvbT_S1_PKS1_NS_24const_host_device_scalarIT4_EES3_PKT0_PKT1_PKT2_S6_PT3_21rocsparse_index_base_b,comdat
	.globl	_ZN9rocsparseL27csrmvn_symm_adaptive_kernelIliddddEEvbT_S1_PKS1_NS_24const_host_device_scalarIT4_EES3_PKT0_PKT1_PKT2_S6_PT3_21rocsparse_index_base_b ; -- Begin function _ZN9rocsparseL27csrmvn_symm_adaptive_kernelIliddddEEvbT_S1_PKS1_NS_24const_host_device_scalarIT4_EES3_PKT0_PKT1_PKT2_S6_PT3_21rocsparse_index_base_b
	.p2align	8
	.type	_ZN9rocsparseL27csrmvn_symm_adaptive_kernelIliddddEEvbT_S1_PKS1_NS_24const_host_device_scalarIT4_EES3_PKT0_PKT1_PKT2_S6_PT3_21rocsparse_index_base_b,@function
_ZN9rocsparseL27csrmvn_symm_adaptive_kernelIliddddEEvbT_S1_PKS1_NS_24const_host_device_scalarIT4_EES3_PKT0_PKT1_PKT2_S6_PT3_21rocsparse_index_base_b: ; @_ZN9rocsparseL27csrmvn_symm_adaptive_kernelIliddddEEvbT_S1_PKS1_NS_24const_host_device_scalarIT4_EES3_PKT0_PKT1_PKT2_S6_PT3_21rocsparse_index_base_b
; %bb.0:
	s_clause 0x2
	s_load_b64 s[24:25], s[0:1], 0x58
	s_load_b64 s[6:7], s[0:1], 0x20
	;; [unrolled: 1-line block ×3, first 2 shown]
	s_mov_b32 s4, s15
	s_waitcnt lgkmcnt(0)
	s_bitcmp1_b32 s25, 0
	v_dual_mov_b32 v11, s7 :: v_dual_mov_b32 v10, s6
	s_cselect_b32 s5, -1, 0
	s_delay_alu instid0(SALU_CYCLE_1)
	s_and_b32 vcc_lo, exec_lo, s5
	s_xor_b32 s5, s5, -1
	s_cbranch_vccnz .LBB16_2
; %bb.1:
	v_dual_mov_b32 v1, s6 :: v_dual_mov_b32 v2, s7
	flat_load_b64 v[10:11], v[1:2]
.LBB16_2:
	v_dual_mov_b32 v1, s2 :: v_dual_mov_b32 v2, s3
	s_and_not1_b32 vcc_lo, exec_lo, s5
	s_cbranch_vccnz .LBB16_4
; %bb.3:
	v_dual_mov_b32 v1, s2 :: v_dual_mov_b32 v2, s3
	flat_load_b64 v[1:2], v[1:2]
.LBB16_4:
	s_waitcnt vmcnt(0) lgkmcnt(0)
	v_cmp_neq_f64_e32 vcc_lo, 0, v[10:11]
	v_cmp_neq_f64_e64 s2, 1.0, v[1:2]
	s_delay_alu instid0(VALU_DEP_1) | instskip(NEXT) | instid1(SALU_CYCLE_1)
	s_or_b32 s2, vcc_lo, s2
	s_and_saveexec_b32 s3, s2
	s_cbranch_execz .LBB16_180
; %bb.5:
	s_load_b64 s[2:3], s[0:1], 0x18
	s_mov_b32 s6, 0
	s_ashr_i32 s5, s4, 31
	s_mov_b32 s7, s6
	v_dual_mov_b32 v1, s6 :: v_dual_lshlrev_b32 v18, 3, v0
	v_mov_b32_e32 v2, s7
	s_lshl_b64 s[4:5], s[4:5], 3
	ds_store_2addr_stride64_b64 v18, v[1:2], v[1:2] offset1:4
	ds_store_2addr_stride64_b64 v18, v[1:2], v[1:2] offset0:8 offset1:12
	s_waitcnt lgkmcnt(0)
	s_barrier
	buffer_gl0_inv
	s_add_u32 s2, s2, s4
	s_addc_u32 s3, s3, s5
	s_load_b128 s[16:19], s[2:3], 0x0
	s_clause 0x1
	s_load_b256 s[8:15], s[0:1], 0x28
	s_load_b64 s[20:21], s[0:1], 0x50
	s_waitcnt lgkmcnt(0)
	s_sub_u32 s22, s18, s16
	s_subb_u32 s23, s19, s17
	s_delay_alu instid0(SALU_CYCLE_1) | instskip(NEXT) | instid1(VALU_DEP_1)
	v_cmp_gt_i64_e64 s2, s[22:23], 2
	s_and_b32 vcc_lo, exec_lo, s2
	s_mov_b32 s2, -1
	s_cbranch_vccnz .LBB16_43
; %bb.6:
	v_cmp_gt_i64_e64 s2, s[18:19], s[16:17]
	v_sub_co_u32 v9, s3, v0, s24
	s_delay_alu instid0(VALU_DEP_1) | instskip(NEXT) | instid1(VALU_DEP_3)
	v_sub_co_ci_u32_e64 v12, null, 0, 0, s3
	s_and_b32 vcc_lo, exec_lo, s2
	s_cbranch_vccnz .LBB16_8
; %bb.7:
	s_lshl_b64 s[2:3], s[16:17], 3
	s_delay_alu instid0(SALU_CYCLE_1)
	s_add_u32 s2, s8, s2
	s_addc_u32 s3, s9, s3
	s_load_b64 s[26:27], s[2:3], 0x0
	s_cbranch_execz .LBB16_9
	s_branch .LBB16_32
.LBB16_8:
                                        ; implicit-def: $sgpr26_sgpr27
.LBB16_9:
	s_lshl_b64 s[2:3], s[16:17], 3
	v_cmp_gt_u32_e64 s4, 16, v0
	s_add_u32 s2, s8, s2
	s_addc_u32 s3, s9, s3
	v_cmp_gt_u32_e64 s5, 4, v0
	s_waitcnt lgkmcnt(0)
	s_load_b64 s[26:27], s[2:3], 0x0
	v_cmp_gt_u32_e64 s2, 0x100, v0
	v_cmp_gt_u32_e64 s3, 64, v0
	v_cmp_eq_u32_e64 s6, 0, v0
	v_mov_b32_e32 v13, 0
	s_add_u32 s25, s8, 8
	s_addc_u32 s33, s9, 0
	s_mov_b64 s[28:29], s[16:17]
	s_waitcnt lgkmcnt(0)
	s_mov_b64 s[30:31], s[26:27]
	s_branch .LBB16_11
.LBB16_10:                              ;   in Loop: Header=BB16_11 Depth=1
	s_or_b32 exec_lo, exec_lo, s7
	s_add_u32 s28, s28, 1
	s_addc_u32 s29, s29, 0
	s_delay_alu instid0(SALU_CYCLE_1) | instskip(NEXT) | instid1(VALU_DEP_1)
	v_cmp_ge_i64_e64 s7, s[28:29], s[18:19]
	s_and_b32 vcc_lo, exec_lo, s7
	s_cbranch_vccnz .LBB16_32
.LBB16_11:                              ; =>This Loop Header: Depth=1
                                        ;     Child Loop BB16_13 Depth 2
                                        ;     Child Loop BB16_27 Depth 2
	;; [unrolled: 1-line block ×3, first 2 shown]
	s_lshl_b64 s[34:35], s[28:29], 3
	s_mov_b64 s[38:39], s[30:31]
	s_add_u32 s36, s25, s34
	s_addc_u32 s37, s33, s35
	v_add_co_u32 v1, vcc_lo, s38, v9
	s_load_b64 s[30:31], s[36:37], 0x0
	v_mov_b32_e32 v3, 0
	v_add_co_ci_u32_e32 v2, vcc_lo, s39, v12, vcc_lo
	v_mov_b32_e32 v4, 0
	s_mov_b32 s38, exec_lo
	s_waitcnt lgkmcnt(0)
	s_sub_u32 s36, s30, s24
	s_subb_u32 s37, s31, 0
	s_delay_alu instid0(SALU_CYCLE_1)
	v_cmpx_gt_i64_e64 s[36:37], v[1:2]
	s_cbranch_execz .LBB16_15
; %bb.12:                               ;   in Loop: Header=BB16_11 Depth=1
	v_lshlrev_b64 v[5:6], 2, v[1:2]
	v_lshlrev_b64 v[7:8], 3, v[1:2]
	v_mov_b32_e32 v3, 0
	v_mov_b32_e32 v4, 0
	s_mov_b32 s39, 0
	s_delay_alu instid0(VALU_DEP_4)
	v_add_co_u32 v5, vcc_lo, s10, v5
	v_add_co_ci_u32_e32 v6, vcc_lo, s11, v6, vcc_lo
	v_add_co_u32 v7, vcc_lo, s12, v7
	v_add_co_ci_u32_e32 v8, vcc_lo, s13, v8, vcc_lo
	.p2align	6
.LBB16_13:                              ;   Parent Loop BB16_11 Depth=1
                                        ; =>  This Inner Loop Header: Depth=2
	global_load_b32 v14, v[5:6], off
	s_waitcnt vmcnt(0)
	v_subrev_nc_u32_e32 v14, s24, v14
	s_delay_alu instid0(VALU_DEP_1) | instskip(NEXT) | instid1(VALU_DEP_1)
	v_ashrrev_i32_e32 v15, 31, v14
	v_lshlrev_b64 v[14:15], 3, v[14:15]
	s_delay_alu instid0(VALU_DEP_1) | instskip(NEXT) | instid1(VALU_DEP_2)
	v_add_co_u32 v14, vcc_lo, s14, v14
	v_add_co_ci_u32_e32 v15, vcc_lo, s15, v15, vcc_lo
	v_add_co_u32 v1, vcc_lo, 0x100, v1
	global_load_b64 v[16:17], v[7:8], off
	global_load_b64 v[14:15], v[14:15], off
	v_add_co_ci_u32_e32 v2, vcc_lo, 0, v2, vcc_lo
	v_add_co_u32 v5, vcc_lo, 0x400, v5
	v_add_co_ci_u32_e32 v6, vcc_lo, 0, v6, vcc_lo
	s_delay_alu instid0(VALU_DEP_3) | instskip(SKIP_1) | instid1(VALU_DEP_1)
	v_cmp_le_i64_e32 vcc_lo, s[36:37], v[1:2]
	v_add_co_u32 v7, s7, 0x800, v7
	v_add_co_ci_u32_e64 v8, s7, 0, v8, s7
	s_or_b32 s39, vcc_lo, s39
	s_waitcnt vmcnt(0)
	v_fma_f64 v[3:4], v[16:17], v[14:15], v[3:4]
	s_and_not1_b32 exec_lo, exec_lo, s39
	s_cbranch_execnz .LBB16_13
; %bb.14:                               ;   in Loop: Header=BB16_11 Depth=1
	s_or_b32 exec_lo, exec_lo, s39
.LBB16_15:                              ;   in Loop: Header=BB16_11 Depth=1
	s_delay_alu instid0(SALU_CYCLE_1)
	s_or_b32 exec_lo, exec_lo, s38
	ds_store_b64 v18, v[3:4]
	s_waitcnt lgkmcnt(0)
	s_barrier
	buffer_gl0_inv
	s_and_saveexec_b32 s7, s2
	s_cbranch_execz .LBB16_17
; %bb.16:                               ;   in Loop: Header=BB16_11 Depth=1
	ds_load_2addr_stride64_b64 v[1:4], v18 offset1:4
	ds_load_2addr_stride64_b64 v[5:8], v18 offset0:8 offset1:12
	s_waitcnt lgkmcnt(0)
	v_add_f64 v[3:4], v[3:4], v[5:6]
	s_delay_alu instid0(VALU_DEP_1) | instskip(NEXT) | instid1(VALU_DEP_1)
	v_add_f64 v[3:4], v[3:4], v[7:8]
	v_add_f64 v[1:2], v[1:2], v[3:4]
	ds_store_b64 v18, v[1:2]
.LBB16_17:                              ;   in Loop: Header=BB16_11 Depth=1
	s_or_b32 exec_lo, exec_lo, s7
	s_waitcnt lgkmcnt(0)
	s_barrier
	buffer_gl0_inv
	s_and_saveexec_b32 s7, s3
	s_cbranch_execz .LBB16_19
; %bb.18:                               ;   in Loop: Header=BB16_11 Depth=1
	ds_load_2addr_stride64_b64 v[1:4], v18 offset1:1
	ds_load_2addr_stride64_b64 v[5:8], v18 offset0:2 offset1:3
	s_waitcnt lgkmcnt(0)
	v_add_f64 v[3:4], v[3:4], v[5:6]
	s_delay_alu instid0(VALU_DEP_1) | instskip(NEXT) | instid1(VALU_DEP_1)
	v_add_f64 v[3:4], v[3:4], v[7:8]
	v_add_f64 v[1:2], v[1:2], v[3:4]
	ds_store_b64 v18, v[1:2]
.LBB16_19:                              ;   in Loop: Header=BB16_11 Depth=1
	s_or_b32 exec_lo, exec_lo, s7
	s_waitcnt lgkmcnt(0)
	s_barrier
	buffer_gl0_inv
	s_and_saveexec_b32 s7, s4
	s_cbranch_execz .LBB16_21
; %bb.20:                               ;   in Loop: Header=BB16_11 Depth=1
	ds_load_2addr_b64 v[1:4], v18 offset1:16
	ds_load_2addr_b64 v[5:8], v18 offset0:32 offset1:48
	s_waitcnt lgkmcnt(0)
	v_add_f64 v[3:4], v[3:4], v[5:6]
	s_delay_alu instid0(VALU_DEP_1) | instskip(NEXT) | instid1(VALU_DEP_1)
	v_add_f64 v[3:4], v[3:4], v[7:8]
	v_add_f64 v[1:2], v[1:2], v[3:4]
	ds_store_b64 v18, v[1:2]
.LBB16_21:                              ;   in Loop: Header=BB16_11 Depth=1
	s_or_b32 exec_lo, exec_lo, s7
	s_waitcnt lgkmcnt(0)
	s_barrier
	buffer_gl0_inv
	s_and_saveexec_b32 s7, s5
	s_cbranch_execz .LBB16_23
; %bb.22:                               ;   in Loop: Header=BB16_11 Depth=1
	ds_load_2addr_b64 v[1:4], v18 offset1:4
	ds_load_2addr_b64 v[5:8], v18 offset0:8 offset1:12
	s_waitcnt lgkmcnt(0)
	v_add_f64 v[3:4], v[3:4], v[5:6]
	s_delay_alu instid0(VALU_DEP_1) | instskip(NEXT) | instid1(VALU_DEP_1)
	v_add_f64 v[3:4], v[3:4], v[7:8]
	v_add_f64 v[1:2], v[1:2], v[3:4]
	ds_store_b64 v18, v[1:2]
.LBB16_23:                              ;   in Loop: Header=BB16_11 Depth=1
	s_or_b32 exec_lo, exec_lo, s7
	s_waitcnt lgkmcnt(0)
	s_barrier
	buffer_gl0_inv
	s_and_saveexec_b32 s7, s6
	s_cbranch_execz .LBB16_25
; %bb.24:                               ;   in Loop: Header=BB16_11 Depth=1
	ds_load_2addr_b64 v[1:4], v13 offset0:1 offset1:2
	ds_load_b64 v[5:6], v18
	s_waitcnt lgkmcnt(1)
	v_add_f64 v[1:2], v[1:2], v[3:4]
	ds_load_b64 v[3:4], v13 offset:24
	s_waitcnt lgkmcnt(0)
	v_add_f64 v[1:2], v[1:2], v[3:4]
	s_delay_alu instid0(VALU_DEP_1)
	v_add_f64 v[1:2], v[5:6], v[1:2]
	ds_store_b64 v18, v[1:2]
.LBB16_25:                              ;   in Loop: Header=BB16_11 Depth=1
	s_or_b32 exec_lo, exec_lo, s7
	s_waitcnt lgkmcnt(0)
	s_barrier
	buffer_gl0_inv
	s_and_saveexec_b32 s7, s6
	s_cbranch_execz .LBB16_10
; %bb.26:                               ;   in Loop: Header=BB16_11 Depth=1
	ds_load_b64 v[1:2], v13
	v_mov_b32_e32 v5, 0
	v_bfrev_b32_e32 v6, 1
	s_mov_b32 s36, exec_lo
	s_waitcnt lgkmcnt(0)
	v_mul_f64 v[1:2], v[10:11], v[1:2]
.LBB16_27:                              ;   Parent Loop BB16_11 Depth=1
                                        ; =>  This Inner Loop Header: Depth=2
	s_ctz_i32_b32 s37, s36
	s_delay_alu instid0(VALU_DEP_1) | instid1(SALU_CYCLE_1)
	v_readlane_b32 s39, v2, s37
	s_delay_alu instid0(VALU_DEP_2) | instskip(SKIP_1) | instid1(SALU_CYCLE_1)
	v_readlane_b32 s38, v1, s37
	s_lshl_b32 s37, 1, s37
	s_and_not1_b32 s36, s36, s37
	s_delay_alu instid0(VALU_DEP_1)
	v_add_f64 v[5:6], v[5:6], s[38:39]
	s_cmp_lg_u32 s36, 0
	s_cbranch_scc1 .LBB16_27
; %bb.28:                               ;   in Loop: Header=BB16_11 Depth=1
	v_mbcnt_lo_u32_b32 v1, exec_lo, 0
	s_mov_b32 s36, exec_lo
	s_delay_alu instid0(VALU_DEP_1)
	v_cmpx_eq_u32_e32 0, v1
	s_xor_b32 s36, exec_lo, s36
	s_cbranch_execz .LBB16_10
; %bb.29:                               ;   in Loop: Header=BB16_11 Depth=1
	s_add_u32 s34, s20, s34
	s_addc_u32 s35, s21, s35
	s_mov_b32 s36, 0
	global_load_b64 v[3:4], v13, s[34:35]
.LBB16_30:                              ;   Parent Loop BB16_11 Depth=1
                                        ; =>  This Inner Loop Header: Depth=2
	s_waitcnt vmcnt(0)
	v_add_f64 v[1:2], v[3:4], v[5:6]
	global_atomic_cmpswap_b64 v[1:2], v13, v[1:4], s[34:35] glc
	s_waitcnt vmcnt(0)
	v_cmp_eq_u64_e32 vcc_lo, v[1:2], v[3:4]
	v_dual_mov_b32 v4, v2 :: v_dual_mov_b32 v3, v1
	s_or_b32 s36, vcc_lo, s36
	s_delay_alu instid0(SALU_CYCLE_1)
	s_and_not1_b32 exec_lo, exec_lo, s36
	s_cbranch_execnz .LBB16_30
; %bb.31:                               ;   in Loop: Header=BB16_11 Depth=1
	s_or_b32 exec_lo, exec_lo, s36
	s_branch .LBB16_10
.LBB16_32:
	s_lshl_b64 s[2:3], s[18:19], 3
	s_waitcnt lgkmcnt(0)
	v_add_co_u32 v5, vcc_lo, s26, v9
	s_add_u32 s2, s8, s2
	s_addc_u32 s3, s9, s3
	v_add_co_ci_u32_e32 v6, vcc_lo, s27, v12, vcc_lo
	s_load_b64 s[2:3], s[2:3], 0x0
	s_waitcnt lgkmcnt(0)
	s_sub_u32 s4, s2, s24
	s_subb_u32 s5, s3, 0
	s_mov_b32 s3, exec_lo
	v_cmpx_gt_i64_e64 s[4:5], v[5:6]
	s_cbranch_execz .LBB16_42
; %bb.33:
	s_add_u32 s6, s18, -1
	s_addc_u32 s7, s19, -1
	s_add_u32 s26, s18, -2
	v_cmp_gt_i64_e64 s2, s[6:7], s[16:17]
	s_addc_u32 s27, s19, -1
	s_delay_alu instid0(SALU_CYCLE_1)
	s_cmp_lg_u64 s[26:27], s[16:17]
	s_mov_b32 s26, 0
	s_cselect_b32 s25, -1, 0
	s_delay_alu instid0(VALU_DEP_1) | instid1(SALU_CYCLE_1)
	s_and_b32 s25, s2, s25
	s_branch .LBB16_35
.LBB16_34:                              ;   in Loop: Header=BB16_35 Depth=1
	s_or_b32 exec_lo, exec_lo, s2
	v_add_co_u32 v5, vcc_lo, 0x100, v5
	v_add_co_ci_u32_e32 v6, vcc_lo, 0, v6, vcc_lo
	s_delay_alu instid0(VALU_DEP_1) | instskip(SKIP_1) | instid1(SALU_CYCLE_1)
	v_cmp_le_i64_e32 vcc_lo, s[4:5], v[5:6]
	s_or_b32 s26, vcc_lo, s26
	s_and_not1_b32 exec_lo, exec_lo, s26
	s_cbranch_execz .LBB16_42
.LBB16_35:                              ; =>This Loop Header: Depth=1
                                        ;     Child Loop BB16_37 Depth 2
                                        ;     Child Loop BB16_41 Depth 2
	v_dual_mov_b32 v1, s16 :: v_dual_mov_b32 v2, s17
	v_dual_mov_b32 v3, s6 :: v_dual_mov_b32 v4, s7
	s_and_not1_b32 vcc_lo, exec_lo, s25
	s_cbranch_vccnz .LBB16_39
; %bb.36:                               ;   in Loop: Header=BB16_35 Depth=1
	v_dual_mov_b32 v1, s16 :: v_dual_mov_b32 v2, s17
	v_dual_mov_b32 v3, s6 :: v_dual_mov_b32 v4, s7
	s_mov_b32 s27, 0
	s_set_inst_prefetch_distance 0x1
	.p2align	6
.LBB16_37:                              ;   Parent Loop BB16_35 Depth=1
                                        ; =>  This Inner Loop Header: Depth=2
	s_delay_alu instid0(VALU_DEP_1) | instskip(NEXT) | instid1(VALU_DEP_2)
	v_add_co_u32 v7, vcc_lo, v3, v1
	v_add_co_ci_u32_e32 v8, vcc_lo, v4, v2, vcc_lo
	s_delay_alu instid0(VALU_DEP_1) | instskip(NEXT) | instid1(VALU_DEP_1)
	v_lshrrev_b32_e32 v9, 31, v8
	v_add_co_u32 v7, vcc_lo, v7, v9
	v_add_co_ci_u32_e32 v8, vcc_lo, 0, v8, vcc_lo
	s_delay_alu instid0(VALU_DEP_1) | instskip(NEXT) | instid1(VALU_DEP_1)
	v_ashrrev_i64 v[7:8], 1, v[7:8]
	v_lshlrev_b64 v[12:13], 3, v[7:8]
	s_delay_alu instid0(VALU_DEP_1) | instskip(NEXT) | instid1(VALU_DEP_2)
	v_add_co_u32 v12, vcc_lo, s8, v12
	v_add_co_ci_u32_e32 v13, vcc_lo, s9, v13, vcc_lo
	global_load_b64 v[12:13], v[12:13], off
	s_waitcnt vmcnt(0)
	v_sub_co_u32 v12, vcc_lo, v12, s24
	v_subrev_co_ci_u32_e32 v13, vcc_lo, 0, v13, vcc_lo
	s_delay_alu instid0(VALU_DEP_1) | instskip(SKIP_2) | instid1(VALU_DEP_2)
	v_cmp_gt_i64_e32 vcc_lo, v[12:13], v[5:6]
	v_dual_cndmask_b32 v4, v4, v8 :: v_dual_cndmask_b32 v3, v3, v7
	v_dual_cndmask_b32 v2, v8, v2 :: v_dual_cndmask_b32 v1, v7, v1
	v_add_co_u32 v7, vcc_lo, v3, -1
	s_delay_alu instid0(VALU_DEP_3) | instskip(NEXT) | instid1(VALU_DEP_3)
	v_add_co_ci_u32_e32 v8, vcc_lo, -1, v4, vcc_lo
	v_cmp_ge_i64_e32 vcc_lo, v[1:2], v[3:4]
	s_delay_alu instid0(VALU_DEP_2) | instskip(NEXT) | instid1(VALU_DEP_1)
	v_cmp_eq_u64_e64 s2, v[1:2], v[7:8]
	s_or_b32 s2, vcc_lo, s2
	s_delay_alu instid0(SALU_CYCLE_1) | instskip(NEXT) | instid1(SALU_CYCLE_1)
	s_and_b32 s2, exec_lo, s2
	s_or_b32 s27, s2, s27
	s_delay_alu instid0(SALU_CYCLE_1)
	s_and_not1_b32 exec_lo, exec_lo, s27
	s_cbranch_execnz .LBB16_37
; %bb.38:                               ;   in Loop: Header=BB16_35 Depth=1
	s_set_inst_prefetch_distance 0x2
	s_or_b32 exec_lo, exec_lo, s27
.LBB16_39:                              ;   in Loop: Header=BB16_35 Depth=1
	s_delay_alu instid0(VALU_DEP_1) | instskip(SKIP_2) | instid1(VALU_DEP_2)
	v_lshlrev_b64 v[7:8], 3, v[3:4]
	v_lshlrev_b64 v[12:13], 2, v[5:6]
	s_mov_b32 s2, exec_lo
	v_add_co_u32 v7, vcc_lo, s8, v7
	s_delay_alu instid0(VALU_DEP_3) | instskip(NEXT) | instid1(VALU_DEP_3)
	v_add_co_ci_u32_e32 v8, vcc_lo, s9, v8, vcc_lo
	v_add_co_u32 v12, vcc_lo, s10, v12
	s_delay_alu instid0(VALU_DEP_4)
	v_add_co_ci_u32_e32 v13, vcc_lo, s11, v13, vcc_lo
	global_load_b64 v[7:8], v[7:8], off
	global_load_b32 v9, v[12:13], off
	s_waitcnt vmcnt(1)
	v_sub_co_u32 v7, vcc_lo, v7, s24
	v_subrev_co_ci_u32_e32 v8, vcc_lo, 0, v8, vcc_lo
	s_delay_alu instid0(VALU_DEP_1) | instskip(SKIP_2) | instid1(VALU_DEP_1)
	v_cmp_gt_i64_e32 vcc_lo, v[7:8], v[5:6]
	s_waitcnt vmcnt(0)
	v_subrev_nc_u32_e32 v7, s24, v9
	v_ashrrev_i32_e32 v8, 31, v7
	v_dual_cndmask_b32 v2, v4, v2 :: v_dual_cndmask_b32 v1, v3, v1
	s_delay_alu instid0(VALU_DEP_1)
	v_cmpx_ne_u64_e64 v[1:2], v[7:8]
	s_cbranch_execz .LBB16_34
; %bb.40:                               ;   in Loop: Header=BB16_35 Depth=1
	v_lshlrev_b64 v[3:4], 3, v[5:6]
	v_lshlrev_b64 v[1:2], 3, v[1:2]
	s_mov_b32 s27, 0
	s_delay_alu instid0(VALU_DEP_2) | instskip(NEXT) | instid1(VALU_DEP_3)
	v_add_co_u32 v3, vcc_lo, s12, v3
	v_add_co_ci_u32_e32 v4, vcc_lo, s13, v4, vcc_lo
	s_delay_alu instid0(VALU_DEP_3) | instskip(NEXT) | instid1(VALU_DEP_4)
	v_add_co_u32 v1, vcc_lo, s14, v1
	v_add_co_ci_u32_e32 v2, vcc_lo, s15, v2, vcc_lo
	global_load_b64 v[12:13], v[3:4], off
	v_lshlrev_b64 v[3:4], 3, v[7:8]
	global_load_b64 v[1:2], v[1:2], off
	v_add_co_u32 v7, vcc_lo, s20, v3
	v_add_co_ci_u32_e32 v8, vcc_lo, s21, v4, vcc_lo
	global_load_b64 v[3:4], v[7:8], off
	s_waitcnt vmcnt(2)
	v_mul_f64 v[12:13], v[10:11], v[12:13]
	s_waitcnt vmcnt(1)
	s_delay_alu instid0(VALU_DEP_1)
	v_mul_f64 v[12:13], v[12:13], v[1:2]
.LBB16_41:                              ;   Parent Loop BB16_35 Depth=1
                                        ; =>  This Inner Loop Header: Depth=2
	s_waitcnt vmcnt(0)
	s_delay_alu instid0(VALU_DEP_1)
	v_add_f64 v[1:2], v[3:4], v[12:13]
	global_atomic_cmpswap_b64 v[1:2], v[7:8], v[1:4], off glc
	s_waitcnt vmcnt(0)
	v_cmp_eq_u64_e32 vcc_lo, v[1:2], v[3:4]
	v_dual_mov_b32 v4, v2 :: v_dual_mov_b32 v3, v1
	s_or_b32 s27, vcc_lo, s27
	s_delay_alu instid0(SALU_CYCLE_1)
	s_and_not1_b32 exec_lo, exec_lo, s27
	s_cbranch_execnz .LBB16_41
	s_branch .LBB16_34
.LBB16_42:
	s_or_b32 exec_lo, exec_lo, s3
	s_mov_b32 s2, 0
.LBB16_43:
	s_delay_alu instid0(SALU_CYCLE_1)
	s_and_b32 vcc_lo, exec_lo, s2
	s_cbranch_vccz .LBB16_180
; %bb.44:
	s_load_b32 s2, s[0:1], 0x6c
	s_mov_b32 s7, 0
	s_mov_b64 s[28:29], 0
	s_waitcnt lgkmcnt(0)
	s_and_b32 s6, s2, 0xffff
	s_delay_alu instid0(SALU_CYCLE_1) | instskip(NEXT) | instid1(VALU_DEP_1)
	v_cmp_lt_u64_e64 s2, s[6:7], s[22:23]
	s_and_b32 vcc_lo, exec_lo, s2
	s_cbranch_vccnz .LBB16_46
; %bb.45:
	v_cvt_f32_u32_e32 v1, s22
	s_sub_i32 s3, 0, s22
	s_delay_alu instid0(VALU_DEP_1) | instskip(SKIP_2) | instid1(VALU_DEP_1)
	v_rcp_iflag_f32_e32 v1, v1
	s_waitcnt_depctr 0xfff
	v_mul_f32_e32 v1, 0x4f7ffffe, v1
	v_cvt_u32_f32_e32 v1, v1
	s_delay_alu instid0(VALU_DEP_1) | instskip(NEXT) | instid1(VALU_DEP_1)
	v_readfirstlane_b32 s2, v1
	s_mul_i32 s3, s3, s2
	s_delay_alu instid0(SALU_CYCLE_1) | instskip(NEXT) | instid1(SALU_CYCLE_1)
	s_mul_hi_u32 s3, s2, s3
	s_add_i32 s2, s2, s3
	s_delay_alu instid0(SALU_CYCLE_1) | instskip(NEXT) | instid1(SALU_CYCLE_1)
	s_mul_hi_u32 s2, s6, s2
	s_mul_i32 s3, s2, s22
	s_add_i32 s4, s2, 1
	s_sub_i32 s3, s6, s3
	s_delay_alu instid0(SALU_CYCLE_1)
	s_sub_i32 s5, s3, s22
	s_cmp_ge_u32 s3, s22
	s_cselect_b32 s2, s4, s2
	s_cselect_b32 s3, s5, s3
	s_add_i32 s4, s2, 1
	s_cmp_ge_u32 s3, s22
	s_cselect_b32 s28, s4, s2
.LBB16_46:
	s_lshl_b64 s[2:3], s[16:17], 3
	v_sub_co_u32 v1, s7, v0, s24
	s_add_u32 s26, s8, s2
	s_addc_u32 s27, s9, s3
	s_load_b64 s[4:5], s[26:27], 0x0
	s_load_b128 s[0:3], s[0:1], 0x8
	v_sub_co_ci_u32_e64 v2, null, 0, 0, s7
	s_waitcnt lgkmcnt(0)
	v_add_co_u32 v6, vcc_lo, s4, v1
	s_delay_alu instid0(VALU_DEP_2) | instskip(SKIP_1) | instid1(VALU_DEP_3)
	v_add_co_ci_u32_e32 v7, vcc_lo, s5, v2, vcc_lo
	v_mov_b32_e32 v1, 0
	v_add_co_u32 v8, vcc_lo, 0x300, v6
	s_delay_alu instid0(VALU_DEP_3) | instskip(NEXT) | instid1(VALU_DEP_1)
	v_add_co_ci_u32_e32 v9, vcc_lo, 0, v7, vcc_lo
	v_cmp_le_i64_e32 vcc_lo, s[0:1], v[8:9]
	s_and_saveexec_b32 s0, vcc_lo
	s_delay_alu instid0(SALU_CYCLE_1)
	s_xor_b32 s7, exec_lo, s0
	s_cbranch_execnz .LBB16_49
; %bb.47:
	s_and_not1_saveexec_b32 s1, s7
	s_cbranch_execnz .LBB16_53
.LBB16_48:
	s_or_b32 exec_lo, exec_lo, s1
	s_delay_alu instid0(SALU_CYCLE_1)
	s_mov_b32 s1, exec_lo
	v_cmpx_gt_i64_e64 s[2:3], v[0:1]
	s_cbranch_execnz .LBB16_54
	s_branch .LBB16_56
.LBB16_49:
	s_lshl_b64 s[0:1], s[18:19], 3
	s_mov_b32 s25, exec_lo
	s_add_u32 s0, s8, s0
	s_addc_u32 s1, s9, s1
	s_load_b64 s[0:1], s[0:1], 0x0
	s_waitcnt lgkmcnt(0)
	s_sub_u32 s30, s0, s4
	s_subb_u32 s31, s1, s5
	s_delay_alu instid0(SALU_CYCLE_1)
	v_cmpx_gt_i64_e64 s[30:31], v[0:1]
	s_cbranch_execz .LBB16_52
; %bb.50:
	v_lshlrev_b64 v[2:3], 3, v[6:7]
	v_dual_mov_b32 v12, v18 :: v_dual_mov_b32 v5, v1
	v_mov_b32_e32 v4, v0
	s_mov_b32 s29, 0
	s_delay_alu instid0(VALU_DEP_3) | instskip(NEXT) | instid1(VALU_DEP_1)
	v_add_co_u32 v2, s0, s12, v2
	v_add_co_ci_u32_e64 v3, s0, s13, v3, s0
	.p2align	6
.LBB16_51:                              ; =>This Inner Loop Header: Depth=1
	global_load_b64 v[13:14], v[2:3], off
	v_add_co_u32 v4, s0, 0x100, v4
	s_delay_alu instid0(VALU_DEP_1) | instskip(SKIP_1) | instid1(VALU_DEP_1)
	v_add_co_ci_u32_e64 v5, s0, 0, v5, s0
	v_add_co_u32 v2, s0, 0x800, v2
	v_add_co_ci_u32_e64 v3, s0, 0, v3, s0
	s_delay_alu instid0(VALU_DEP_3) | instskip(NEXT) | instid1(VALU_DEP_1)
	v_cmp_le_i64_e64 s1, s[30:31], v[4:5]
	s_or_b32 s29, s1, s29
	s_waitcnt vmcnt(0)
	v_mul_f64 v[13:14], v[10:11], v[13:14]
	ds_store_b64 v12, v[13:14]
	v_add_nc_u32_e32 v12, 0x800, v12
	s_and_not1_b32 exec_lo, exec_lo, s29
	s_cbranch_execnz .LBB16_51
.LBB16_52:
	s_or_b32 exec_lo, exec_lo, s25
                                        ; implicit-def: $vgpr10_vgpr11
	s_and_not1_saveexec_b32 s1, s7
	s_cbranch_execz .LBB16_48
.LBB16_53:
	v_lshlrev_b64 v[2:3], 3, v[6:7]
	s_delay_alu instid0(VALU_DEP_1) | instskip(NEXT) | instid1(VALU_DEP_1)
	v_add_co_u32 v2, s0, s12, v2
	v_add_co_ci_u32_e64 v3, s0, s13, v3, s0
	s_delay_alu instid0(VALU_DEP_2) | instskip(NEXT) | instid1(VALU_DEP_1)
	v_add_co_u32 v4, s0, 0x1000, v2
	v_add_co_ci_u32_e64 v5, s0, 0, v3, s0
	s_clause 0x3
	global_load_b64 v[12:13], v[2:3], off
	global_load_b64 v[2:3], v[2:3], off offset:2048
	global_load_b64 v[14:15], v[4:5], off
	global_load_b64 v[4:5], v[4:5], off offset:2048
	s_waitcnt vmcnt(3)
	v_mul_f64 v[12:13], v[10:11], v[12:13]
	s_waitcnt vmcnt(2)
	v_mul_f64 v[2:3], v[10:11], v[2:3]
	;; [unrolled: 2-line block ×4, first 2 shown]
	ds_store_2addr_stride64_b64 v18, v[12:13], v[2:3] offset1:4
	ds_store_2addr_stride64_b64 v18, v[14:15], v[4:5] offset0:8 offset1:12
	s_or_b32 exec_lo, exec_lo, s1
	s_delay_alu instid0(SALU_CYCLE_1)
	s_mov_b32 s1, exec_lo
	v_cmpx_gt_i64_e64 s[2:3], v[0:1]
	s_cbranch_execz .LBB16_56
.LBB16_54:
	v_dual_mov_b32 v2, 0 :: v_dual_mov_b32 v5, v1
	v_lshl_add_u32 v10, v0, 3, 0x2000
	s_mov_b32 s7, 0
	s_delay_alu instid0(VALU_DEP_2)
	v_dual_mov_b32 v4, v0 :: v_dual_mov_b32 v3, v2
.LBB16_55:                              ; =>This Inner Loop Header: Depth=1
	s_delay_alu instid0(VALU_DEP_1) | instskip(NEXT) | instid1(VALU_DEP_1)
	v_add_co_u32 v4, s0, 0x100, v4
	v_add_co_ci_u32_e64 v5, s0, 0, v5, s0
	ds_store_b64 v10, v[2:3]
	v_add_nc_u32_e32 v10, 0x800, v10
	v_cmp_le_i64_e64 s0, s[2:3], v[4:5]
	s_delay_alu instid0(VALU_DEP_1) | instskip(NEXT) | instid1(SALU_CYCLE_1)
	s_or_b32 s7, s0, s7
	s_and_not1_b32 exec_lo, exec_lo, s7
	s_cbranch_execnz .LBB16_55
.LBB16_56:
	s_or_b32 exec_lo, exec_lo, s1
	v_cmp_ge_i64_e64 s0, s[18:19], s[2:3]
	s_sub_u32 s1, s18, s2
	s_subb_u32 s7, s19, s3
	s_waitcnt lgkmcnt(0)
	s_barrier
	buffer_gl0_inv
	s_and_b32 s0, s0, exec_lo
	s_cselect_b32 s13, s7, 0
	s_cselect_b32 s12, s1, 0
	s_and_saveexec_b32 s0, vcc_lo
	s_delay_alu instid0(SALU_CYCLE_1)
	s_xor_b32 s7, exec_lo, s0
	s_cbranch_execz .LBB16_77
; %bb.57:
	s_lshl_b64 s[0:1], s[18:19], 3
	s_mov_b32 s25, exec_lo
	s_add_u32 s0, s8, s0
	s_addc_u32 s1, s9, s1
	s_load_b64 s[0:1], s[0:1], 0x0
	s_waitcnt lgkmcnt(0)
	s_sub_u32 s30, s0, s4
	s_subb_u32 s31, s1, s5
	s_delay_alu instid0(SALU_CYCLE_1)
	v_cmpx_gt_i64_e64 s[30:31], v[0:1]
	s_cbranch_execz .LBB16_76
; %bb.58:
	s_add_u32 s34, s18, -1
	s_addc_u32 s35, s19, -1
	s_add_u32 s36, s18, -2
	v_cmp_gt_i64_e64 s29, s[34:35], s[16:17]
	s_addc_u32 s37, s19, -1
	s_mov_b64 s[38:39], 0
	s_cmp_lg_u64 s[36:37], s[16:17]
	s_cselect_b32 s33, -1, 0
	s_delay_alu instid0(VALU_DEP_1) | instid1(SALU_CYCLE_1)
	s_and_b32 s29, s29, s33
	s_sub_u32 s36, s0, s24
	s_subb_u32 s37, s1, 0
	s_mov_b32 s1, 0
	s_branch .LBB16_61
.LBB16_59:                              ;   in Loop: Header=BB16_61 Depth=1
	s_or_b32 exec_lo, exec_lo, s0
.LBB16_60:                              ;   in Loop: Header=BB16_61 Depth=1
	s_delay_alu instid0(SALU_CYCLE_1) | instskip(SKIP_4) | instid1(VALU_DEP_1)
	s_or_b32 exec_lo, exec_lo, s33
	v_lshlrev_b64 v[2:3], 3, v[8:9]
	s_add_u32 s38, s38, 0x100
	s_addc_u32 s39, s39, 0
	v_add_co_u32 v4, s0, s38, v0
	v_add_co_ci_u32_e64 v5, null, s39, 0, s0
	s_delay_alu instid0(VALU_DEP_3) | instskip(SKIP_1) | instid1(VALU_DEP_3)
	v_add_co_u32 v2, vcc_lo, s14, v2
	v_add_co_ci_u32_e32 v3, vcc_lo, s15, v3, vcc_lo
	v_cmp_le_i64_e32 vcc_lo, s[30:31], v[4:5]
	v_lshlrev_b32_e32 v4, 3, v16
	global_load_b64 v[2:3], v[2:3], off
	s_or_b32 s1, vcc_lo, s1
	s_waitcnt vmcnt(0) lgkmcnt(0)
	v_mul_f64 v[2:3], v[2:3], v[10:11]
	ds_store_b64 v4, v[2:3]
	s_and_not1_b32 exec_lo, exec_lo, s1
	s_cbranch_execz .LBB16_76
.LBB16_61:                              ; =>This Loop Header: Depth=1
                                        ;     Child Loop BB16_63 Depth 2
                                        ;     Child Loop BB16_70 Depth 2
                                        ;     Child Loop BB16_74 Depth 2
	v_add_co_u32 v2, vcc_lo, s38, v6
	v_add_co_ci_u32_e32 v3, vcc_lo, s39, v7, vcc_lo
	v_dual_mov_b32 v4, s16 :: v_dual_mov_b32 v5, s17
	v_dual_mov_b32 v10, s34 :: v_dual_mov_b32 v11, s35
	s_and_not1_b32 vcc_lo, exec_lo, s29
	s_cbranch_vccnz .LBB16_65
; %bb.62:                               ;   in Loop: Header=BB16_61 Depth=1
	v_dual_mov_b32 v4, s16 :: v_dual_mov_b32 v5, s17
	v_dual_mov_b32 v10, s34 :: v_dual_mov_b32 v11, s35
	s_mov_b32 s33, 0
	s_set_inst_prefetch_distance 0x1
	.p2align	6
.LBB16_63:                              ;   Parent Loop BB16_61 Depth=1
                                        ; =>  This Inner Loop Header: Depth=2
	s_delay_alu instid0(VALU_DEP_1) | instskip(NEXT) | instid1(VALU_DEP_2)
	v_add_co_u32 v8, vcc_lo, v10, v4
	v_add_co_ci_u32_e32 v9, vcc_lo, v11, v5, vcc_lo
	s_delay_alu instid0(VALU_DEP_1) | instskip(NEXT) | instid1(VALU_DEP_1)
	v_lshrrev_b32_e32 v12, 31, v9
	v_add_co_u32 v8, vcc_lo, v8, v12
	v_add_co_ci_u32_e32 v9, vcc_lo, 0, v9, vcc_lo
	s_delay_alu instid0(VALU_DEP_1) | instskip(NEXT) | instid1(VALU_DEP_1)
	v_ashrrev_i64 v[8:9], 1, v[8:9]
	v_lshlrev_b64 v[12:13], 3, v[8:9]
	s_delay_alu instid0(VALU_DEP_1) | instskip(NEXT) | instid1(VALU_DEP_2)
	v_add_co_u32 v12, vcc_lo, s8, v12
	v_add_co_ci_u32_e32 v13, vcc_lo, s9, v13, vcc_lo
	global_load_b64 v[12:13], v[12:13], off
	s_waitcnt vmcnt(0)
	v_sub_co_u32 v12, vcc_lo, v12, s24
	v_subrev_co_ci_u32_e32 v13, vcc_lo, 0, v13, vcc_lo
	s_delay_alu instid0(VALU_DEP_1) | instskip(SKIP_2) | instid1(VALU_DEP_2)
	v_cmp_gt_i64_e32 vcc_lo, v[12:13], v[2:3]
	v_dual_cndmask_b32 v11, v11, v9 :: v_dual_cndmask_b32 v10, v10, v8
	v_dual_cndmask_b32 v5, v9, v5 :: v_dual_cndmask_b32 v4, v8, v4
	v_add_co_u32 v8, vcc_lo, v10, -1
	s_delay_alu instid0(VALU_DEP_3) | instskip(NEXT) | instid1(VALU_DEP_3)
	v_add_co_ci_u32_e32 v9, vcc_lo, -1, v11, vcc_lo
	v_cmp_ge_i64_e32 vcc_lo, v[4:5], v[10:11]
	s_delay_alu instid0(VALU_DEP_2) | instskip(NEXT) | instid1(VALU_DEP_1)
	v_cmp_eq_u64_e64 s0, v[4:5], v[8:9]
	s_or_b32 s0, vcc_lo, s0
	s_delay_alu instid0(SALU_CYCLE_1) | instskip(NEXT) | instid1(SALU_CYCLE_1)
	s_and_b32 s0, exec_lo, s0
	s_or_b32 s33, s0, s33
	s_delay_alu instid0(SALU_CYCLE_1)
	s_and_not1_b32 exec_lo, exec_lo, s33
	s_cbranch_execnz .LBB16_63
; %bb.64:                               ;   in Loop: Header=BB16_61 Depth=1
	s_set_inst_prefetch_distance 0x2
	s_or_b32 exec_lo, exec_lo, s33
.LBB16_65:                              ;   in Loop: Header=BB16_61 Depth=1
	s_delay_alu instid0(VALU_DEP_1) | instskip(SKIP_3) | instid1(VALU_DEP_4)
	v_lshlrev_b64 v[8:9], 3, v[10:11]
	v_lshlrev_b64 v[12:13], 2, v[2:3]
	v_add_co_u32 v16, null, s38, v0
	v_cmp_le_i64_e64 s0, s[36:37], v[2:3]
	v_add_co_u32 v8, vcc_lo, s8, v8
	v_add_co_ci_u32_e32 v9, vcc_lo, s9, v9, vcc_lo
	v_add_co_u32 v12, vcc_lo, s10, v12
	v_add_co_ci_u32_e32 v13, vcc_lo, s11, v13, vcc_lo
	global_load_b64 v[8:9], v[8:9], off
	global_load_b32 v14, v[12:13], off
	s_waitcnt vmcnt(1)
	v_sub_co_u32 v12, vcc_lo, v8, s24
	v_subrev_co_ci_u32_e32 v13, vcc_lo, 0, v9, vcc_lo
	s_waitcnt vmcnt(0)
	v_subrev_nc_u32_e32 v8, s24, v14
	v_lshlrev_b32_e32 v14, 3, v16
	s_delay_alu instid0(VALU_DEP_3) | instskip(NEXT) | instid1(VALU_DEP_3)
	v_cmp_gt_i64_e32 vcc_lo, v[12:13], v[2:3]
	v_ashrrev_i32_e32 v9, 31, v8
	v_dual_cndmask_b32 v5, v11, v5 :: v_dual_cndmask_b32 v4, v10, v4
                                        ; implicit-def: $vgpr10_vgpr11
	s_delay_alu instid0(VALU_DEP_1) | instskip(SKIP_1) | instid1(SALU_CYCLE_1)
	v_cmp_eq_u64_e32 vcc_lo, v[4:5], v[8:9]
	s_or_b32 s0, vcc_lo, s0
	s_and_saveexec_b32 s33, s0
	s_delay_alu instid0(SALU_CYCLE_1)
	s_xor_b32 s0, exec_lo, s33
	s_cbranch_execz .LBB16_67
; %bb.66:                               ;   in Loop: Header=BB16_61 Depth=1
	ds_load_b64 v[10:11], v14
                                        ; implicit-def: $vgpr4_vgpr5
                                        ; implicit-def: $vgpr14
.LBB16_67:                              ;   in Loop: Header=BB16_61 Depth=1
	s_and_not1_saveexec_b32 s33, s0
	s_cbranch_execz .LBB16_60
; %bb.68:                               ;   in Loop: Header=BB16_61 Depth=1
	v_cmp_gt_i64_e32 vcc_lo, s[12:13], v[8:9]
	v_cmp_le_i64_e64 s0, s[18:19], v[8:9]
	v_lshlrev_b64 v[2:3], 3, v[4:5]
                                        ; implicit-def: $vgpr10_vgpr11
	s_delay_alu instid0(VALU_DEP_2) | instskip(NEXT) | instid1(SALU_CYCLE_1)
	s_or_b32 s0, vcc_lo, s0
	s_and_saveexec_b32 s40, s0
	s_delay_alu instid0(SALU_CYCLE_1)
	s_xor_b32 s0, exec_lo, s40
	s_cbranch_execz .LBB16_72
; %bb.69:                               ;   in Loop: Header=BB16_61 Depth=1
	s_delay_alu instid0(VALU_DEP_1)
	v_add_co_u32 v2, vcc_lo, s14, v2
	v_add_co_ci_u32_e32 v3, vcc_lo, s15, v3, vcc_lo
	v_lshlrev_b64 v[4:5], 3, v[8:9]
	s_waitcnt lgkmcnt(0)
	ds_load_b64 v[10:11], v14
	s_mov_b32 s40, 0
	global_load_b64 v[2:3], v[2:3], off
	v_add_co_u32 v12, vcc_lo, s20, v4
	v_add_co_ci_u32_e32 v13, vcc_lo, s21, v5, vcc_lo
	global_load_b64 v[4:5], v[12:13], off
	s_waitcnt vmcnt(1) lgkmcnt(0)
	v_mul_f64 v[14:15], v[10:11], v[2:3]
.LBB16_70:                              ;   Parent Loop BB16_61 Depth=1
                                        ; =>  This Inner Loop Header: Depth=2
	s_waitcnt vmcnt(0)
	s_delay_alu instid0(VALU_DEP_1)
	v_add_f64 v[2:3], v[4:5], v[14:15]
	global_atomic_cmpswap_b64 v[2:3], v[12:13], v[2:5], off glc
	s_waitcnt vmcnt(0)
	v_cmp_eq_u64_e32 vcc_lo, v[2:3], v[4:5]
	v_dual_mov_b32 v5, v3 :: v_dual_mov_b32 v4, v2
	s_or_b32 s40, vcc_lo, s40
	s_delay_alu instid0(SALU_CYCLE_1)
	s_and_not1_b32 exec_lo, exec_lo, s40
	s_cbranch_execnz .LBB16_70
; %bb.71:                               ;   in Loop: Header=BB16_61 Depth=1
	s_or_b32 exec_lo, exec_lo, s40
                                        ; implicit-def: $vgpr14
                                        ; implicit-def: $vgpr2_vgpr3
.LBB16_72:                              ;   in Loop: Header=BB16_61 Depth=1
	s_and_not1_saveexec_b32 s0, s0
	s_cbranch_execz .LBB16_59
; %bb.73:                               ;   in Loop: Header=BB16_61 Depth=1
	v_add_co_u32 v2, vcc_lo, s14, v2
	v_add_co_ci_u32_e32 v3, vcc_lo, s15, v3, vcc_lo
	s_waitcnt lgkmcnt(0)
	ds_load_b64 v[10:11], v14
	v_subrev_nc_u32_e32 v4, s12, v8
	s_mov_b32 s40, 0
	global_load_b64 v[2:3], v[2:3], off
	v_lshl_add_u32 v12, v4, 3, 0x2000
	ds_load_b64 v[4:5], v12
	s_waitcnt vmcnt(0) lgkmcnt(1)
	v_mul_f64 v[2:3], v[10:11], v[2:3]
.LBB16_74:                              ;   Parent Loop BB16_61 Depth=1
                                        ; =>  This Inner Loop Header: Depth=2
	s_waitcnt lgkmcnt(0)
	s_delay_alu instid0(VALU_DEP_1)
	v_add_f64 v[13:14], v[4:5], v[2:3]
	ds_cmpstore_rtn_b64 v[13:14], v12, v[13:14], v[4:5]
	s_waitcnt lgkmcnt(0)
	v_cmp_eq_u64_e32 vcc_lo, v[13:14], v[4:5]
	v_dual_mov_b32 v4, v13 :: v_dual_mov_b32 v5, v14
	s_or_b32 s40, vcc_lo, s40
	s_delay_alu instid0(SALU_CYCLE_1)
	s_and_not1_b32 exec_lo, exec_lo, s40
	s_cbranch_execnz .LBB16_74
; %bb.75:                               ;   in Loop: Header=BB16_61 Depth=1
	s_or_b32 exec_lo, exec_lo, s40
	s_branch .LBB16_59
.LBB16_76:
	s_or_b32 exec_lo, exec_lo, s25
                                        ; implicit-def: $vgpr8_vgpr9
                                        ; implicit-def: $vgpr6
.LBB16_77:
	s_and_not1_saveexec_b32 s1, s7
	s_cbranch_execz .LBB16_135
; %bb.78:
	s_add_u32 s30, s18, -1
	s_addc_u32 s31, s19, -1
	s_add_u32 s34, s18, -2
	v_cmp_le_i64_e64 s0, s[30:31], s[16:17]
	s_addc_u32 s35, s19, -1
	v_dual_mov_b32 v2, s16 :: v_dual_mov_b32 v3, s17
	s_cmp_eq_u64 s[34:35], s[16:17]
	v_dual_mov_b32 v4, s30 :: v_dual_mov_b32 v5, s31
	s_cselect_b32 s7, -1, 0
	s_delay_alu instid0(SALU_CYCLE_1) | instskip(NEXT) | instid1(SALU_CYCLE_1)
	s_or_b32 s7, s0, s7
	s_and_b32 vcc_lo, exec_lo, s7
	s_cbranch_vccnz .LBB16_82
; %bb.79:
	v_dual_mov_b32 v2, s16 :: v_dual_mov_b32 v3, s17
	v_dual_mov_b32 v4, s30 :: v_dual_mov_b32 v5, s31
	s_mov_b32 s25, 0
	s_set_inst_prefetch_distance 0x1
	.p2align	6
.LBB16_80:                              ; =>This Inner Loop Header: Depth=1
	s_delay_alu instid0(VALU_DEP_1) | instskip(NEXT) | instid1(VALU_DEP_2)
	v_add_co_u32 v10, vcc_lo, v4, v2
	v_add_co_ci_u32_e32 v11, vcc_lo, v5, v3, vcc_lo
	s_delay_alu instid0(VALU_DEP_1) | instskip(NEXT) | instid1(VALU_DEP_1)
	v_lshrrev_b32_e32 v12, 31, v11
	v_add_co_u32 v10, vcc_lo, v10, v12
	v_add_co_ci_u32_e32 v11, vcc_lo, 0, v11, vcc_lo
	s_delay_alu instid0(VALU_DEP_1) | instskip(NEXT) | instid1(VALU_DEP_1)
	v_ashrrev_i64 v[10:11], 1, v[10:11]
	v_lshlrev_b64 v[12:13], 3, v[10:11]
	s_delay_alu instid0(VALU_DEP_1) | instskip(NEXT) | instid1(VALU_DEP_2)
	v_add_co_u32 v12, vcc_lo, s8, v12
	v_add_co_ci_u32_e32 v13, vcc_lo, s9, v13, vcc_lo
	global_load_b64 v[12:13], v[12:13], off
	s_waitcnt vmcnt(0)
	v_sub_co_u32 v12, vcc_lo, v12, s24
	v_subrev_co_ci_u32_e32 v13, vcc_lo, 0, v13, vcc_lo
	s_delay_alu instid0(VALU_DEP_1) | instskip(SKIP_2) | instid1(VALU_DEP_2)
	v_cmp_gt_i64_e32 vcc_lo, v[12:13], v[6:7]
	v_dual_cndmask_b32 v5, v5, v11 :: v_dual_cndmask_b32 v4, v4, v10
	v_dual_cndmask_b32 v3, v11, v3 :: v_dual_cndmask_b32 v2, v10, v2
	v_add_co_u32 v10, vcc_lo, v4, -1
	s_delay_alu instid0(VALU_DEP_3) | instskip(NEXT) | instid1(VALU_DEP_3)
	v_add_co_ci_u32_e32 v11, vcc_lo, -1, v5, vcc_lo
	v_cmp_ge_i64_e32 vcc_lo, v[2:3], v[4:5]
	s_delay_alu instid0(VALU_DEP_2) | instskip(NEXT) | instid1(VALU_DEP_1)
	v_cmp_eq_u64_e64 s0, v[2:3], v[10:11]
	s_or_b32 s0, vcc_lo, s0
	s_delay_alu instid0(SALU_CYCLE_1) | instskip(NEXT) | instid1(SALU_CYCLE_1)
	s_and_b32 s0, exec_lo, s0
	s_or_b32 s25, s0, s25
	s_delay_alu instid0(SALU_CYCLE_1)
	s_and_not1_b32 exec_lo, exec_lo, s25
	s_cbranch_execnz .LBB16_80
; %bb.81:
	s_set_inst_prefetch_distance 0x2
	s_or_b32 exec_lo, exec_lo, s25
.LBB16_82:
	v_lshlrev_b64 v[10:11], 3, v[4:5]
	v_lshlrev_b64 v[12:13], 2, v[6:7]
	s_xor_b32 s7, s7, -1
	s_mov_b32 s25, exec_lo
	s_delay_alu instid0(VALU_DEP_2) | instskip(NEXT) | instid1(VALU_DEP_3)
	v_add_co_u32 v10, vcc_lo, s8, v10
	v_add_co_ci_u32_e32 v11, vcc_lo, s9, v11, vcc_lo
	global_load_b64 v[14:15], v[10:11], off
	v_add_co_u32 v10, vcc_lo, s10, v12
	v_add_co_ci_u32_e32 v11, vcc_lo, s11, v13, vcc_lo
	s_lshl_b64 s[10:11], s[18:19], 3
	s_delay_alu instid0(SALU_CYCLE_1)
	s_add_u32 s10, s8, s10
	global_load_b32 v16, v[10:11], off
	s_addc_u32 s11, s9, s11
	s_waitcnt vmcnt(1)
	v_sub_co_u32 v12, vcc_lo, v14, s24
	v_subrev_co_ci_u32_e32 v13, vcc_lo, 0, v15, vcc_lo
	s_delay_alu instid0(VALU_DEP_1) | instskip(SKIP_2) | instid1(VALU_DEP_1)
	v_cmp_gt_i64_e32 vcc_lo, v[12:13], v[6:7]
	s_waitcnt vmcnt(0)
	v_subrev_nc_u32_e32 v12, s24, v16
	v_ashrrev_i32_e32 v13, 31, v12
	v_dual_cndmask_b32 v3, v5, v3 :: v_dual_cndmask_b32 v2, v4, v2
	s_delay_alu instid0(VALU_DEP_1)
	v_cmpx_ne_u64_e64 v[2:3], v[12:13]
	s_cbranch_execz .LBB16_92
; %bb.83:
	s_load_b64 s[34:35], s[10:11], 0x0
	s_waitcnt lgkmcnt(0)
	s_sub_u32 s34, s34, s24
	s_subb_u32 s35, s35, 0
	s_delay_alu instid0(SALU_CYCLE_1)
	v_cmp_gt_i64_e32 vcc_lo, s[34:35], v[6:7]
	s_and_b32 exec_lo, exec_lo, vcc_lo
	s_cbranch_execz .LBB16_92
; %bb.84:
	v_cmp_gt_i64_e32 vcc_lo, s[12:13], v[12:13]
	v_cmp_le_i64_e64 s0, s[18:19], v[12:13]
	v_lshlrev_b64 v[2:3], 3, v[2:3]
	s_delay_alu instid0(VALU_DEP_2) | instskip(NEXT) | instid1(SALU_CYCLE_1)
	s_or_b32 s0, vcc_lo, s0
	s_and_saveexec_b32 s29, s0
	s_delay_alu instid0(SALU_CYCLE_1)
	s_xor_b32 s0, exec_lo, s29
	s_cbranch_execz .LBB16_88
; %bb.85:
	s_delay_alu instid0(VALU_DEP_1)
	v_add_co_u32 v2, vcc_lo, s14, v2
	v_add_co_ci_u32_e32 v3, vcc_lo, s15, v3, vcc_lo
	v_lshlrev_b64 v[4:5], 3, v[12:13]
	ds_load_b64 v[16:17], v18
	s_mov_b32 s29, 0
	global_load_b64 v[2:3], v[2:3], off
	v_add_co_u32 v14, vcc_lo, s20, v4
	v_add_co_ci_u32_e32 v15, vcc_lo, s21, v5, vcc_lo
	global_load_b64 v[4:5], v[14:15], off
	s_waitcnt vmcnt(1) lgkmcnt(0)
	v_mul_f64 v[16:17], v[16:17], v[2:3]
.LBB16_86:                              ; =>This Inner Loop Header: Depth=1
	s_waitcnt vmcnt(0)
	s_delay_alu instid0(VALU_DEP_1)
	v_add_f64 v[2:3], v[4:5], v[16:17]
	global_atomic_cmpswap_b64 v[2:3], v[14:15], v[2:5], off glc
	s_waitcnt vmcnt(0)
	v_cmp_eq_u64_e32 vcc_lo, v[2:3], v[4:5]
	v_dual_mov_b32 v5, v3 :: v_dual_mov_b32 v4, v2
	s_or_b32 s29, vcc_lo, s29
	s_delay_alu instid0(SALU_CYCLE_1)
	s_and_not1_b32 exec_lo, exec_lo, s29
	s_cbranch_execnz .LBB16_86
; %bb.87:
	s_or_b32 exec_lo, exec_lo, s29
                                        ; implicit-def: $vgpr2_vgpr3
.LBB16_88:
	s_and_not1_saveexec_b32 s0, s0
	s_cbranch_execz .LBB16_92
; %bb.89:
	v_add_co_u32 v2, vcc_lo, s14, v2
	v_add_co_ci_u32_e32 v3, vcc_lo, s15, v3, vcc_lo
	ds_load_b64 v[4:5], v18
	s_mov_b32 s0, 0
	global_load_b64 v[2:3], v[2:3], off
	s_waitcnt vmcnt(0) lgkmcnt(0)
	v_mul_f64 v[2:3], v[4:5], v[2:3]
	v_subrev_nc_u32_e32 v4, s12, v12
	s_delay_alu instid0(VALU_DEP_1)
	v_lshl_add_u32 v14, v4, 3, 0x2000
	ds_load_b64 v[4:5], v14
.LBB16_90:                              ; =>This Inner Loop Header: Depth=1
	s_waitcnt lgkmcnt(0)
	v_add_f64 v[15:16], v[4:5], v[2:3]
	ds_cmpstore_rtn_b64 v[15:16], v14, v[15:16], v[4:5]
	s_waitcnt lgkmcnt(0)
	v_cmp_eq_u64_e32 vcc_lo, v[15:16], v[4:5]
	v_dual_mov_b32 v4, v15 :: v_dual_mov_b32 v5, v16
	s_or_b32 s0, vcc_lo, s0
	s_delay_alu instid0(SALU_CYCLE_1)
	s_and_not1_b32 exec_lo, exec_lo, s0
	s_cbranch_execnz .LBB16_90
; %bb.91:
	s_or_b32 exec_lo, exec_lo, s0
.LBB16_92:
	s_delay_alu instid0(SALU_CYCLE_1)
	s_or_b32 exec_lo, exec_lo, s25
	v_lshlrev_b64 v[2:3], 3, v[12:13]
	ds_load_b64 v[4:5], v18
	v_cndmask_b32_e64 v19, 0, 1, s7
	v_dual_mov_b32 v13, s30 :: v_dual_mov_b32 v14, s31
	v_add_co_u32 v2, vcc_lo, s14, v2
	v_add_co_ci_u32_e32 v3, vcc_lo, s15, v3, vcc_lo
	global_load_b64 v[2:3], v[2:3], off
	s_waitcnt vmcnt(0) lgkmcnt(0)
	v_mul_f64 v[15:16], v[2:3], v[4:5]
	v_add_co_u32 v2, vcc_lo, 0x100, v6
	v_add_co_ci_u32_e32 v3, vcc_lo, 0, v7, vcc_lo
	v_dual_mov_b32 v4, s16 :: v_dual_mov_b32 v5, s17
	s_and_not1_b32 vcc_lo, exec_lo, s7
	ds_store_b64 v18, v[15:16]
	s_cbranch_vccnz .LBB16_96
; %bb.93:
	v_dual_mov_b32 v4, s16 :: v_dual_mov_b32 v5, s17
	v_dual_mov_b32 v13, s30 :: v_dual_mov_b32 v14, s31
	s_mov_b32 s7, 0
	s_set_inst_prefetch_distance 0x1
	.p2align	6
.LBB16_94:                              ; =>This Inner Loop Header: Depth=1
	s_delay_alu instid0(VALU_DEP_1) | instskip(NEXT) | instid1(VALU_DEP_2)
	v_add_co_u32 v12, vcc_lo, v13, v4
	v_add_co_ci_u32_e32 v16, vcc_lo, v14, v5, vcc_lo
	s_delay_alu instid0(VALU_DEP_1) | instskip(NEXT) | instid1(VALU_DEP_1)
	v_lshrrev_b32_e32 v15, 31, v16
	v_add_co_u32 v15, vcc_lo, v12, v15
	v_add_co_ci_u32_e32 v16, vcc_lo, 0, v16, vcc_lo
	s_delay_alu instid0(VALU_DEP_1) | instskip(NEXT) | instid1(VALU_DEP_1)
	v_ashrrev_i64 v[15:16], 1, v[15:16]
	v_lshlrev_b64 v[20:21], 3, v[15:16]
	s_delay_alu instid0(VALU_DEP_1) | instskip(NEXT) | instid1(VALU_DEP_2)
	v_add_co_u32 v20, vcc_lo, s8, v20
	v_add_co_ci_u32_e32 v21, vcc_lo, s9, v21, vcc_lo
	global_load_b64 v[20:21], v[20:21], off
	s_waitcnt vmcnt(0)
	v_sub_co_u32 v20, vcc_lo, v20, s24
	v_subrev_co_ci_u32_e32 v21, vcc_lo, 0, v21, vcc_lo
	s_delay_alu instid0(VALU_DEP_1) | instskip(SKIP_2) | instid1(VALU_DEP_2)
	v_cmp_gt_i64_e32 vcc_lo, v[20:21], v[2:3]
	v_dual_cndmask_b32 v14, v14, v16 :: v_dual_cndmask_b32 v13, v13, v15
	v_dual_cndmask_b32 v5, v16, v5 :: v_dual_cndmask_b32 v4, v15, v4
	v_add_co_u32 v15, vcc_lo, v13, -1
	s_delay_alu instid0(VALU_DEP_3) | instskip(NEXT) | instid1(VALU_DEP_3)
	v_add_co_ci_u32_e32 v16, vcc_lo, -1, v14, vcc_lo
	v_cmp_ge_i64_e32 vcc_lo, v[4:5], v[13:14]
	s_delay_alu instid0(VALU_DEP_2) | instskip(NEXT) | instid1(VALU_DEP_1)
	v_cmp_eq_u64_e64 s0, v[4:5], v[15:16]
	s_or_b32 s0, vcc_lo, s0
	s_delay_alu instid0(SALU_CYCLE_1) | instskip(NEXT) | instid1(SALU_CYCLE_1)
	s_and_b32 s0, exec_lo, s0
	s_or_b32 s7, s0, s7
	s_delay_alu instid0(SALU_CYCLE_1)
	s_and_not1_b32 exec_lo, exec_lo, s7
	s_cbranch_execnz .LBB16_94
; %bb.95:
	s_set_inst_prefetch_distance 0x2
	s_or_b32 exec_lo, exec_lo, s7
.LBB16_96:
	v_lshlrev_b64 v[15:16], 3, v[13:14]
	s_mov_b32 s7, exec_lo
	s_delay_alu instid0(VALU_DEP_1) | instskip(NEXT) | instid1(VALU_DEP_2)
	v_add_co_u32 v15, vcc_lo, s8, v15
	v_add_co_ci_u32_e32 v16, vcc_lo, s9, v16, vcc_lo
	global_load_b64 v[15:16], v[15:16], off
	global_load_b32 v12, v[10:11], off offset:1024
	s_waitcnt vmcnt(1)
	v_sub_co_u32 v15, vcc_lo, v15, s24
	v_subrev_co_ci_u32_e32 v16, vcc_lo, 0, v16, vcc_lo
	s_waitcnt vmcnt(0)
	v_subrev_nc_u32_e32 v12, s24, v12
	s_delay_alu instid0(VALU_DEP_2) | instskip(SKIP_1) | instid1(VALU_DEP_3)
	v_cmp_gt_i64_e32 vcc_lo, v[15:16], v[2:3]
	v_dual_cndmask_b32 v5, v14, v5 :: v_dual_cndmask_b32 v4, v13, v4
	v_ashrrev_i32_e32 v13, 31, v12
	s_delay_alu instid0(VALU_DEP_1)
	v_cmpx_ne_u64_e64 v[4:5], v[12:13]
	s_cbranch_execz .LBB16_106
; %bb.97:
	s_load_b64 s[34:35], s[10:11], 0x0
	s_waitcnt lgkmcnt(0)
	s_sub_u32 s34, s34, s24
	s_subb_u32 s35, s35, 0
	s_delay_alu instid0(SALU_CYCLE_1)
	v_cmp_gt_i64_e32 vcc_lo, s[34:35], v[2:3]
	s_and_b32 exec_lo, exec_lo, vcc_lo
	s_cbranch_execz .LBB16_106
; %bb.98:
	v_cmp_gt_i64_e32 vcc_lo, s[12:13], v[12:13]
	v_cmp_le_i64_e64 s0, s[18:19], v[12:13]
	v_lshlrev_b64 v[2:3], 3, v[4:5]
	s_delay_alu instid0(VALU_DEP_2) | instskip(NEXT) | instid1(SALU_CYCLE_1)
	s_or_b32 s0, vcc_lo, s0
	s_and_saveexec_b32 s25, s0
	s_delay_alu instid0(SALU_CYCLE_1)
	s_xor_b32 s0, exec_lo, s25
	s_cbranch_execz .LBB16_102
; %bb.99:
	s_delay_alu instid0(VALU_DEP_1)
	v_add_co_u32 v2, vcc_lo, s14, v2
	v_add_co_ci_u32_e32 v3, vcc_lo, s15, v3, vcc_lo
	v_lshlrev_b64 v[4:5], 3, v[12:13]
	ds_load_b64 v[16:17], v18 offset:2048
	s_mov_b32 s25, 0
	global_load_b64 v[2:3], v[2:3], off
	v_add_co_u32 v14, vcc_lo, s20, v4
	v_add_co_ci_u32_e32 v15, vcc_lo, s21, v5, vcc_lo
	global_load_b64 v[4:5], v[14:15], off
	s_waitcnt vmcnt(1) lgkmcnt(0)
	v_mul_f64 v[16:17], v[16:17], v[2:3]
.LBB16_100:                             ; =>This Inner Loop Header: Depth=1
	s_waitcnt vmcnt(0)
	s_delay_alu instid0(VALU_DEP_1)
	v_add_f64 v[2:3], v[4:5], v[16:17]
	global_atomic_cmpswap_b64 v[2:3], v[14:15], v[2:5], off glc
	s_waitcnt vmcnt(0)
	v_cmp_eq_u64_e32 vcc_lo, v[2:3], v[4:5]
	v_dual_mov_b32 v5, v3 :: v_dual_mov_b32 v4, v2
	s_or_b32 s25, vcc_lo, s25
	s_delay_alu instid0(SALU_CYCLE_1)
	s_and_not1_b32 exec_lo, exec_lo, s25
	s_cbranch_execnz .LBB16_100
; %bb.101:
	s_or_b32 exec_lo, exec_lo, s25
                                        ; implicit-def: $vgpr2_vgpr3
.LBB16_102:
	s_and_not1_saveexec_b32 s0, s0
	s_cbranch_execz .LBB16_106
; %bb.103:
	v_add_co_u32 v2, vcc_lo, s14, v2
	v_add_co_ci_u32_e32 v3, vcc_lo, s15, v3, vcc_lo
	ds_load_b64 v[4:5], v18 offset:2048
	s_mov_b32 s0, 0
	global_load_b64 v[2:3], v[2:3], off
	s_waitcnt vmcnt(0) lgkmcnt(0)
	v_mul_f64 v[2:3], v[4:5], v[2:3]
	v_subrev_nc_u32_e32 v4, s12, v12
	s_delay_alu instid0(VALU_DEP_1)
	v_lshl_add_u32 v14, v4, 3, 0x2000
	ds_load_b64 v[4:5], v14
.LBB16_104:                             ; =>This Inner Loop Header: Depth=1
	s_waitcnt lgkmcnt(0)
	v_add_f64 v[15:16], v[4:5], v[2:3]
	ds_cmpstore_rtn_b64 v[15:16], v14, v[15:16], v[4:5]
	s_waitcnt lgkmcnt(0)
	v_cmp_eq_u64_e32 vcc_lo, v[15:16], v[4:5]
	v_dual_mov_b32 v4, v15 :: v_dual_mov_b32 v5, v16
	s_or_b32 s0, vcc_lo, s0
	s_delay_alu instid0(SALU_CYCLE_1)
	s_and_not1_b32 exec_lo, exec_lo, s0
	s_cbranch_execnz .LBB16_104
; %bb.105:
	s_or_b32 exec_lo, exec_lo, s0
.LBB16_106:
	s_delay_alu instid0(SALU_CYCLE_1)
	s_or_b32 exec_lo, exec_lo, s7
	v_lshlrev_b64 v[2:3], 3, v[12:13]
	ds_load_b64 v[4:5], v18 offset:2048
	v_dual_mov_b32 v12, s30 :: v_dual_mov_b32 v13, s31
	v_add_co_u32 v2, vcc_lo, s14, v2
	v_add_co_ci_u32_e32 v3, vcc_lo, s15, v3, vcc_lo
	v_cmp_ne_u32_e32 vcc_lo, 1, v19
	global_load_b64 v[2:3], v[2:3], off
	s_and_b32 vcc_lo, exec_lo, vcc_lo
	s_waitcnt vmcnt(0) lgkmcnt(0)
	v_mul_f64 v[14:15], v[2:3], v[4:5]
	v_add_co_u32 v2, s0, 0x200, v6
	s_delay_alu instid0(VALU_DEP_1)
	v_add_co_ci_u32_e64 v3, s0, 0, v7, s0
	v_dual_mov_b32 v4, s16 :: v_dual_mov_b32 v5, s17
	ds_store_b64 v18, v[14:15] offset:2048
	s_cbranch_vccnz .LBB16_110
; %bb.107:
	v_dual_mov_b32 v4, s16 :: v_dual_mov_b32 v5, s17
	v_dual_mov_b32 v12, s30 :: v_dual_mov_b32 v13, s31
	s_mov_b32 s7, 0
	s_set_inst_prefetch_distance 0x1
	.p2align	6
.LBB16_108:                             ; =>This Inner Loop Header: Depth=1
	s_delay_alu instid0(VALU_DEP_1) | instskip(NEXT) | instid1(VALU_DEP_2)
	v_add_co_u32 v6, vcc_lo, v12, v4
	v_add_co_ci_u32_e32 v7, vcc_lo, v13, v5, vcc_lo
	s_delay_alu instid0(VALU_DEP_1) | instskip(NEXT) | instid1(VALU_DEP_1)
	v_lshrrev_b32_e32 v14, 31, v7
	v_add_co_u32 v6, vcc_lo, v6, v14
	v_add_co_ci_u32_e32 v7, vcc_lo, 0, v7, vcc_lo
	s_delay_alu instid0(VALU_DEP_1) | instskip(NEXT) | instid1(VALU_DEP_1)
	v_ashrrev_i64 v[6:7], 1, v[6:7]
	v_lshlrev_b64 v[14:15], 3, v[6:7]
	s_delay_alu instid0(VALU_DEP_1) | instskip(NEXT) | instid1(VALU_DEP_2)
	v_add_co_u32 v14, vcc_lo, s8, v14
	v_add_co_ci_u32_e32 v15, vcc_lo, s9, v15, vcc_lo
	global_load_b64 v[14:15], v[14:15], off
	s_waitcnt vmcnt(0)
	v_sub_co_u32 v14, vcc_lo, v14, s24
	v_subrev_co_ci_u32_e32 v15, vcc_lo, 0, v15, vcc_lo
	s_delay_alu instid0(VALU_DEP_1) | instskip(SKIP_2) | instid1(VALU_DEP_2)
	v_cmp_gt_i64_e32 vcc_lo, v[14:15], v[2:3]
	v_dual_cndmask_b32 v13, v13, v7 :: v_dual_cndmask_b32 v12, v12, v6
	v_dual_cndmask_b32 v5, v7, v5 :: v_dual_cndmask_b32 v4, v6, v4
	v_add_co_u32 v6, vcc_lo, v12, -1
	s_delay_alu instid0(VALU_DEP_3) | instskip(NEXT) | instid1(VALU_DEP_3)
	v_add_co_ci_u32_e32 v7, vcc_lo, -1, v13, vcc_lo
	v_cmp_ge_i64_e32 vcc_lo, v[4:5], v[12:13]
	s_delay_alu instid0(VALU_DEP_2) | instskip(NEXT) | instid1(VALU_DEP_1)
	v_cmp_eq_u64_e64 s0, v[4:5], v[6:7]
	s_or_b32 s0, vcc_lo, s0
	s_delay_alu instid0(SALU_CYCLE_1) | instskip(NEXT) | instid1(SALU_CYCLE_1)
	s_and_b32 s0, exec_lo, s0
	s_or_b32 s7, s0, s7
	s_delay_alu instid0(SALU_CYCLE_1)
	s_and_not1_b32 exec_lo, exec_lo, s7
	s_cbranch_execnz .LBB16_108
; %bb.109:
	s_set_inst_prefetch_distance 0x2
	s_or_b32 exec_lo, exec_lo, s7
.LBB16_110:
	v_lshlrev_b64 v[6:7], 3, v[12:13]
	s_mov_b32 s7, exec_lo
	s_delay_alu instid0(VALU_DEP_1) | instskip(NEXT) | instid1(VALU_DEP_2)
	v_add_co_u32 v6, vcc_lo, s8, v6
	v_add_co_ci_u32_e32 v7, vcc_lo, s9, v7, vcc_lo
	global_load_b64 v[6:7], v[6:7], off
	global_load_b32 v14, v[10:11], off offset:2048
	s_waitcnt vmcnt(1)
	v_sub_co_u32 v6, vcc_lo, v6, s24
	v_subrev_co_ci_u32_e32 v7, vcc_lo, 0, v7, vcc_lo
	s_delay_alu instid0(VALU_DEP_1) | instskip(SKIP_2) | instid1(VALU_DEP_1)
	v_cmp_gt_i64_e32 vcc_lo, v[6:7], v[2:3]
	s_waitcnt vmcnt(0)
	v_subrev_nc_u32_e32 v6, s24, v14
	v_ashrrev_i32_e32 v7, 31, v6
	v_dual_cndmask_b32 v5, v13, v5 :: v_dual_cndmask_b32 v4, v12, v4
	s_delay_alu instid0(VALU_DEP_1)
	v_cmpx_ne_u64_e64 v[4:5], v[6:7]
	s_cbranch_execz .LBB16_120
; %bb.111:
	s_load_b64 s[34:35], s[10:11], 0x0
	s_waitcnt lgkmcnt(0)
	s_sub_u32 s34, s34, s24
	s_subb_u32 s35, s35, 0
	s_delay_alu instid0(SALU_CYCLE_1)
	v_cmp_gt_i64_e32 vcc_lo, s[34:35], v[2:3]
	s_and_b32 exec_lo, exec_lo, vcc_lo
	s_cbranch_execz .LBB16_120
; %bb.112:
	v_cmp_gt_i64_e32 vcc_lo, s[12:13], v[6:7]
	v_cmp_le_i64_e64 s0, s[18:19], v[6:7]
	v_lshlrev_b64 v[2:3], 3, v[4:5]
	s_delay_alu instid0(VALU_DEP_2) | instskip(NEXT) | instid1(SALU_CYCLE_1)
	s_or_b32 s0, vcc_lo, s0
	s_and_saveexec_b32 s25, s0
	s_delay_alu instid0(SALU_CYCLE_1)
	s_xor_b32 s0, exec_lo, s25
	s_cbranch_execz .LBB16_116
; %bb.113:
	s_delay_alu instid0(VALU_DEP_1)
	v_add_co_u32 v2, vcc_lo, s14, v2
	v_add_co_ci_u32_e32 v3, vcc_lo, s15, v3, vcc_lo
	v_lshlrev_b64 v[4:5], 3, v[6:7]
	ds_load_b64 v[14:15], v18 offset:4096
	s_mov_b32 s25, 0
	global_load_b64 v[2:3], v[2:3], off
	v_add_co_u32 v12, vcc_lo, s20, v4
	v_add_co_ci_u32_e32 v13, vcc_lo, s21, v5, vcc_lo
	global_load_b64 v[4:5], v[12:13], off
	s_waitcnt vmcnt(1) lgkmcnt(0)
	v_mul_f64 v[14:15], v[14:15], v[2:3]
.LBB16_114:                             ; =>This Inner Loop Header: Depth=1
	s_waitcnt vmcnt(0)
	s_delay_alu instid0(VALU_DEP_1)
	v_add_f64 v[2:3], v[4:5], v[14:15]
	global_atomic_cmpswap_b64 v[2:3], v[12:13], v[2:5], off glc
	s_waitcnt vmcnt(0)
	v_cmp_eq_u64_e32 vcc_lo, v[2:3], v[4:5]
	v_dual_mov_b32 v5, v3 :: v_dual_mov_b32 v4, v2
	s_or_b32 s25, vcc_lo, s25
	s_delay_alu instid0(SALU_CYCLE_1)
	s_and_not1_b32 exec_lo, exec_lo, s25
	s_cbranch_execnz .LBB16_114
; %bb.115:
	s_or_b32 exec_lo, exec_lo, s25
                                        ; implicit-def: $vgpr2_vgpr3
.LBB16_116:
	s_and_not1_saveexec_b32 s0, s0
	s_cbranch_execz .LBB16_120
; %bb.117:
	v_add_co_u32 v2, vcc_lo, s14, v2
	v_add_co_ci_u32_e32 v3, vcc_lo, s15, v3, vcc_lo
	ds_load_b64 v[4:5], v18 offset:4096
	s_mov_b32 s0, 0
	global_load_b64 v[2:3], v[2:3], off
	s_waitcnt vmcnt(0) lgkmcnt(0)
	v_mul_f64 v[2:3], v[4:5], v[2:3]
	v_subrev_nc_u32_e32 v4, s12, v6
	s_delay_alu instid0(VALU_DEP_1)
	v_lshl_add_u32 v12, v4, 3, 0x2000
	ds_load_b64 v[4:5], v12
.LBB16_118:                             ; =>This Inner Loop Header: Depth=1
	s_waitcnt lgkmcnt(0)
	v_add_f64 v[13:14], v[4:5], v[2:3]
	ds_cmpstore_rtn_b64 v[13:14], v12, v[13:14], v[4:5]
	s_waitcnt lgkmcnt(0)
	v_cmp_eq_u64_e32 vcc_lo, v[13:14], v[4:5]
	v_dual_mov_b32 v4, v13 :: v_dual_mov_b32 v5, v14
	s_or_b32 s0, vcc_lo, s0
	s_delay_alu instid0(SALU_CYCLE_1)
	s_and_not1_b32 exec_lo, exec_lo, s0
	s_cbranch_execnz .LBB16_118
; %bb.119:
	s_or_b32 exec_lo, exec_lo, s0
.LBB16_120:
	s_delay_alu instid0(SALU_CYCLE_1)
	s_or_b32 exec_lo, exec_lo, s7
	v_lshlrev_b64 v[2:3], 3, v[6:7]
	ds_load_b64 v[4:5], v18 offset:4096
	v_add_co_u32 v2, vcc_lo, s14, v2
	v_add_co_ci_u32_e32 v3, vcc_lo, s15, v3, vcc_lo
	v_cmp_ne_u32_e32 vcc_lo, 1, v19
	global_load_b64 v[2:3], v[2:3], off
	s_and_b32 vcc_lo, exec_lo, vcc_lo
	s_waitcnt vmcnt(0) lgkmcnt(0)
	v_mul_f64 v[6:7], v[2:3], v[4:5]
	v_dual_mov_b32 v2, s16 :: v_dual_mov_b32 v3, s17
	v_dual_mov_b32 v4, s30 :: v_dual_mov_b32 v5, s31
	ds_store_b64 v18, v[6:7] offset:4096
	s_cbranch_vccnz .LBB16_124
; %bb.121:
	v_dual_mov_b32 v2, s16 :: v_dual_mov_b32 v3, s17
	v_dual_mov_b32 v4, s30 :: v_dual_mov_b32 v5, s31
	s_mov_b32 s7, 0
	s_set_inst_prefetch_distance 0x1
	.p2align	6
.LBB16_122:                             ; =>This Inner Loop Header: Depth=1
	s_delay_alu instid0(VALU_DEP_1) | instskip(NEXT) | instid1(VALU_DEP_2)
	v_add_co_u32 v6, vcc_lo, v4, v2
	v_add_co_ci_u32_e32 v7, vcc_lo, v5, v3, vcc_lo
	s_delay_alu instid0(VALU_DEP_1) | instskip(NEXT) | instid1(VALU_DEP_1)
	v_lshrrev_b32_e32 v12, 31, v7
	v_add_co_u32 v6, vcc_lo, v6, v12
	v_add_co_ci_u32_e32 v7, vcc_lo, 0, v7, vcc_lo
	s_delay_alu instid0(VALU_DEP_1) | instskip(NEXT) | instid1(VALU_DEP_1)
	v_ashrrev_i64 v[6:7], 1, v[6:7]
	v_lshlrev_b64 v[12:13], 3, v[6:7]
	s_delay_alu instid0(VALU_DEP_1) | instskip(NEXT) | instid1(VALU_DEP_2)
	v_add_co_u32 v12, vcc_lo, s8, v12
	v_add_co_ci_u32_e32 v13, vcc_lo, s9, v13, vcc_lo
	global_load_b64 v[12:13], v[12:13], off
	s_waitcnt vmcnt(0)
	v_sub_co_u32 v12, vcc_lo, v12, s24
	v_subrev_co_ci_u32_e32 v13, vcc_lo, 0, v13, vcc_lo
	s_delay_alu instid0(VALU_DEP_1) | instskip(SKIP_2) | instid1(VALU_DEP_2)
	v_cmp_gt_i64_e32 vcc_lo, v[12:13], v[8:9]
	v_dual_cndmask_b32 v5, v5, v7 :: v_dual_cndmask_b32 v4, v4, v6
	v_dual_cndmask_b32 v3, v7, v3 :: v_dual_cndmask_b32 v2, v6, v2
	v_add_co_u32 v6, vcc_lo, v4, -1
	s_delay_alu instid0(VALU_DEP_3) | instskip(NEXT) | instid1(VALU_DEP_3)
	v_add_co_ci_u32_e32 v7, vcc_lo, -1, v5, vcc_lo
	v_cmp_ge_i64_e32 vcc_lo, v[2:3], v[4:5]
	s_delay_alu instid0(VALU_DEP_2) | instskip(NEXT) | instid1(VALU_DEP_1)
	v_cmp_eq_u64_e64 s0, v[2:3], v[6:7]
	s_or_b32 s0, vcc_lo, s0
	s_delay_alu instid0(SALU_CYCLE_1) | instskip(NEXT) | instid1(SALU_CYCLE_1)
	s_and_b32 s0, exec_lo, s0
	s_or_b32 s7, s0, s7
	s_delay_alu instid0(SALU_CYCLE_1)
	s_and_not1_b32 exec_lo, exec_lo, s7
	s_cbranch_execnz .LBB16_122
; %bb.123:
	s_set_inst_prefetch_distance 0x2
	s_or_b32 exec_lo, exec_lo, s7
.LBB16_124:
	v_lshlrev_b64 v[6:7], 3, v[4:5]
	s_mov_b32 s7, exec_lo
	s_delay_alu instid0(VALU_DEP_1) | instskip(NEXT) | instid1(VALU_DEP_2)
	v_add_co_u32 v6, vcc_lo, s8, v6
	v_add_co_ci_u32_e32 v7, vcc_lo, s9, v7, vcc_lo
	global_load_b64 v[6:7], v[6:7], off
	global_load_b32 v10, v[10:11], off offset:3072
	s_waitcnt vmcnt(1)
	v_sub_co_u32 v6, vcc_lo, v6, s24
	v_subrev_co_ci_u32_e32 v7, vcc_lo, 0, v7, vcc_lo
	s_delay_alu instid0(VALU_DEP_1) | instskip(SKIP_2) | instid1(VALU_DEP_1)
	v_cmp_gt_i64_e32 vcc_lo, v[6:7], v[8:9]
	s_waitcnt vmcnt(0)
	v_subrev_nc_u32_e32 v6, s24, v10
	v_ashrrev_i32_e32 v7, 31, v6
	v_dual_cndmask_b32 v3, v5, v3 :: v_dual_cndmask_b32 v2, v4, v2
	s_delay_alu instid0(VALU_DEP_1)
	v_cmpx_ne_u64_e64 v[2:3], v[6:7]
	s_cbranch_execz .LBB16_134
; %bb.125:
	s_load_b64 s[10:11], s[10:11], 0x0
	s_waitcnt lgkmcnt(0)
	s_sub_u32 s10, s10, s24
	s_subb_u32 s11, s11, 0
	s_delay_alu instid0(SALU_CYCLE_1)
	v_cmp_gt_i64_e32 vcc_lo, s[10:11], v[8:9]
	s_and_b32 exec_lo, exec_lo, vcc_lo
	s_cbranch_execz .LBB16_134
; %bb.126:
	v_cmp_gt_i64_e32 vcc_lo, s[12:13], v[6:7]
	v_cmp_le_i64_e64 s0, s[18:19], v[6:7]
	v_lshlrev_b64 v[2:3], 3, v[2:3]
	s_delay_alu instid0(VALU_DEP_2) | instskip(NEXT) | instid1(SALU_CYCLE_1)
	s_or_b32 s0, vcc_lo, s0
	s_and_saveexec_b32 s10, s0
	s_delay_alu instid0(SALU_CYCLE_1)
	s_xor_b32 s0, exec_lo, s10
	s_cbranch_execz .LBB16_130
; %bb.127:
	s_delay_alu instid0(VALU_DEP_1)
	v_add_co_u32 v2, vcc_lo, s14, v2
	v_add_co_ci_u32_e32 v3, vcc_lo, s15, v3, vcc_lo
	v_lshlrev_b64 v[4:5], 3, v[6:7]
	ds_load_b64 v[10:11], v18 offset:6144
	s_mov_b32 s10, 0
	global_load_b64 v[2:3], v[2:3], off
	v_add_co_u32 v8, vcc_lo, s20, v4
	v_add_co_ci_u32_e32 v9, vcc_lo, s21, v5, vcc_lo
	global_load_b64 v[4:5], v[8:9], off
	s_waitcnt vmcnt(1) lgkmcnt(0)
	v_mul_f64 v[10:11], v[10:11], v[2:3]
.LBB16_128:                             ; =>This Inner Loop Header: Depth=1
	s_waitcnt vmcnt(0)
	s_delay_alu instid0(VALU_DEP_1)
	v_add_f64 v[2:3], v[4:5], v[10:11]
	global_atomic_cmpswap_b64 v[2:3], v[8:9], v[2:5], off glc
	s_waitcnt vmcnt(0)
	v_cmp_eq_u64_e32 vcc_lo, v[2:3], v[4:5]
	v_dual_mov_b32 v5, v3 :: v_dual_mov_b32 v4, v2
	s_or_b32 s10, vcc_lo, s10
	s_delay_alu instid0(SALU_CYCLE_1)
	s_and_not1_b32 exec_lo, exec_lo, s10
	s_cbranch_execnz .LBB16_128
; %bb.129:
	s_or_b32 exec_lo, exec_lo, s10
                                        ; implicit-def: $vgpr2_vgpr3
.LBB16_130:
	s_and_not1_saveexec_b32 s0, s0
	s_cbranch_execz .LBB16_134
; %bb.131:
	v_add_co_u32 v2, vcc_lo, s14, v2
	v_add_co_ci_u32_e32 v3, vcc_lo, s15, v3, vcc_lo
	ds_load_b64 v[4:5], v18 offset:6144
	s_mov_b32 s0, 0
	global_load_b64 v[2:3], v[2:3], off
	s_waitcnt vmcnt(0) lgkmcnt(0)
	v_mul_f64 v[2:3], v[4:5], v[2:3]
	v_subrev_nc_u32_e32 v4, s12, v6
	s_delay_alu instid0(VALU_DEP_1)
	v_lshl_add_u32 v8, v4, 3, 0x2000
	ds_load_b64 v[4:5], v8
.LBB16_132:                             ; =>This Inner Loop Header: Depth=1
	s_waitcnt lgkmcnt(0)
	v_add_f64 v[9:10], v[4:5], v[2:3]
	ds_cmpstore_rtn_b64 v[9:10], v8, v[9:10], v[4:5]
	s_waitcnt lgkmcnt(0)
	v_cmp_eq_u64_e32 vcc_lo, v[9:10], v[4:5]
	v_dual_mov_b32 v4, v9 :: v_dual_mov_b32 v5, v10
	s_or_b32 s0, vcc_lo, s0
	s_delay_alu instid0(SALU_CYCLE_1)
	s_and_not1_b32 exec_lo, exec_lo, s0
	s_cbranch_execnz .LBB16_132
; %bb.133:
	s_or_b32 exec_lo, exec_lo, s0
.LBB16_134:
	s_delay_alu instid0(SALU_CYCLE_1)
	s_or_b32 exec_lo, exec_lo, s7
	v_lshlrev_b64 v[2:3], 3, v[6:7]
	ds_load_b64 v[4:5], v18 offset:6144
	v_add_co_u32 v2, vcc_lo, s14, v2
	v_add_co_ci_u32_e32 v3, vcc_lo, s15, v3, vcc_lo
	global_load_b64 v[2:3], v[2:3], off
	s_waitcnt vmcnt(0) lgkmcnt(0)
	v_mul_f64 v[2:3], v[2:3], v[4:5]
	ds_store_b64 v18, v[2:3] offset:6144
.LBB16_135:
	s_or_b32 exec_lo, exec_lo, s1
	v_cmp_lt_i64_e64 s0, s[18:19], s[2:3]
	s_waitcnt lgkmcnt(0)
	s_barrier
	buffer_gl0_inv
	s_and_b32 s0, s0, exec_lo
	s_cselect_b32 s1, s18, s2
	s_cselect_b32 s0, s19, s3
	s_sub_u32 s2, s1, s22
	s_subb_u32 s3, s0, s23
	s_mov_b32 s0, exec_lo
	v_cmpx_gt_i64_e64 s[2:3], v[0:1]
	s_cbranch_execz .LBB16_140
; %bb.136:
	s_lshl_b64 s[10:11], s[12:13], 3
	v_dual_mov_b32 v7, v1 :: v_dual_mov_b32 v6, v0
	s_add_u32 s7, s20, s10
	s_addc_u32 s10, s21, s11
	s_mov_b32 s11, 0
	.p2align	6
.LBB16_137:                             ; =>This Loop Header: Depth=1
                                        ;     Child Loop BB16_138 Depth 2
	s_delay_alu instid0(VALU_DEP_1) | instskip(SKIP_1) | instid1(VALU_DEP_1)
	v_lshlrev_b64 v[2:3], 3, v[6:7]
	s_mov_b32 s12, 0
	v_add_co_u32 v8, vcc_lo, s7, v2
	s_delay_alu instid0(VALU_DEP_2)
	v_add_co_ci_u32_e32 v9, vcc_lo, s10, v3, vcc_lo
	v_lshl_add_u32 v2, v6, 3, 0x2000
	global_load_b64 v[4:5], v[8:9], off
	ds_load_b64 v[10:11], v2
.LBB16_138:                             ;   Parent Loop BB16_137 Depth=1
                                        ; =>  This Inner Loop Header: Depth=2
	s_waitcnt vmcnt(0) lgkmcnt(0)
	v_add_f64 v[2:3], v[4:5], v[10:11]
	global_atomic_cmpswap_b64 v[2:3], v[8:9], v[2:5], off glc
	s_waitcnt vmcnt(0)
	v_cmp_eq_u64_e32 vcc_lo, v[2:3], v[4:5]
	v_dual_mov_b32 v5, v3 :: v_dual_mov_b32 v4, v2
	s_or_b32 s12, vcc_lo, s12
	s_delay_alu instid0(SALU_CYCLE_1)
	s_and_not1_b32 exec_lo, exec_lo, s12
	s_cbranch_execnz .LBB16_138
; %bb.139:                              ;   in Loop: Header=BB16_137 Depth=1
	s_or_b32 exec_lo, exec_lo, s12
	v_add_co_u32 v6, vcc_lo, 0x100, v6
	v_add_co_ci_u32_e32 v7, vcc_lo, 0, v7, vcc_lo
	s_delay_alu instid0(VALU_DEP_1) | instskip(SKIP_1) | instid1(SALU_CYCLE_1)
	v_cmp_le_i64_e32 vcc_lo, s[2:3], v[6:7]
	s_or_b32 s11, vcc_lo, s11
	s_and_not1_b32 exec_lo, exec_lo, s11
	s_cbranch_execnz .LBB16_137
.LBB16_140:
	s_or_b32 exec_lo, exec_lo, s0
	s_add_i32 s0, s28, -1
	v_add_co_u32 v6, s10, s16, v0
	s_ashr_i32 s3, s0, 1
	v_add_co_ci_u32_e64 v7, null, s17, 0, s10
	s_or_b32 s0, s3, s0
	s_delay_alu instid0(SALU_CYCLE_1) | instskip(SKIP_4) | instid1(SALU_CYCLE_1)
	s_ashr_i32 s3, s0, 2
	s_barrier
	s_or_b32 s0, s3, s0
	buffer_gl0_inv
	s_ashr_i32 s3, s0, 4
	s_or_b32 s0, s3, s0
	s_delay_alu instid0(SALU_CYCLE_1) | instskip(NEXT) | instid1(SALU_CYCLE_1)
	s_ashr_i32 s3, s0, 8
	s_or_b32 s0, s3, s0
	s_delay_alu instid0(SALU_CYCLE_1) | instskip(NEXT) | instid1(SALU_CYCLE_1)
	s_ashr_i32 s3, s0, 16
	s_or_b32 s3, s3, s0
	s_mov_b32 s0, -1
	s_add_i32 s3, s3, 1
	s_delay_alu instid0(SALU_CYCLE_1) | instskip(NEXT) | instid1(SALU_CYCLE_1)
	s_ashr_i32 s7, s3, 1
	s_cmp_gt_i32 s7, 1
	s_cbranch_scc1 .LBB16_151
; %bb.141:
	s_mov_b32 s0, exec_lo
	v_cmpx_gt_i64_e64 s[18:19], v[6:7]
	s_cbranch_execz .LBB16_150
; %bb.142:
	s_sub_i32 s1, s1, s18
	v_dual_mov_b32 v9, v7 :: v_dual_mov_b32 v8, v6
	s_lshl_b32 s11, s4, 3
	s_lshl_b32 s1, s1, 3
	s_mov_b32 s10, 0
	s_addk_i32 s1, 0x2000
	s_sub_i32 s11, 0, s11
.LBB16_143:                             ; =>This Loop Header: Depth=1
                                        ;     Child Loop BB16_145 Depth 2
                                        ;     Child Loop BB16_148 Depth 2
	v_lshlrev_b64 v[10:11], 3, v[8:9]
	v_mov_b32_e32 v12, 0
	v_mov_b32_e32 v13, 0
	s_mov_b32 s12, exec_lo
	s_delay_alu instid0(VALU_DEP_3) | instskip(NEXT) | instid1(VALU_DEP_4)
	v_add_co_u32 v2, vcc_lo, s8, v10
	v_add_co_ci_u32_e32 v3, vcc_lo, s9, v11, vcc_lo
	global_load_b128 v[2:5], v[2:3], off
	s_waitcnt vmcnt(0)
	v_cmpx_lt_i64_e64 v[2:3], v[4:5]
	s_cbranch_execz .LBB16_147
; %bb.144:                              ;   in Loop: Header=BB16_143 Depth=1
	v_sub_co_u32 v4, vcc_lo, v4, s4
	v_subrev_co_ci_u32_e32 v5, vcc_lo, s5, v5, vcc_lo
	v_sub_co_u32 v14, vcc_lo, v2, s4
	v_mov_b32_e32 v12, 0
	v_subrev_co_ci_u32_e32 v15, vcc_lo, s5, v3, vcc_lo
	v_mov_b32_e32 v13, 0
	v_lshl_add_u32 v2, v2, 3, s11
	s_mov_b32 s13, 0
.LBB16_145:                             ;   Parent Loop BB16_143 Depth=1
                                        ; =>  This Inner Loop Header: Depth=2
	ds_load_b64 v[16:17], v2
	v_add_co_u32 v14, vcc_lo, v14, 1
	v_add_co_ci_u32_e32 v15, vcc_lo, 0, v15, vcc_lo
	v_add_nc_u32_e32 v2, 8, v2
	s_delay_alu instid0(VALU_DEP_2)
	v_cmp_ge_i64_e32 vcc_lo, v[14:15], v[4:5]
	s_or_b32 s13, vcc_lo, s13
	s_waitcnt lgkmcnt(0)
	v_add_f64 v[12:13], v[12:13], v[16:17]
	s_and_not1_b32 exec_lo, exec_lo, s13
	s_cbranch_execnz .LBB16_145
; %bb.146:                              ;   in Loop: Header=BB16_143 Depth=1
	s_or_b32 exec_lo, exec_lo, s13
.LBB16_147:                             ;   in Loop: Header=BB16_143 Depth=1
	s_delay_alu instid0(SALU_CYCLE_1)
	s_or_b32 exec_lo, exec_lo, s12
	v_add_co_u32 v10, vcc_lo, s20, v10
	v_add_co_ci_u32_e32 v11, vcc_lo, s21, v11, vcc_lo
	v_lshl_add_u32 v2, v8, 3, s1
	s_mov_b32 s12, 0
	global_load_b64 v[4:5], v[10:11], off
	ds_load_b64 v[2:3], v2
	s_waitcnt lgkmcnt(0)
	v_add_f64 v[12:13], v[12:13], v[2:3]
.LBB16_148:                             ;   Parent Loop BB16_143 Depth=1
                                        ; =>  This Inner Loop Header: Depth=2
	s_waitcnt vmcnt(0)
	s_delay_alu instid0(VALU_DEP_1)
	v_add_f64 v[2:3], v[4:5], v[12:13]
	global_atomic_cmpswap_b64 v[2:3], v[10:11], v[2:5], off glc
	s_waitcnt vmcnt(0)
	v_cmp_eq_u64_e32 vcc_lo, v[2:3], v[4:5]
	v_dual_mov_b32 v5, v3 :: v_dual_mov_b32 v4, v2
	s_or_b32 s12, vcc_lo, s12
	s_delay_alu instid0(SALU_CYCLE_1)
	s_and_not1_b32 exec_lo, exec_lo, s12
	s_cbranch_execnz .LBB16_148
; %bb.149:                              ;   in Loop: Header=BB16_143 Depth=1
	s_or_b32 exec_lo, exec_lo, s12
	v_add_co_u32 v8, vcc_lo, v8, s6
	v_add_co_ci_u32_e32 v9, vcc_lo, 0, v9, vcc_lo
	s_delay_alu instid0(VALU_DEP_1) | instskip(SKIP_1) | instid1(SALU_CYCLE_1)
	v_cmp_le_i64_e32 vcc_lo, s[18:19], v[8:9]
	s_or_b32 s10, vcc_lo, s10
	s_and_not1_b32 exec_lo, exec_lo, s10
	s_cbranch_execnz .LBB16_143
.LBB16_150:
	s_or_b32 exec_lo, exec_lo, s0
	s_mov_b32 s0, 0
.LBB16_151:
	s_delay_alu instid0(SALU_CYCLE_1)
	s_and_not1_b32 vcc_lo, exec_lo, s0
	s_cbranch_vccnz .LBB16_180
; %bb.152:
	v_cvt_f32_u32_e32 v13, s7
	s_sub_i32 s1, 0, s7
	v_mov_b32_e32 v11, 0
	s_delay_alu instid0(VALU_DEP_2) | instskip(SKIP_2) | instid1(VALU_DEP_1)
	v_rcp_iflag_f32_e32 v2, v13
	s_waitcnt_depctr 0xfff
	v_mul_f32_e32 v2, 0x4f7ffffe, v2
	v_cvt_u32_f32_e32 v2, v2
	s_delay_alu instid0(VALU_DEP_1) | instskip(NEXT) | instid1(VALU_DEP_1)
	v_mul_lo_u32 v3, s1, v2
	v_mul_hi_u32 v3, v2, v3
	s_delay_alu instid0(VALU_DEP_1) | instskip(NEXT) | instid1(VALU_DEP_1)
	v_add_nc_u32_e32 v2, v2, v3
	v_mul_hi_u32 v2, v0, v2
	s_delay_alu instid0(VALU_DEP_1) | instskip(SKIP_1) | instid1(VALU_DEP_2)
	v_mul_lo_u32 v3, v2, s7
	v_add_nc_u32_e32 v4, 1, v2
	v_sub_nc_u32_e32 v3, v0, v3
	s_delay_alu instid0(VALU_DEP_1) | instskip(SKIP_1) | instid1(VALU_DEP_2)
	v_subrev_nc_u32_e32 v5, s7, v3
	v_cmp_le_u32_e32 vcc_lo, s7, v3
	v_dual_cndmask_b32 v2, v2, v4 :: v_dual_cndmask_b32 v3, v3, v5
	s_delay_alu instid0(VALU_DEP_1) | instskip(NEXT) | instid1(VALU_DEP_2)
	v_add_nc_u32_e32 v4, 1, v2
	v_cmp_le_u32_e32 vcc_lo, s7, v3
	s_delay_alu instid0(VALU_DEP_2) | instskip(NEXT) | instid1(VALU_DEP_1)
	v_cndmask_b32_e32 v10, v2, v4, vcc_lo
	v_lshlrev_b64 v[2:3], 3, v[10:11]
	s_delay_alu instid0(VALU_DEP_1) | instskip(NEXT) | instid1(VALU_DEP_2)
	v_add_co_u32 v2, vcc_lo, s26, v2
	v_add_co_ci_u32_e32 v3, vcc_lo, s27, v3, vcc_lo
	global_load_b128 v[2:5], v[2:3], off
	s_waitcnt vmcnt(0)
	v_sub_co_u32 v8, vcc_lo, v2, s4
	v_subrev_co_ci_u32_e32 v9, vcc_lo, s5, v3, vcc_lo
	v_sub_co_u32 v16, vcc_lo, v4, s4
	v_subrev_co_ci_u32_e32 v17, vcc_lo, s5, v5, vcc_lo
	v_mov_b32_e32 v4, v11
	s_delay_alu instid0(VALU_DEP_3) | instskip(NEXT) | instid1(VALU_DEP_3)
	v_sub_co_u32 v12, vcc_lo, v16, v8
	v_sub_co_ci_u32_e32 v5, vcc_lo, v17, v9, vcc_lo
	s_delay_alu instid0(VALU_DEP_1) | instskip(SKIP_1) | instid1(SALU_CYCLE_1)
	v_cmp_ne_u64_e32 vcc_lo, 0, v[4:5]
                                        ; implicit-def: $vgpr3_vgpr4
	s_and_saveexec_b32 s0, vcc_lo
	s_xor_b32 s5, exec_lo, s0
	s_cbranch_execz .LBB16_154
; %bb.153:
	v_cvt_f32_ubyte0_e32 v3, 0
	s_sub_u32 s0, 0, s7
	s_subb_u32 s6, 0, 0
	s_delay_alu instid0(VALU_DEP_1) | instskip(NEXT) | instid1(VALU_DEP_1)
	v_fmamk_f32 v3, v3, 0x4f800000, v13
	v_rcp_f32_e32 v3, v3
	s_waitcnt_depctr 0xfff
	v_mul_f32_e32 v3, 0x5f7ffffc, v3
	s_delay_alu instid0(VALU_DEP_1) | instskip(NEXT) | instid1(VALU_DEP_1)
	v_mul_f32_e32 v4, 0x2f800000, v3
	v_trunc_f32_e32 v4, v4
	s_delay_alu instid0(VALU_DEP_1) | instskip(SKIP_1) | instid1(VALU_DEP_2)
	v_fmamk_f32 v3, v4, 0xcf800000, v3
	v_cvt_u32_f32_e32 v4, v4
	v_cvt_u32_f32_e32 v3, v3
	s_delay_alu instid0(VALU_DEP_2) | instskip(NEXT) | instid1(VALU_DEP_2)
	v_mul_lo_u32 v13, s0, v4
	v_mul_hi_u32 v14, s0, v3
	v_mul_lo_u32 v15, s6, v3
	s_delay_alu instid0(VALU_DEP_2) | instskip(SKIP_1) | instid1(VALU_DEP_2)
	v_add_nc_u32_e32 v13, v14, v13
	v_mul_lo_u32 v14, s0, v3
	v_add_nc_u32_e32 v13, v13, v15
	s_delay_alu instid0(VALU_DEP_2) | instskip(NEXT) | instid1(VALU_DEP_2)
	v_mul_hi_u32 v15, v3, v14
	v_mul_lo_u32 v19, v3, v13
	v_mul_hi_u32 v20, v3, v13
	v_mul_hi_u32 v21, v4, v14
	v_mul_lo_u32 v14, v4, v14
	v_mul_hi_u32 v22, v4, v13
	v_mul_lo_u32 v13, v4, v13
	v_add_co_u32 v15, vcc_lo, v15, v19
	v_add_co_ci_u32_e32 v19, vcc_lo, 0, v20, vcc_lo
	s_delay_alu instid0(VALU_DEP_2) | instskip(NEXT) | instid1(VALU_DEP_2)
	v_add_co_u32 v14, vcc_lo, v15, v14
	v_add_co_ci_u32_e32 v14, vcc_lo, v19, v21, vcc_lo
	v_add_co_ci_u32_e32 v15, vcc_lo, 0, v22, vcc_lo
	v_ashrrev_i32_e32 v21, 31, v5
	s_delay_alu instid0(VALU_DEP_3) | instskip(NEXT) | instid1(VALU_DEP_3)
	v_add_co_u32 v13, vcc_lo, v14, v13
	v_add_co_ci_u32_e32 v14, vcc_lo, 0, v15, vcc_lo
	s_delay_alu instid0(VALU_DEP_2) | instskip(NEXT) | instid1(VALU_DEP_2)
	v_add_co_u32 v3, vcc_lo, v3, v13
	v_add_co_ci_u32_e32 v4, vcc_lo, v4, v14, vcc_lo
	s_delay_alu instid0(VALU_DEP_2) | instskip(SKIP_1) | instid1(VALU_DEP_3)
	v_mul_hi_u32 v13, s0, v3
	v_mul_lo_u32 v15, s6, v3
	v_mul_lo_u32 v14, s0, v4
	s_delay_alu instid0(VALU_DEP_1) | instskip(SKIP_1) | instid1(VALU_DEP_2)
	v_add_nc_u32_e32 v13, v13, v14
	v_mul_lo_u32 v14, s0, v3
	v_add_nc_u32_e32 v13, v13, v15
	s_delay_alu instid0(VALU_DEP_2) | instskip(NEXT) | instid1(VALU_DEP_2)
	v_mul_hi_u32 v15, v3, v14
	v_mul_lo_u32 v19, v3, v13
	v_mul_hi_u32 v20, v3, v13
	v_mul_hi_u32 v22, v4, v14
	v_mul_lo_u32 v14, v4, v14
	v_mul_hi_u32 v23, v4, v13
	v_mul_lo_u32 v13, v4, v13
	v_add_co_u32 v15, vcc_lo, v15, v19
	v_add_co_ci_u32_e32 v19, vcc_lo, 0, v20, vcc_lo
	s_delay_alu instid0(VALU_DEP_2) | instskip(NEXT) | instid1(VALU_DEP_2)
	v_add_co_u32 v14, vcc_lo, v15, v14
	v_add_co_ci_u32_e32 v14, vcc_lo, v19, v22, vcc_lo
	v_add_co_ci_u32_e32 v15, vcc_lo, 0, v23, vcc_lo
	v_add_co_u32 v12, vcc_lo, v12, v21
	v_add_co_ci_u32_e32 v5, vcc_lo, v5, v21, vcc_lo
	s_delay_alu instid0(VALU_DEP_4) | instskip(NEXT) | instid1(VALU_DEP_4)
	v_add_co_u32 v13, vcc_lo, v14, v13
	v_add_co_ci_u32_e32 v14, vcc_lo, 0, v15, vcc_lo
	s_delay_alu instid0(VALU_DEP_4) | instskip(NEXT) | instid1(VALU_DEP_3)
	v_xor_b32_e32 v19, v12, v21
	v_add_co_u32 v15, vcc_lo, v3, v13
	s_delay_alu instid0(VALU_DEP_3) | instskip(SKIP_1) | instid1(VALU_DEP_3)
	v_add_co_ci_u32_e32 v20, vcc_lo, v4, v14, vcc_lo
	v_xor_b32_e32 v5, v5, v21
	v_mul_hi_u32 v22, v19, v15
	s_delay_alu instid0(VALU_DEP_3) | instskip(NEXT) | instid1(VALU_DEP_3)
	v_mad_u64_u32 v[3:4], null, v19, v20, 0
	v_mad_u64_u32 v[12:13], null, v5, v15, 0
	;; [unrolled: 1-line block ×3, first 2 shown]
	s_delay_alu instid0(VALU_DEP_3) | instskip(NEXT) | instid1(VALU_DEP_4)
	v_add_co_u32 v3, vcc_lo, v22, v3
	v_add_co_ci_u32_e32 v4, vcc_lo, 0, v4, vcc_lo
	s_delay_alu instid0(VALU_DEP_2) | instskip(NEXT) | instid1(VALU_DEP_2)
	v_add_co_u32 v3, vcc_lo, v3, v12
	v_add_co_ci_u32_e32 v3, vcc_lo, v4, v13, vcc_lo
	v_add_co_ci_u32_e32 v4, vcc_lo, 0, v15, vcc_lo
	s_delay_alu instid0(VALU_DEP_2) | instskip(NEXT) | instid1(VALU_DEP_2)
	v_add_co_u32 v14, vcc_lo, v3, v14
	v_add_co_ci_u32_e32 v15, vcc_lo, 0, v4, vcc_lo
	s_delay_alu instid0(VALU_DEP_2) | instskip(NEXT) | instid1(VALU_DEP_1)
	v_mad_u64_u32 v[3:4], null, s7, v14, 0
	v_mad_u64_u32 v[12:13], null, s7, v15, v[4:5]
	s_delay_alu instid0(VALU_DEP_2) | instskip(NEXT) | instid1(VALU_DEP_2)
	v_sub_co_u32 v3, vcc_lo, v19, v3
	v_sub_co_ci_u32_e32 v4, vcc_lo, v5, v12, vcc_lo
	s_delay_alu instid0(VALU_DEP_2) | instskip(NEXT) | instid1(VALU_DEP_2)
	v_sub_co_u32 v5, vcc_lo, v3, s7
	v_subrev_co_ci_u32_e32 v12, vcc_lo, 0, v4, vcc_lo
	s_delay_alu instid0(VALU_DEP_2)
	v_cmp_le_u32_e32 vcc_lo, s7, v5
	v_cmp_eq_u32_e64 s0, 0, v4
	v_cndmask_b32_e64 v5, 0, -1, vcc_lo
	v_add_co_u32 v13, vcc_lo, v14, 2
	v_add_co_ci_u32_e32 v19, vcc_lo, 0, v15, vcc_lo
	v_cmp_le_u32_e32 vcc_lo, s7, v3
	v_cndmask_b32_e64 v3, 0, -1, vcc_lo
	v_cmp_eq_u32_e32 vcc_lo, 0, v12
	s_delay_alu instid0(VALU_DEP_2) | instskip(SKIP_3) | instid1(VALU_DEP_3)
	v_cndmask_b32_e64 v3, -1, v3, s0
	v_cndmask_b32_e32 v5, -1, v5, vcc_lo
	v_add_co_u32 v12, vcc_lo, v14, 1
	v_add_co_ci_u32_e32 v20, vcc_lo, 0, v15, vcc_lo
	v_cmp_ne_u32_e32 vcc_lo, 0, v5
	s_delay_alu instid0(VALU_DEP_2) | instskip(NEXT) | instid1(VALU_DEP_4)
	v_cndmask_b32_e32 v4, v20, v19, vcc_lo
	v_cndmask_b32_e32 v5, v12, v13, vcc_lo
	v_cmp_ne_u32_e32 vcc_lo, 0, v3
                                        ; implicit-def: $vgpr12
	s_delay_alu instid0(VALU_DEP_2) | instskip(NEXT) | instid1(VALU_DEP_1)
	v_dual_cndmask_b32 v3, v15, v4 :: v_dual_cndmask_b32 v4, v14, v5
	v_xor_b32_e32 v5, v3, v21
	s_delay_alu instid0(VALU_DEP_2) | instskip(NEXT) | instid1(VALU_DEP_1)
	v_xor_b32_e32 v4, v4, v21
	v_sub_co_u32 v3, vcc_lo, v4, v21
	s_delay_alu instid0(VALU_DEP_3)
	v_sub_co_ci_u32_e32 v4, vcc_lo, v5, v21, vcc_lo
.LBB16_154:
	s_and_not1_saveexec_b32 s0, s5
	s_cbranch_execz .LBB16_156
; %bb.155:
	v_cvt_f32_u32_e32 v3, s7
	s_delay_alu instid0(VALU_DEP_1) | instskip(SKIP_2) | instid1(VALU_DEP_1)
	v_rcp_iflag_f32_e32 v3, v3
	s_waitcnt_depctr 0xfff
	v_mul_f32_e32 v3, 0x4f7ffffe, v3
	v_cvt_u32_f32_e32 v3, v3
	s_delay_alu instid0(VALU_DEP_1) | instskip(NEXT) | instid1(VALU_DEP_1)
	v_mul_lo_u32 v4, s1, v3
	v_mul_hi_u32 v4, v3, v4
	s_delay_alu instid0(VALU_DEP_1) | instskip(NEXT) | instid1(VALU_DEP_1)
	v_add_nc_u32_e32 v3, v3, v4
	v_mul_hi_u32 v3, v12, v3
	s_delay_alu instid0(VALU_DEP_1) | instskip(SKIP_1) | instid1(VALU_DEP_2)
	v_mul_lo_u32 v4, v3, s7
	v_add_nc_u32_e32 v5, 1, v3
	v_sub_nc_u32_e32 v4, v12, v4
	s_delay_alu instid0(VALU_DEP_1) | instskip(SKIP_1) | instid1(VALU_DEP_2)
	v_subrev_nc_u32_e32 v12, s7, v4
	v_cmp_le_u32_e32 vcc_lo, s7, v4
	v_dual_cndmask_b32 v4, v4, v12 :: v_dual_cndmask_b32 v3, v3, v5
	s_delay_alu instid0(VALU_DEP_1) | instskip(NEXT) | instid1(VALU_DEP_2)
	v_cmp_le_u32_e32 vcc_lo, s7, v4
	v_dual_mov_b32 v4, 0 :: v_dual_add_nc_u32 v5, 1, v3
	s_delay_alu instid0(VALU_DEP_1)
	v_cndmask_b32_e32 v3, v3, v5, vcc_lo
.LBB16_156:
	s_or_b32 exec_lo, exec_lo, s0
	v_cmp_gt_i64_e32 vcc_lo, s[22:23], v[10:11]
	v_mov_b32_e32 v10, 0
	v_mov_b32_e32 v11, 0
	s_and_saveexec_b32 s5, vcc_lo
	s_cbranch_execz .LBB16_170
; %bb.157:
	s_add_i32 s0, s7, -1
	v_mov_b32_e32 v10, 0
	v_dual_mov_b32 v11, 0 :: v_dual_and_b32 v12, s0, v0
	s_mov_b32 s6, exec_lo
	v_cmpx_lt_i64_e32 0, v[3:4]
	s_cbranch_execz .LBB16_167
; %bb.158:
	v_dual_mov_b32 v13, 0 :: v_dual_mov_b32 v10, 0
	v_dual_mov_b32 v14, 0 :: v_dual_mov_b32 v11, 0
	s_mov_b32 s8, exec_lo
	v_cmpx_lt_u64_e32 3, v[3:4]
	s_cbranch_execz .LBB16_162
; %bb.159:
	v_dual_mov_b32 v10, 0 :: v_dual_lshlrev_b32 v5, 3, v2
	s_lshl_b32 s0, s7, 3
	s_lshl_b32 s1, s4, 3
	v_dual_mov_b32 v11, 0 :: v_dual_and_b32 v14, 0x7fffffff, v4
	s_sub_i32 s9, s0, s1
	s_lshl_b32 s0, s7, 4
	v_and_b32_e32 v13, -4, v3
	v_lshl_add_u32 v5, v12, 3, v5
	s_sub_i32 s11, s0, s1
	s_mul_i32 s0, s7, 24
	s_lshl_b32 s10, s7, 5
	s_sub_i32 s13, s0, s1
	s_mov_b32 s12, 0
	s_sub_i32 s14, 0, s1
	s_mov_b64 s[0:1], 0
	.p2align	6
.LBB16_160:                             ; =>This Inner Loop Header: Depth=1
	v_add_nc_u32_e32 v15, s14, v5
	v_add_nc_u32_e32 v23, s11, v5
	;; [unrolled: 1-line block ×3, first 2 shown]
	s_add_u32 s0, s0, 4
	s_addc_u32 s1, s1, 0
	ds_load_b64 v[19:20], v15
	v_add_nc_u32_e32 v15, s9, v5
	v_cmp_eq_u64_e32 vcc_lo, s[0:1], v[13:14]
	v_add_nc_u32_e32 v5, s10, v5
	ds_load_b64 v[21:22], v15
	ds_load_b64 v[23:24], v23
	;; [unrolled: 1-line block ×3, first 2 shown]
	s_or_b32 s12, vcc_lo, s12
	s_waitcnt lgkmcnt(3)
	v_add_f64 v[10:11], v[10:11], v[19:20]
	s_waitcnt lgkmcnt(2)
	s_delay_alu instid0(VALU_DEP_1) | instskip(SKIP_1) | instid1(VALU_DEP_1)
	v_add_f64 v[10:11], v[10:11], v[21:22]
	s_waitcnt lgkmcnt(1)
	v_add_f64 v[10:11], v[10:11], v[23:24]
	s_waitcnt lgkmcnt(0)
	s_delay_alu instid0(VALU_DEP_1)
	v_add_f64 v[10:11], v[10:11], v[25:26]
	s_and_not1_b32 exec_lo, exec_lo, s12
	s_cbranch_execnz .LBB16_160
; %bb.161:
	s_or_b32 exec_lo, exec_lo, s12
.LBB16_162:
	s_delay_alu instid0(SALU_CYCLE_1) | instskip(SKIP_2) | instid1(VALU_DEP_1)
	s_or_b32 exec_lo, exec_lo, s8
	v_dual_mov_b32 v15, 0 :: v_dual_and_b32 v14, 3, v3
	s_mov_b32 s0, exec_lo
	v_cmpx_ne_u64_e32 0, v[14:15]
	s_cbranch_execz .LBB16_166
; %bb.163:
	v_mul_lo_u32 v5, s7, v13
	s_mov_b32 s1, 0
	s_delay_alu instid0(VALU_DEP_1) | instskip(NEXT) | instid1(VALU_DEP_1)
	v_add3_u32 v2, v12, v5, v2
	v_subrev_nc_u32_e32 v2, s4, v2
	s_lshl_b32 s4, s7, 3
	s_delay_alu instid0(VALU_DEP_1)
	v_lshlrev_b32_e32 v2, 3, v2
.LBB16_164:                             ; =>This Inner Loop Header: Depth=1
	ds_load_b64 v[19:20], v2
	v_add_co_u32 v14, vcc_lo, v14, -1
	v_add_co_ci_u32_e32 v15, vcc_lo, -1, v15, vcc_lo
	v_add_nc_u32_e32 v2, s4, v2
	s_delay_alu instid0(VALU_DEP_2)
	v_cmp_eq_u64_e32 vcc_lo, 0, v[14:15]
	s_or_b32 s1, vcc_lo, s1
	s_waitcnt lgkmcnt(0)
	v_add_f64 v[10:11], v[10:11], v[19:20]
	s_and_not1_b32 exec_lo, exec_lo, s1
	s_cbranch_execnz .LBB16_164
; %bb.165:
	s_or_b32 exec_lo, exec_lo, s1
.LBB16_166:
	s_delay_alu instid0(SALU_CYCLE_1)
	s_or_b32 exec_lo, exec_lo, s0
.LBB16_167:
	s_delay_alu instid0(SALU_CYCLE_1) | instskip(SKIP_3) | instid1(VALU_DEP_2)
	s_or_b32 exec_lo, exec_lo, s6
	v_mad_u64_u32 v[14:15], null, v3, s7, v[8:9]
	v_mov_b32_e32 v13, 0
	s_mov_b32 s0, exec_lo
	v_mov_b32_e32 v2, v15
	s_delay_alu instid0(VALU_DEP_1) | instskip(NEXT) | instid1(VALU_DEP_4)
	v_mad_u64_u32 v[8:9], null, v4, s7, v[2:3]
	v_sub_co_u32 v2, vcc_lo, v16, v14
	s_delay_alu instid0(VALU_DEP_2) | instskip(NEXT) | instid1(VALU_DEP_1)
	v_mov_b32_e32 v3, v8
	v_sub_co_ci_u32_e32 v3, vcc_lo, v17, v3, vcc_lo
	s_delay_alu instid0(VALU_DEP_1)
	v_cmpx_gt_i64_e64 v[2:3], v[12:13]
	s_cbranch_execz .LBB16_169
; %bb.168:
	v_add_lshl_u32 v2, v12, v14, 3
	ds_load_b64 v[2:3], v2
	s_waitcnt lgkmcnt(0)
	v_add_f64 v[10:11], v[10:11], v[2:3]
.LBB16_169:
	s_or_b32 exec_lo, exec_lo, s0
.LBB16_170:
	s_delay_alu instid0(SALU_CYCLE_1)
	s_or_b32 exec_lo, exec_lo, s5
	v_cmp_gt_i64_e32 vcc_lo, s[22:23], v[0:1]
	s_barrier
	buffer_gl0_inv
	ds_store_b64 v18, v[10:11]
	s_waitcnt lgkmcnt(0)
	s_barrier
	buffer_gl0_inv
	s_and_b32 exec_lo, exec_lo, vcc_lo
	s_cbranch_execz .LBB16_180
; %bb.171:
	v_mul_lo_u32 v1, s7, v0
	v_mov_b32_e32 v4, 0
	v_mov_b32_e32 v5, 0
	s_cmp_lt_u32 s7, 8
	s_cbranch_scc1 .LBB16_174
; %bb.172:
	s_delay_alu instid0(VALU_DEP_3)
	v_lshlrev_b32_e32 v2, 3, v1
	s_and_b32 s0, s7, 0x7ffffff8
	s_mov_b32 s1, 0
	.p2align	6
.LBB16_173:                             ; =>This Inner Loop Header: Depth=1
	ds_load_2addr_b64 v[8:11], v2 offset1:1
	ds_load_2addr_b64 v[12:15], v2 offset0:2 offset1:3
	s_add_i32 s1, s1, 8
	s_delay_alu instid0(SALU_CYCLE_1) | instskip(SKIP_2) | instid1(VALU_DEP_1)
	s_cmp_eq_u32 s0, s1
	s_waitcnt lgkmcnt(1)
	v_add_f64 v[3:4], v[4:5], v[8:9]
	v_add_f64 v[3:4], v[3:4], v[10:11]
	s_waitcnt lgkmcnt(0)
	s_delay_alu instid0(VALU_DEP_1) | instskip(NEXT) | instid1(VALU_DEP_1)
	v_add_f64 v[3:4], v[3:4], v[12:13]
	v_add_f64 v[3:4], v[3:4], v[14:15]
	ds_load_2addr_b64 v[8:11], v2 offset0:4 offset1:5
	ds_load_2addr_b64 v[12:15], v2 offset0:6 offset1:7
	v_add_nc_u32_e32 v2, 64, v2
	s_waitcnt lgkmcnt(1)
	v_add_f64 v[3:4], v[3:4], v[8:9]
	s_delay_alu instid0(VALU_DEP_1) | instskip(SKIP_1) | instid1(VALU_DEP_1)
	v_add_f64 v[3:4], v[3:4], v[10:11]
	s_waitcnt lgkmcnt(0)
	v_add_f64 v[3:4], v[3:4], v[12:13]
	s_delay_alu instid0(VALU_DEP_1)
	v_add_f64 v[4:5], v[3:4], v[14:15]
	s_cbranch_scc0 .LBB16_173
	s_branch .LBB16_175
.LBB16_174:
	s_mov_b32 s0, 0
.LBB16_175:
	s_bfe_u32 s1, s3, 0x30001
	s_delay_alu instid0(SALU_CYCLE_1)
	s_cmp_eq_u32 s1, 0
	s_cbranch_scc1 .LBB16_178
; %bb.176:
	v_add_lshl_u32 v1, s0, v1, 3
.LBB16_177:                             ; =>This Inner Loop Header: Depth=1
	ds_load_b64 v[2:3], v1
	v_add_nc_u32_e32 v1, 8, v1
	s_add_i32 s1, s1, -1
	s_delay_alu instid0(SALU_CYCLE_1)
	s_cmp_lg_u32 s1, 0
	s_waitcnt lgkmcnt(0)
	v_add_f64 v[4:5], v[4:5], v[2:3]
	s_cbranch_scc1 .LBB16_177
.LBB16_178:
	v_lshlrev_b64 v[1:2], 3, v[6:7]
	v_lshlrev_b32_e32 v0, 3, v0
	s_lshl_b32 s0, s2, 3
	s_delay_alu instid0(VALU_DEP_1) | instid1(SALU_CYCLE_1)
	v_add3_u32 v0, 0x2000, s0, v0
	s_delay_alu instid0(VALU_DEP_3) | instskip(NEXT) | instid1(VALU_DEP_4)
	v_add_co_u32 v6, vcc_lo, s20, v1
	v_add_co_ci_u32_e32 v7, vcc_lo, s21, v2, vcc_lo
	ds_load_b64 v[0:1], v0
	s_mov_b32 s0, 0
	global_load_b64 v[2:3], v[6:7], off
	s_waitcnt lgkmcnt(0)
	v_add_f64 v[4:5], v[4:5], v[0:1]
.LBB16_179:                             ; =>This Inner Loop Header: Depth=1
	s_waitcnt vmcnt(0)
	s_delay_alu instid0(VALU_DEP_1)
	v_add_f64 v[0:1], v[2:3], v[4:5]
	global_atomic_cmpswap_b64 v[0:1], v[6:7], v[0:3], off glc
	s_waitcnt vmcnt(0)
	v_cmp_eq_u64_e32 vcc_lo, v[0:1], v[2:3]
	v_dual_mov_b32 v3, v1 :: v_dual_mov_b32 v2, v0
	s_or_b32 s0, vcc_lo, s0
	s_delay_alu instid0(SALU_CYCLE_1)
	s_and_not1_b32 exec_lo, exec_lo, s0
	s_cbranch_execnz .LBB16_179
.LBB16_180:
	s_endpgm
	.section	.rodata,"a",@progbits
	.p2align	6, 0x0
	.amdhsa_kernel _ZN9rocsparseL27csrmvn_symm_adaptive_kernelIliddddEEvbT_S1_PKS1_NS_24const_host_device_scalarIT4_EES3_PKT0_PKT1_PKT2_S6_PT3_21rocsparse_index_base_b
		.amdhsa_group_segment_fixed_size 8192
		.amdhsa_private_segment_fixed_size 0
		.amdhsa_kernarg_size 352
		.amdhsa_user_sgpr_count 15
		.amdhsa_user_sgpr_dispatch_ptr 0
		.amdhsa_user_sgpr_queue_ptr 0
		.amdhsa_user_sgpr_kernarg_segment_ptr 1
		.amdhsa_user_sgpr_dispatch_id 0
		.amdhsa_user_sgpr_private_segment_size 0
		.amdhsa_wavefront_size32 1
		.amdhsa_uses_dynamic_stack 0
		.amdhsa_enable_private_segment 0
		.amdhsa_system_sgpr_workgroup_id_x 1
		.amdhsa_system_sgpr_workgroup_id_y 0
		.amdhsa_system_sgpr_workgroup_id_z 0
		.amdhsa_system_sgpr_workgroup_info 0
		.amdhsa_system_vgpr_workitem_id 0
		.amdhsa_next_free_vgpr 27
		.amdhsa_next_free_sgpr 41
		.amdhsa_reserve_vcc 1
		.amdhsa_float_round_mode_32 0
		.amdhsa_float_round_mode_16_64 0
		.amdhsa_float_denorm_mode_32 3
		.amdhsa_float_denorm_mode_16_64 3
		.amdhsa_dx10_clamp 1
		.amdhsa_ieee_mode 1
		.amdhsa_fp16_overflow 0
		.amdhsa_workgroup_processor_mode 1
		.amdhsa_memory_ordered 1
		.amdhsa_forward_progress 0
		.amdhsa_shared_vgpr_count 0
		.amdhsa_exception_fp_ieee_invalid_op 0
		.amdhsa_exception_fp_denorm_src 0
		.amdhsa_exception_fp_ieee_div_zero 0
		.amdhsa_exception_fp_ieee_overflow 0
		.amdhsa_exception_fp_ieee_underflow 0
		.amdhsa_exception_fp_ieee_inexact 0
		.amdhsa_exception_int_div_zero 0
	.end_amdhsa_kernel
	.section	.text._ZN9rocsparseL27csrmvn_symm_adaptive_kernelIliddddEEvbT_S1_PKS1_NS_24const_host_device_scalarIT4_EES3_PKT0_PKT1_PKT2_S6_PT3_21rocsparse_index_base_b,"axG",@progbits,_ZN9rocsparseL27csrmvn_symm_adaptive_kernelIliddddEEvbT_S1_PKS1_NS_24const_host_device_scalarIT4_EES3_PKT0_PKT1_PKT2_S6_PT3_21rocsparse_index_base_b,comdat
.Lfunc_end16:
	.size	_ZN9rocsparseL27csrmvn_symm_adaptive_kernelIliddddEEvbT_S1_PKS1_NS_24const_host_device_scalarIT4_EES3_PKT0_PKT1_PKT2_S6_PT3_21rocsparse_index_base_b, .Lfunc_end16-_ZN9rocsparseL27csrmvn_symm_adaptive_kernelIliddddEEvbT_S1_PKS1_NS_24const_host_device_scalarIT4_EES3_PKT0_PKT1_PKT2_S6_PT3_21rocsparse_index_base_b
                                        ; -- End function
	.section	.AMDGPU.csdata,"",@progbits
; Kernel info:
; codeLenInByte = 9984
; NumSgprs: 43
; NumVgprs: 27
; ScratchSize: 0
; MemoryBound: 0
; FloatMode: 240
; IeeeMode: 1
; LDSByteSize: 8192 bytes/workgroup (compile time only)
; SGPRBlocks: 5
; VGPRBlocks: 3
; NumSGPRsForWavesPerEU: 43
; NumVGPRsForWavesPerEU: 27
; Occupancy: 16
; WaveLimiterHint : 1
; COMPUTE_PGM_RSRC2:SCRATCH_EN: 0
; COMPUTE_PGM_RSRC2:USER_SGPR: 15
; COMPUTE_PGM_RSRC2:TRAP_HANDLER: 0
; COMPUTE_PGM_RSRC2:TGID_X_EN: 1
; COMPUTE_PGM_RSRC2:TGID_Y_EN: 0
; COMPUTE_PGM_RSRC2:TGID_Z_EN: 0
; COMPUTE_PGM_RSRC2:TIDIG_COMP_CNT: 0
	.section	.text._ZL33csrmvn_symm_large_adaptive_kernelIliddddEvbT_PKS0_N9rocsparse24const_host_device_scalarIT4_EES2_PKT0_PKT1_PKT2_S6_PT3_21rocsparse_index_base_b,"axG",@progbits,_ZL33csrmvn_symm_large_adaptive_kernelIliddddEvbT_PKS0_N9rocsparse24const_host_device_scalarIT4_EES2_PKT0_PKT1_PKT2_S6_PT3_21rocsparse_index_base_b,comdat
	.globl	_ZL33csrmvn_symm_large_adaptive_kernelIliddddEvbT_PKS0_N9rocsparse24const_host_device_scalarIT4_EES2_PKT0_PKT1_PKT2_S6_PT3_21rocsparse_index_base_b ; -- Begin function _ZL33csrmvn_symm_large_adaptive_kernelIliddddEvbT_PKS0_N9rocsparse24const_host_device_scalarIT4_EES2_PKT0_PKT1_PKT2_S6_PT3_21rocsparse_index_base_b
	.p2align	8
	.type	_ZL33csrmvn_symm_large_adaptive_kernelIliddddEvbT_PKS0_N9rocsparse24const_host_device_scalarIT4_EES2_PKT0_PKT1_PKT2_S6_PT3_21rocsparse_index_base_b,@function
_ZL33csrmvn_symm_large_adaptive_kernelIliddddEvbT_PKS0_N9rocsparse24const_host_device_scalarIT4_EES2_PKT0_PKT1_PKT2_S6_PT3_21rocsparse_index_base_b: ; @_ZL33csrmvn_symm_large_adaptive_kernelIliddddEvbT_PKS0_N9rocsparse24const_host_device_scalarIT4_EES2_PKT0_PKT1_PKT2_S6_PT3_21rocsparse_index_base_b
; %bb.0:
	s_clause 0x2
	s_load_b64 s[6:7], s[0:1], 0x50
	s_load_b64 s[8:9], s[0:1], 0x18
	s_load_b64 s[2:3], s[0:1], 0x40
	s_mov_b32 s4, s15
	s_waitcnt lgkmcnt(0)
	s_bitcmp1_b32 s7, 0
	v_dual_mov_b32 v4, s8 :: v_dual_mov_b32 v5, s9
	s_cselect_b32 s5, -1, 0
	s_delay_alu instid0(SALU_CYCLE_1)
	s_and_b32 vcc_lo, exec_lo, s5
	s_xor_b32 s5, s5, -1
	s_cbranch_vccnz .LBB17_2
; %bb.1:
	v_dual_mov_b32 v1, s8 :: v_dual_mov_b32 v2, s9
	flat_load_b64 v[4:5], v[1:2]
.LBB17_2:
	v_dual_mov_b32 v1, s2 :: v_dual_mov_b32 v2, s3
	s_and_not1_b32 vcc_lo, exec_lo, s5
	s_cbranch_vccnz .LBB17_4
; %bb.3:
	v_dual_mov_b32 v1, s2 :: v_dual_mov_b32 v2, s3
	flat_load_b64 v[1:2], v[1:2]
.LBB17_4:
	s_waitcnt vmcnt(0) lgkmcnt(0)
	v_cmp_neq_f64_e32 vcc_lo, 0, v[4:5]
	v_cmp_neq_f64_e64 s2, 1.0, v[1:2]
	s_delay_alu instid0(VALU_DEP_1) | instskip(NEXT) | instid1(SALU_CYCLE_1)
	s_or_b32 s2, vcc_lo, s2
	s_and_saveexec_b32 s3, s2
	s_cbranch_execz .LBB17_41
; %bb.5:
	s_load_b64 s[8:9], s[0:1], 0x10
	s_mov_b32 s2, 0
	s_ashr_i32 s5, s4, 31
	s_mov_b32 s3, s2
	v_dual_mov_b32 v1, s2 :: v_dual_lshlrev_b32 v10, 3, v0
	v_mov_b32_e32 v2, s3
	s_lshl_b64 s[4:5], s[4:5], 3
	ds_store_2addr_stride64_b64 v10, v[1:2], v[1:2] offset1:4
	ds_store_2addr_stride64_b64 v10, v[1:2], v[1:2] offset0:8 offset1:12
	s_waitcnt lgkmcnt(0)
	s_barrier
	buffer_gl0_inv
	s_add_u32 s4, s8, s4
	s_addc_u32 s5, s9, s5
	s_load_b128 s[16:19], s[4:5], 0x0
	s_clause 0x1
	s_load_b256 s[8:15], s[0:1], 0x20
	s_load_b64 s[20:21], s[0:1], 0x48
	v_sub_co_u32 v11, s1, v0, s6
	s_delay_alu instid0(VALU_DEP_1) | instskip(SKIP_2) | instid1(VALU_DEP_1)
	v_sub_co_ci_u32_e64 v12, null, 0, 0, s1
	s_waitcnt lgkmcnt(0)
	v_cmp_lt_i64_e64 s0, s[16:17], s[18:19]
	s_and_b32 vcc_lo, exec_lo, s0
	s_cbranch_vccnz .LBB17_7
; %bb.6:
	s_lshl_b64 s[0:1], s[16:17], 3
	s_delay_alu instid0(SALU_CYCLE_1)
	s_add_u32 s0, s8, s0
	s_addc_u32 s1, s9, s1
	s_load_b64 s[22:23], s[0:1], 0x0
	s_and_not1_b32 vcc_lo, exec_lo, s2
	s_cbranch_vccz .LBB17_8
	s_branch .LBB17_31
.LBB17_7:
                                        ; implicit-def: $sgpr22_sgpr23
.LBB17_8:
	s_lshl_b64 s[0:1], s[16:17], 3
	v_cmp_gt_u32_e64 s2, 16, v0
	s_add_u32 s0, s8, s0
	s_addc_u32 s1, s9, s1
	v_cmp_gt_u32_e64 s3, 4, v0
	s_waitcnt lgkmcnt(0)
	s_load_b64 s[22:23], s[0:1], 0x0
	v_cmp_gt_u32_e64 s0, 0x100, v0
	v_cmp_gt_u32_e64 s1, 64, v0
	v_cmp_eq_u32_e64 s4, 0, v0
	v_mov_b32_e32 v13, 0
	s_add_u32 s7, s8, 8
	s_addc_u32 s33, s9, 0
	s_mov_b64 s[24:25], s[16:17]
	s_waitcnt lgkmcnt(0)
	s_mov_b64 s[26:27], s[22:23]
	s_branch .LBB17_10
.LBB17_9:                               ;   in Loop: Header=BB17_10 Depth=1
	s_or_b32 exec_lo, exec_lo, s5
	s_add_u32 s24, s24, 1
	s_addc_u32 s25, s25, 0
	s_delay_alu instid0(SALU_CYCLE_1) | instskip(NEXT) | instid1(VALU_DEP_1)
	v_cmp_ge_i64_e64 s5, s[24:25], s[18:19]
	s_and_b32 vcc_lo, exec_lo, s5
	s_cbranch_vccnz .LBB17_31
.LBB17_10:                              ; =>This Loop Header: Depth=1
                                        ;     Child Loop BB17_12 Depth 2
                                        ;     Child Loop BB17_26 Depth 2
	;; [unrolled: 1-line block ×3, first 2 shown]
	s_lshl_b64 s[28:29], s[24:25], 3
	s_mov_b64 s[34:35], s[26:27]
	s_add_u32 s30, s7, s28
	s_addc_u32 s31, s33, s29
	v_add_co_u32 v0, vcc_lo, s34, v11
	s_load_b64 s[26:27], s[30:31], 0x0
	v_mov_b32_e32 v2, 0
	v_add_co_ci_u32_e32 v1, vcc_lo, s35, v12, vcc_lo
	v_mov_b32_e32 v3, 0
	s_mov_b32 s34, exec_lo
	s_waitcnt lgkmcnt(0)
	s_sub_u32 s30, s26, s6
	s_subb_u32 s31, s27, 0
	s_delay_alu instid0(SALU_CYCLE_1)
	v_cmpx_gt_i64_e64 s[30:31], v[0:1]
	s_cbranch_execz .LBB17_14
; %bb.11:                               ;   in Loop: Header=BB17_10 Depth=1
	v_lshlrev_b64 v[6:7], 2, v[0:1]
	v_lshlrev_b64 v[8:9], 3, v[0:1]
	v_mov_b32_e32 v2, 0
	v_mov_b32_e32 v3, 0
	s_mov_b32 s35, 0
	s_delay_alu instid0(VALU_DEP_4)
	v_add_co_u32 v6, vcc_lo, s10, v6
	v_add_co_ci_u32_e32 v7, vcc_lo, s11, v7, vcc_lo
	v_add_co_u32 v8, vcc_lo, s12, v8
	v_add_co_ci_u32_e32 v9, vcc_lo, s13, v9, vcc_lo
	.p2align	6
.LBB17_12:                              ;   Parent Loop BB17_10 Depth=1
                                        ; =>  This Inner Loop Header: Depth=2
	global_load_b32 v14, v[6:7], off
	s_waitcnt vmcnt(0)
	v_subrev_nc_u32_e32 v14, s6, v14
	s_delay_alu instid0(VALU_DEP_1) | instskip(NEXT) | instid1(VALU_DEP_1)
	v_ashrrev_i32_e32 v15, 31, v14
	v_lshlrev_b64 v[14:15], 3, v[14:15]
	s_delay_alu instid0(VALU_DEP_1) | instskip(NEXT) | instid1(VALU_DEP_2)
	v_add_co_u32 v14, vcc_lo, s14, v14
	v_add_co_ci_u32_e32 v15, vcc_lo, s15, v15, vcc_lo
	v_add_co_u32 v0, vcc_lo, 0x100, v0
	global_load_b64 v[16:17], v[8:9], off
	global_load_b64 v[14:15], v[14:15], off
	v_add_co_ci_u32_e32 v1, vcc_lo, 0, v1, vcc_lo
	v_add_co_u32 v6, vcc_lo, 0x400, v6
	v_add_co_ci_u32_e32 v7, vcc_lo, 0, v7, vcc_lo
	s_delay_alu instid0(VALU_DEP_3) | instskip(SKIP_1) | instid1(VALU_DEP_1)
	v_cmp_le_i64_e32 vcc_lo, s[30:31], v[0:1]
	v_add_co_u32 v8, s5, 0x800, v8
	v_add_co_ci_u32_e64 v9, s5, 0, v9, s5
	s_or_b32 s35, vcc_lo, s35
	s_waitcnt vmcnt(0)
	v_fma_f64 v[2:3], v[16:17], v[14:15], v[2:3]
	s_and_not1_b32 exec_lo, exec_lo, s35
	s_cbranch_execnz .LBB17_12
; %bb.13:                               ;   in Loop: Header=BB17_10 Depth=1
	s_or_b32 exec_lo, exec_lo, s35
.LBB17_14:                              ;   in Loop: Header=BB17_10 Depth=1
	s_delay_alu instid0(SALU_CYCLE_1)
	s_or_b32 exec_lo, exec_lo, s34
	ds_store_b64 v10, v[2:3]
	s_waitcnt lgkmcnt(0)
	s_barrier
	buffer_gl0_inv
	s_and_saveexec_b32 s5, s0
	s_cbranch_execz .LBB17_16
; %bb.15:                               ;   in Loop: Header=BB17_10 Depth=1
	ds_load_2addr_stride64_b64 v[0:3], v10 offset1:4
	ds_load_2addr_stride64_b64 v[6:9], v10 offset0:8 offset1:12
	s_waitcnt lgkmcnt(0)
	v_add_f64 v[2:3], v[2:3], v[6:7]
	s_delay_alu instid0(VALU_DEP_1) | instskip(NEXT) | instid1(VALU_DEP_1)
	v_add_f64 v[2:3], v[2:3], v[8:9]
	v_add_f64 v[0:1], v[0:1], v[2:3]
	ds_store_b64 v10, v[0:1]
.LBB17_16:                              ;   in Loop: Header=BB17_10 Depth=1
	s_or_b32 exec_lo, exec_lo, s5
	s_waitcnt lgkmcnt(0)
	s_barrier
	buffer_gl0_inv
	s_and_saveexec_b32 s5, s1
	s_cbranch_execz .LBB17_18
; %bb.17:                               ;   in Loop: Header=BB17_10 Depth=1
	ds_load_2addr_stride64_b64 v[0:3], v10 offset1:1
	ds_load_2addr_stride64_b64 v[6:9], v10 offset0:2 offset1:3
	s_waitcnt lgkmcnt(0)
	v_add_f64 v[2:3], v[2:3], v[6:7]
	s_delay_alu instid0(VALU_DEP_1) | instskip(NEXT) | instid1(VALU_DEP_1)
	v_add_f64 v[2:3], v[2:3], v[8:9]
	v_add_f64 v[0:1], v[0:1], v[2:3]
	ds_store_b64 v10, v[0:1]
.LBB17_18:                              ;   in Loop: Header=BB17_10 Depth=1
	s_or_b32 exec_lo, exec_lo, s5
	s_waitcnt lgkmcnt(0)
	s_barrier
	buffer_gl0_inv
	s_and_saveexec_b32 s5, s2
	s_cbranch_execz .LBB17_20
; %bb.19:                               ;   in Loop: Header=BB17_10 Depth=1
	ds_load_2addr_b64 v[0:3], v10 offset1:16
	ds_load_2addr_b64 v[6:9], v10 offset0:32 offset1:48
	s_waitcnt lgkmcnt(0)
	v_add_f64 v[2:3], v[2:3], v[6:7]
	s_delay_alu instid0(VALU_DEP_1) | instskip(NEXT) | instid1(VALU_DEP_1)
	v_add_f64 v[2:3], v[2:3], v[8:9]
	v_add_f64 v[0:1], v[0:1], v[2:3]
	ds_store_b64 v10, v[0:1]
.LBB17_20:                              ;   in Loop: Header=BB17_10 Depth=1
	s_or_b32 exec_lo, exec_lo, s5
	s_waitcnt lgkmcnt(0)
	s_barrier
	buffer_gl0_inv
	s_and_saveexec_b32 s5, s3
	s_cbranch_execz .LBB17_22
; %bb.21:                               ;   in Loop: Header=BB17_10 Depth=1
	ds_load_2addr_b64 v[0:3], v10 offset1:4
	ds_load_2addr_b64 v[6:9], v10 offset0:8 offset1:12
	s_waitcnt lgkmcnt(0)
	v_add_f64 v[2:3], v[2:3], v[6:7]
	s_delay_alu instid0(VALU_DEP_1) | instskip(NEXT) | instid1(VALU_DEP_1)
	v_add_f64 v[2:3], v[2:3], v[8:9]
	v_add_f64 v[0:1], v[0:1], v[2:3]
	ds_store_b64 v10, v[0:1]
.LBB17_22:                              ;   in Loop: Header=BB17_10 Depth=1
	s_or_b32 exec_lo, exec_lo, s5
	s_waitcnt lgkmcnt(0)
	s_barrier
	buffer_gl0_inv
	s_and_saveexec_b32 s5, s4
	s_cbranch_execz .LBB17_24
; %bb.23:                               ;   in Loop: Header=BB17_10 Depth=1
	ds_load_2addr_b64 v[0:3], v13 offset0:1 offset1:2
	ds_load_b64 v[6:7], v10
	s_waitcnt lgkmcnt(1)
	v_add_f64 v[0:1], v[0:1], v[2:3]
	ds_load_b64 v[2:3], v13 offset:24
	s_waitcnt lgkmcnt(0)
	v_add_f64 v[0:1], v[0:1], v[2:3]
	s_delay_alu instid0(VALU_DEP_1)
	v_add_f64 v[0:1], v[6:7], v[0:1]
	ds_store_b64 v10, v[0:1]
.LBB17_24:                              ;   in Loop: Header=BB17_10 Depth=1
	s_or_b32 exec_lo, exec_lo, s5
	s_waitcnt lgkmcnt(0)
	s_barrier
	buffer_gl0_inv
	s_and_saveexec_b32 s5, s4
	s_cbranch_execz .LBB17_9
; %bb.25:                               ;   in Loop: Header=BB17_10 Depth=1
	ds_load_b64 v[0:1], v13
	v_mov_b32_e32 v6, 0
	v_bfrev_b32_e32 v7, 1
	s_mov_b32 s30, exec_lo
	s_waitcnt lgkmcnt(0)
	v_mul_f64 v[0:1], v[4:5], v[0:1]
.LBB17_26:                              ;   Parent Loop BB17_10 Depth=1
                                        ; =>  This Inner Loop Header: Depth=2
	s_ctz_i32_b32 s31, s30
	s_delay_alu instid0(VALU_DEP_1) | instid1(SALU_CYCLE_1)
	v_readlane_b32 s35, v1, s31
	s_delay_alu instid0(VALU_DEP_2) | instskip(SKIP_1) | instid1(SALU_CYCLE_1)
	v_readlane_b32 s34, v0, s31
	s_lshl_b32 s31, 1, s31
	s_and_not1_b32 s30, s30, s31
	s_delay_alu instid0(VALU_DEP_1)
	v_add_f64 v[6:7], v[6:7], s[34:35]
	s_cmp_lg_u32 s30, 0
	s_cbranch_scc1 .LBB17_26
; %bb.27:                               ;   in Loop: Header=BB17_10 Depth=1
	v_mbcnt_lo_u32_b32 v0, exec_lo, 0
	s_mov_b32 s30, exec_lo
	s_delay_alu instid0(VALU_DEP_1)
	v_cmpx_eq_u32_e32 0, v0
	s_xor_b32 s30, exec_lo, s30
	s_cbranch_execz .LBB17_9
; %bb.28:                               ;   in Loop: Header=BB17_10 Depth=1
	s_add_u32 s28, s20, s28
	s_addc_u32 s29, s21, s29
	s_mov_b32 s30, 0
	global_load_b64 v[2:3], v13, s[28:29]
.LBB17_29:                              ;   Parent Loop BB17_10 Depth=1
                                        ; =>  This Inner Loop Header: Depth=2
	s_waitcnt vmcnt(0)
	v_add_f64 v[0:1], v[2:3], v[6:7]
	global_atomic_cmpswap_b64 v[0:1], v13, v[0:3], s[28:29] glc
	s_waitcnt vmcnt(0)
	v_cmp_eq_u64_e32 vcc_lo, v[0:1], v[2:3]
	v_dual_mov_b32 v3, v1 :: v_dual_mov_b32 v2, v0
	s_or_b32 s30, vcc_lo, s30
	s_delay_alu instid0(SALU_CYCLE_1)
	s_and_not1_b32 exec_lo, exec_lo, s30
	s_cbranch_execnz .LBB17_29
; %bb.30:                               ;   in Loop: Header=BB17_10 Depth=1
	s_or_b32 exec_lo, exec_lo, s30
	s_branch .LBB17_9
.LBB17_31:
	s_lshl_b64 s[0:1], s[18:19], 3
	s_waitcnt lgkmcnt(0)
	v_add_co_u32 v6, vcc_lo, s22, v11
	s_add_u32 s0, s8, s0
	s_addc_u32 s1, s9, s1
	v_add_co_ci_u32_e32 v7, vcc_lo, s23, v12, vcc_lo
	s_load_b64 s[0:1], s[0:1], 0x0
	s_waitcnt lgkmcnt(0)
	s_sub_u32 s2, s0, s6
	s_subb_u32 s3, s1, 0
	s_delay_alu instid0(SALU_CYCLE_1)
	v_cmp_gt_i64_e32 vcc_lo, s[2:3], v[6:7]
	s_and_b32 exec_lo, exec_lo, vcc_lo
	s_cbranch_execz .LBB17_41
; %bb.32:
	s_add_u32 s4, s18, -1
	s_addc_u32 s5, s19, -1
	s_add_u32 s0, s18, -2
	v_cmp_gt_i64_e64 s7, s[4:5], s[16:17]
	s_addc_u32 s1, s19, -1
	s_delay_alu instid0(SALU_CYCLE_1)
	s_cmp_lg_u64 s[0:1], s[16:17]
	s_cselect_b32 s0, -1, 0
	s_delay_alu instid0(VALU_DEP_1) | instid1(SALU_CYCLE_1)
	s_and_b32 s1, s7, s0
	s_mov_b32 s7, 0
	s_branch .LBB17_34
.LBB17_33:                              ;   in Loop: Header=BB17_34 Depth=1
	s_or_b32 exec_lo, exec_lo, s0
	v_add_co_u32 v6, vcc_lo, 0x100, v6
	v_add_co_ci_u32_e32 v7, vcc_lo, 0, v7, vcc_lo
	s_delay_alu instid0(VALU_DEP_1) | instskip(SKIP_1) | instid1(SALU_CYCLE_1)
	v_cmp_le_i64_e32 vcc_lo, s[2:3], v[6:7]
	s_or_b32 s7, vcc_lo, s7
	s_and_not1_b32 exec_lo, exec_lo, s7
	s_cbranch_execz .LBB17_41
.LBB17_34:                              ; =>This Loop Header: Depth=1
                                        ;     Child Loop BB17_36 Depth 2
                                        ;     Child Loop BB17_40 Depth 2
	v_dual_mov_b32 v0, s16 :: v_dual_mov_b32 v1, s17
	v_dual_mov_b32 v2, s4 :: v_dual_mov_b32 v3, s5
	s_and_not1_b32 vcc_lo, exec_lo, s1
	s_cbranch_vccnz .LBB17_38
; %bb.35:                               ;   in Loop: Header=BB17_34 Depth=1
	v_dual_mov_b32 v0, s16 :: v_dual_mov_b32 v1, s17
	v_dual_mov_b32 v2, s4 :: v_dual_mov_b32 v3, s5
	s_mov_b32 s18, 0
	s_set_inst_prefetch_distance 0x1
	.p2align	6
.LBB17_36:                              ;   Parent Loop BB17_34 Depth=1
                                        ; =>  This Inner Loop Header: Depth=2
	s_delay_alu instid0(VALU_DEP_1) | instskip(NEXT) | instid1(VALU_DEP_2)
	v_add_co_u32 v8, vcc_lo, v2, v0
	v_add_co_ci_u32_e32 v9, vcc_lo, v3, v1, vcc_lo
	s_delay_alu instid0(VALU_DEP_1) | instskip(NEXT) | instid1(VALU_DEP_1)
	v_lshrrev_b32_e32 v10, 31, v9
	v_add_co_u32 v8, vcc_lo, v8, v10
	v_add_co_ci_u32_e32 v9, vcc_lo, 0, v9, vcc_lo
	s_delay_alu instid0(VALU_DEP_1) | instskip(NEXT) | instid1(VALU_DEP_1)
	v_ashrrev_i64 v[8:9], 1, v[8:9]
	v_lshlrev_b64 v[10:11], 3, v[8:9]
	s_delay_alu instid0(VALU_DEP_1) | instskip(NEXT) | instid1(VALU_DEP_2)
	v_add_co_u32 v10, vcc_lo, s8, v10
	v_add_co_ci_u32_e32 v11, vcc_lo, s9, v11, vcc_lo
	global_load_b64 v[10:11], v[10:11], off
	s_waitcnt vmcnt(0)
	v_sub_co_u32 v10, vcc_lo, v10, s6
	v_subrev_co_ci_u32_e32 v11, vcc_lo, 0, v11, vcc_lo
	s_delay_alu instid0(VALU_DEP_1) | instskip(SKIP_2) | instid1(VALU_DEP_2)
	v_cmp_gt_i64_e32 vcc_lo, v[10:11], v[6:7]
	v_dual_cndmask_b32 v3, v3, v9 :: v_dual_cndmask_b32 v2, v2, v8
	v_dual_cndmask_b32 v1, v9, v1 :: v_dual_cndmask_b32 v0, v8, v0
	v_add_co_u32 v8, vcc_lo, v2, -1
	s_delay_alu instid0(VALU_DEP_3) | instskip(NEXT) | instid1(VALU_DEP_3)
	v_add_co_ci_u32_e32 v9, vcc_lo, -1, v3, vcc_lo
	v_cmp_ge_i64_e32 vcc_lo, v[0:1], v[2:3]
	s_delay_alu instid0(VALU_DEP_2) | instskip(NEXT) | instid1(VALU_DEP_1)
	v_cmp_eq_u64_e64 s0, v[0:1], v[8:9]
	s_or_b32 s0, vcc_lo, s0
	s_delay_alu instid0(SALU_CYCLE_1) | instskip(NEXT) | instid1(SALU_CYCLE_1)
	s_and_b32 s0, exec_lo, s0
	s_or_b32 s18, s0, s18
	s_delay_alu instid0(SALU_CYCLE_1)
	s_and_not1_b32 exec_lo, exec_lo, s18
	s_cbranch_execnz .LBB17_36
; %bb.37:                               ;   in Loop: Header=BB17_34 Depth=1
	s_set_inst_prefetch_distance 0x2
	s_or_b32 exec_lo, exec_lo, s18
.LBB17_38:                              ;   in Loop: Header=BB17_34 Depth=1
	s_delay_alu instid0(VALU_DEP_1) | instskip(SKIP_2) | instid1(VALU_DEP_2)
	v_lshlrev_b64 v[8:9], 3, v[2:3]
	v_lshlrev_b64 v[10:11], 2, v[6:7]
	s_mov_b32 s0, exec_lo
	v_add_co_u32 v8, vcc_lo, s8, v8
	s_delay_alu instid0(VALU_DEP_3) | instskip(NEXT) | instid1(VALU_DEP_3)
	v_add_co_ci_u32_e32 v9, vcc_lo, s9, v9, vcc_lo
	v_add_co_u32 v10, vcc_lo, s10, v10
	s_delay_alu instid0(VALU_DEP_4)
	v_add_co_ci_u32_e32 v11, vcc_lo, s11, v11, vcc_lo
	global_load_b64 v[8:9], v[8:9], off
	global_load_b32 v10, v[10:11], off
	s_waitcnt vmcnt(1)
	v_sub_co_u32 v8, vcc_lo, v8, s6
	v_subrev_co_ci_u32_e32 v9, vcc_lo, 0, v9, vcc_lo
	s_delay_alu instid0(VALU_DEP_1) | instskip(SKIP_2) | instid1(VALU_DEP_1)
	v_cmp_gt_i64_e32 vcc_lo, v[8:9], v[6:7]
	s_waitcnt vmcnt(0)
	v_subrev_nc_u32_e32 v8, s6, v10
	v_ashrrev_i32_e32 v9, 31, v8
	v_dual_cndmask_b32 v1, v3, v1 :: v_dual_cndmask_b32 v0, v2, v0
	s_delay_alu instid0(VALU_DEP_1)
	v_cmpx_ne_u64_e64 v[0:1], v[8:9]
	s_cbranch_execz .LBB17_33
; %bb.39:                               ;   in Loop: Header=BB17_34 Depth=1
	v_lshlrev_b64 v[2:3], 3, v[6:7]
	v_lshlrev_b64 v[0:1], 3, v[0:1]
	s_mov_b32 s18, 0
	s_delay_alu instid0(VALU_DEP_2) | instskip(NEXT) | instid1(VALU_DEP_3)
	v_add_co_u32 v2, vcc_lo, s12, v2
	v_add_co_ci_u32_e32 v3, vcc_lo, s13, v3, vcc_lo
	s_delay_alu instid0(VALU_DEP_3) | instskip(NEXT) | instid1(VALU_DEP_4)
	v_add_co_u32 v0, vcc_lo, s14, v0
	v_add_co_ci_u32_e32 v1, vcc_lo, s15, v1, vcc_lo
	global_load_b64 v[10:11], v[2:3], off
	v_lshlrev_b64 v[2:3], 3, v[8:9]
	global_load_b64 v[0:1], v[0:1], off
	v_add_co_u32 v8, vcc_lo, s20, v2
	v_add_co_ci_u32_e32 v9, vcc_lo, s21, v3, vcc_lo
	global_load_b64 v[2:3], v[8:9], off
	s_waitcnt vmcnt(2)
	v_mul_f64 v[10:11], v[4:5], v[10:11]
	s_waitcnt vmcnt(1)
	s_delay_alu instid0(VALU_DEP_1)
	v_mul_f64 v[10:11], v[10:11], v[0:1]
.LBB17_40:                              ;   Parent Loop BB17_34 Depth=1
                                        ; =>  This Inner Loop Header: Depth=2
	s_waitcnt vmcnt(0)
	s_delay_alu instid0(VALU_DEP_1)
	v_add_f64 v[0:1], v[2:3], v[10:11]
	global_atomic_cmpswap_b64 v[0:1], v[8:9], v[0:3], off glc
	s_waitcnt vmcnt(0)
	v_cmp_eq_u64_e32 vcc_lo, v[0:1], v[2:3]
	v_dual_mov_b32 v3, v1 :: v_dual_mov_b32 v2, v0
	s_or_b32 s18, vcc_lo, s18
	s_delay_alu instid0(SALU_CYCLE_1)
	s_and_not1_b32 exec_lo, exec_lo, s18
	s_cbranch_execnz .LBB17_40
	s_branch .LBB17_33
.LBB17_41:
	s_endpgm
	.section	.rodata,"a",@progbits
	.p2align	6, 0x0
	.amdhsa_kernel _ZL33csrmvn_symm_large_adaptive_kernelIliddddEvbT_PKS0_N9rocsparse24const_host_device_scalarIT4_EES2_PKT0_PKT1_PKT2_S6_PT3_21rocsparse_index_base_b
		.amdhsa_group_segment_fixed_size 8192
		.amdhsa_private_segment_fixed_size 0
		.amdhsa_kernarg_size 88
		.amdhsa_user_sgpr_count 15
		.amdhsa_user_sgpr_dispatch_ptr 0
		.amdhsa_user_sgpr_queue_ptr 0
		.amdhsa_user_sgpr_kernarg_segment_ptr 1
		.amdhsa_user_sgpr_dispatch_id 0
		.amdhsa_user_sgpr_private_segment_size 0
		.amdhsa_wavefront_size32 1
		.amdhsa_uses_dynamic_stack 0
		.amdhsa_enable_private_segment 0
		.amdhsa_system_sgpr_workgroup_id_x 1
		.amdhsa_system_sgpr_workgroup_id_y 0
		.amdhsa_system_sgpr_workgroup_id_z 0
		.amdhsa_system_sgpr_workgroup_info 0
		.amdhsa_system_vgpr_workitem_id 0
		.amdhsa_next_free_vgpr 18
		.amdhsa_next_free_sgpr 36
		.amdhsa_reserve_vcc 1
		.amdhsa_float_round_mode_32 0
		.amdhsa_float_round_mode_16_64 0
		.amdhsa_float_denorm_mode_32 3
		.amdhsa_float_denorm_mode_16_64 3
		.amdhsa_dx10_clamp 1
		.amdhsa_ieee_mode 1
		.amdhsa_fp16_overflow 0
		.amdhsa_workgroup_processor_mode 1
		.amdhsa_memory_ordered 1
		.amdhsa_forward_progress 0
		.amdhsa_shared_vgpr_count 0
		.amdhsa_exception_fp_ieee_invalid_op 0
		.amdhsa_exception_fp_denorm_src 0
		.amdhsa_exception_fp_ieee_div_zero 0
		.amdhsa_exception_fp_ieee_overflow 0
		.amdhsa_exception_fp_ieee_underflow 0
		.amdhsa_exception_fp_ieee_inexact 0
		.amdhsa_exception_int_div_zero 0
	.end_amdhsa_kernel
	.section	.text._ZL33csrmvn_symm_large_adaptive_kernelIliddddEvbT_PKS0_N9rocsparse24const_host_device_scalarIT4_EES2_PKT0_PKT1_PKT2_S6_PT3_21rocsparse_index_base_b,"axG",@progbits,_ZL33csrmvn_symm_large_adaptive_kernelIliddddEvbT_PKS0_N9rocsparse24const_host_device_scalarIT4_EES2_PKT0_PKT1_PKT2_S6_PT3_21rocsparse_index_base_b,comdat
.Lfunc_end17:
	.size	_ZL33csrmvn_symm_large_adaptive_kernelIliddddEvbT_PKS0_N9rocsparse24const_host_device_scalarIT4_EES2_PKT0_PKT1_PKT2_S6_PT3_21rocsparse_index_base_b, .Lfunc_end17-_ZL33csrmvn_symm_large_adaptive_kernelIliddddEvbT_PKS0_N9rocsparse24const_host_device_scalarIT4_EES2_PKT0_PKT1_PKT2_S6_PT3_21rocsparse_index_base_b
                                        ; -- End function
	.section	.AMDGPU.csdata,"",@progbits
; Kernel info:
; codeLenInByte = 2120
; NumSgprs: 38
; NumVgprs: 18
; ScratchSize: 0
; MemoryBound: 0
; FloatMode: 240
; IeeeMode: 1
; LDSByteSize: 8192 bytes/workgroup (compile time only)
; SGPRBlocks: 4
; VGPRBlocks: 2
; NumSGPRsForWavesPerEU: 38
; NumVGPRsForWavesPerEU: 18
; Occupancy: 16
; WaveLimiterHint : 1
; COMPUTE_PGM_RSRC2:SCRATCH_EN: 0
; COMPUTE_PGM_RSRC2:USER_SGPR: 15
; COMPUTE_PGM_RSRC2:TRAP_HANDLER: 0
; COMPUTE_PGM_RSRC2:TGID_X_EN: 1
; COMPUTE_PGM_RSRC2:TGID_Y_EN: 0
; COMPUTE_PGM_RSRC2:TGID_Z_EN: 0
; COMPUTE_PGM_RSRC2:TIDIG_COMP_CNT: 0
	.section	.text._ZN9rocsparseL22csrmvn_adaptive_kernelIllddddEEvbT_PKS1_PjPKT0_NS_24const_host_device_scalarIT4_EES3_S7_PKT1_PKT2_SA_PT3_21rocsparse_index_base_b,"axG",@progbits,_ZN9rocsparseL22csrmvn_adaptive_kernelIllddddEEvbT_PKS1_PjPKT0_NS_24const_host_device_scalarIT4_EES3_S7_PKT1_PKT2_SA_PT3_21rocsparse_index_base_b,comdat
	.globl	_ZN9rocsparseL22csrmvn_adaptive_kernelIllddddEEvbT_PKS1_PjPKT0_NS_24const_host_device_scalarIT4_EES3_S7_PKT1_PKT2_SA_PT3_21rocsparse_index_base_b ; -- Begin function _ZN9rocsparseL22csrmvn_adaptive_kernelIllddddEEvbT_PKS1_PjPKT0_NS_24const_host_device_scalarIT4_EES3_S7_PKT1_PKT2_SA_PT3_21rocsparse_index_base_b
	.p2align	8
	.type	_ZN9rocsparseL22csrmvn_adaptive_kernelIllddddEEvbT_PKS1_PjPKT0_NS_24const_host_device_scalarIT4_EES3_S7_PKT1_PKT2_SA_PT3_21rocsparse_index_base_b,@function
_ZN9rocsparseL22csrmvn_adaptive_kernelIllddddEEvbT_PKS1_PjPKT0_NS_24const_host_device_scalarIT4_EES3_S7_PKT1_PKT2_SA_PT3_21rocsparse_index_base_b: ; @_ZN9rocsparseL22csrmvn_adaptive_kernelIllddddEEvbT_PKS1_PjPKT0_NS_24const_host_device_scalarIT4_EES3_S7_PKT1_PKT2_SA_PT3_21rocsparse_index_base_b
; %bb.0:
	s_clause 0x2
	s_load_b64 s[34:35], s[0:1], 0x60
	s_load_b64 s[4:5], s[0:1], 0x28
	;; [unrolled: 1-line block ×3, first 2 shown]
	s_mov_b32 s38, s15
	s_waitcnt lgkmcnt(0)
	s_bitcmp1_b32 s35, 0
	v_dual_mov_b32 v8, s5 :: v_dual_mov_b32 v7, s4
	s_cselect_b32 s6, -1, 0
	s_delay_alu instid0(SALU_CYCLE_1)
	s_and_b32 vcc_lo, exec_lo, s6
	s_xor_b32 s6, s6, -1
	s_cbranch_vccnz .LBB18_2
; %bb.1:
	v_dual_mov_b32 v1, s4 :: v_dual_mov_b32 v2, s5
	flat_load_b64 v[7:8], v[1:2]
.LBB18_2:
	v_dual_mov_b32 v6, s3 :: v_dual_mov_b32 v5, s2
	s_and_not1_b32 vcc_lo, exec_lo, s6
	s_cbranch_vccnz .LBB18_4
; %bb.3:
	v_dual_mov_b32 v1, s2 :: v_dual_mov_b32 v2, s3
	flat_load_b64 v[5:6], v[1:2]
.LBB18_4:
	s_waitcnt vmcnt(0) lgkmcnt(0)
	v_cmp_neq_f64_e32 vcc_lo, 0, v[7:8]
	v_cmp_neq_f64_e64 s2, 1.0, v[5:6]
	s_delay_alu instid0(VALU_DEP_1) | instskip(NEXT) | instid1(SALU_CYCLE_1)
	s_or_b32 s2, vcc_lo, s2
	s_and_saveexec_b32 s3, s2
	s_cbranch_execz .LBB18_116
; %bb.5:
	s_clause 0x2
	s_load_b64 s[2:3], s[0:1], 0x10
	s_load_b64 s[6:7], s[0:1], 0x20
	;; [unrolled: 1-line block ×3, first 2 shown]
	s_ashr_i32 s39, s38, 31
	s_delay_alu instid0(SALU_CYCLE_1)
	s_lshl_b64 s[4:5], s[38:39], 3
	s_waitcnt lgkmcnt(0)
	s_add_u32 s2, s2, s4
	s_addc_u32 s3, s3, s5
	s_load_b128 s[20:23], s[2:3], 0x0
	s_load_b256 s[12:19], s[0:1], 0x30
	s_waitcnt lgkmcnt(0)
	s_sub_u32 s2, s22, s20
	s_subb_u32 s3, s23, s21
	s_add_u32 s4, s6, s4
	s_addc_u32 s5, s7, s5
	s_lshl_b64 s[36:37], s[20:21], 3
	s_delay_alu instid0(SALU_CYCLE_1) | instskip(SKIP_4) | instid1(VALU_DEP_1)
	s_add_u32 s30, s12, s36
	s_addc_u32 s31, s13, s37
	s_load_b64 s[26:27], s[4:5], 0x0
	s_load_b64 s[28:29], s[30:31], 0x0
	v_cmp_lt_i64_e64 s4, s[2:3], 2
	s_and_b32 vcc_lo, exec_lo, s4
	s_mov_b32 s4, -1
	s_cbranch_vccz .LBB18_72
; %bb.6:
	s_cmp_lg_u64 s[2:3], 1
	s_cselect_b32 s2, -1, 0
	s_waitcnt lgkmcnt(0)
	s_cmp_lg_u64 s[26:27], 0
	s_cselect_b32 s3, -1, 0
	s_delay_alu instid0(SALU_CYCLE_1) | instskip(NEXT) | instid1(SALU_CYCLE_1)
	s_or_b32 s2, s2, s3
	s_and_b32 vcc_lo, exec_lo, s2
	s_mov_b32 s2, -1
	s_cbranch_vccnz .LBB18_35
; %bb.7:
	v_cmp_le_i64_e64 s2, s[22:23], s[20:21]
	s_delay_alu instid0(VALU_DEP_1)
	s_and_b32 vcc_lo, exec_lo, s2
	s_cbranch_vccnz .LBB18_34
; %bb.8:
	v_cmp_neq_f64_e64 s2, 0, v[5:6]
	v_sub_co_u32 v13, s3, v0, s34
	s_delay_alu instid0(VALU_DEP_1)
	v_sub_co_ci_u32_e64 v14, null, 0, 0, s3
	v_dual_mov_b32 v16, 0 :: v_dual_lshlrev_b32 v15, 3, v0
	v_cmp_gt_u32_e64 s3, 0x80, v0
	v_cmp_gt_u32_e64 s4, 64, v0
	;; [unrolled: 1-line block ×7, first 2 shown]
	v_cmp_eq_u32_e64 s10, 0, v0
	s_add_u32 s33, s12, 8
	s_addc_u32 s35, s13, 0
	s_mov_b64 s[42:43], s[28:29]
	s_mov_b64 s[40:41], s[20:21]
	s_branch .LBB18_11
.LBB18_9:                               ;   in Loop: Header=BB18_11 Depth=1
	s_or_b32 exec_lo, exec_lo, s46
	s_add_u32 s44, s24, s44
	s_addc_u32 s45, s25, s45
	s_waitcnt lgkmcnt(0)
	global_store_b64 v16, v[1:2], s[44:45]
.LBB18_10:                              ;   in Loop: Header=BB18_11 Depth=1
	s_or_b32 exec_lo, exec_lo, s11
	s_add_u32 s40, s40, 1
	s_addc_u32 s41, s41, 0
	s_delay_alu instid0(SALU_CYCLE_1) | instskip(NEXT) | instid1(VALU_DEP_1)
	v_cmp_ge_i64_e64 s11, s[40:41], s[22:23]
	s_and_b32 vcc_lo, exec_lo, s11
	s_cbranch_vccnz .LBB18_34
.LBB18_11:                              ; =>This Loop Header: Depth=1
                                        ;     Child Loop BB18_13 Depth 2
	s_lshl_b64 s[44:45], s[40:41], 3
	s_mov_b64 s[48:49], s[42:43]
	s_add_u32 s46, s33, s44
	s_addc_u32 s47, s35, s45
	v_add_co_u32 v1, vcc_lo, s48, v13
	s_load_b64 s[42:43], s[46:47], 0x0
	v_mov_b32_e32 v3, 0
	v_add_co_ci_u32_e32 v2, vcc_lo, s49, v14, vcc_lo
	v_mov_b32_e32 v4, 0
	s_mov_b32 s48, exec_lo
	s_waitcnt lgkmcnt(0)
	s_sub_u32 s46, s42, s34
	s_subb_u32 s47, s43, 0
	s_delay_alu instid0(SALU_CYCLE_1)
	v_cmpx_gt_i64_e64 s[46:47], v[1:2]
	s_cbranch_execz .LBB18_15
; %bb.12:                               ;   in Loop: Header=BB18_11 Depth=1
	v_lshlrev_b64 v[11:12], 3, v[1:2]
	v_mov_b32_e32 v3, 0
	v_mov_b32_e32 v4, 0
	s_mov_b32 s49, 0
	s_delay_alu instid0(VALU_DEP_3) | instskip(NEXT) | instid1(VALU_DEP_4)
	v_add_co_u32 v9, vcc_lo, s16, v11
	v_add_co_ci_u32_e32 v10, vcc_lo, s17, v12, vcc_lo
	v_add_co_u32 v11, vcc_lo, s14, v11
	v_add_co_ci_u32_e32 v12, vcc_lo, s15, v12, vcc_lo
	s_set_inst_prefetch_distance 0x1
	.p2align	6
.LBB18_13:                              ;   Parent Loop BB18_11 Depth=1
                                        ; =>  This Inner Loop Header: Depth=2
	global_load_b64 v[17:18], v[11:12], off
	global_load_b64 v[19:20], v[9:10], off
	v_add_co_u32 v11, s11, 0x800, v11
	s_delay_alu instid0(VALU_DEP_1)
	v_add_co_ci_u32_e64 v12, s11, 0, v12, s11
	s_waitcnt vmcnt(1)
	v_sub_co_u32 v17, vcc_lo, v17, s34
	v_subrev_co_ci_u32_e32 v18, vcc_lo, 0, v18, vcc_lo
	s_waitcnt vmcnt(0)
	v_mul_f64 v[19:20], v[7:8], v[19:20]
	s_delay_alu instid0(VALU_DEP_2) | instskip(NEXT) | instid1(VALU_DEP_1)
	v_lshlrev_b64 v[17:18], 3, v[17:18]
	v_add_co_u32 v17, vcc_lo, s18, v17
	s_delay_alu instid0(VALU_DEP_2)
	v_add_co_ci_u32_e32 v18, vcc_lo, s19, v18, vcc_lo
	v_add_co_u32 v1, vcc_lo, 0x100, v1
	v_add_co_ci_u32_e32 v2, vcc_lo, 0, v2, vcc_lo
	global_load_b64 v[17:18], v[17:18], off
	v_add_co_u32 v9, vcc_lo, 0x800, v9
	v_add_co_ci_u32_e32 v10, vcc_lo, 0, v10, vcc_lo
	v_cmp_le_i64_e32 vcc_lo, s[46:47], v[1:2]
	s_or_b32 s49, vcc_lo, s49
	s_waitcnt vmcnt(0)
	v_fma_f64 v[3:4], v[19:20], v[17:18], v[3:4]
	s_and_not1_b32 exec_lo, exec_lo, s49
	s_cbranch_execnz .LBB18_13
; %bb.14:                               ;   in Loop: Header=BB18_11 Depth=1
	s_set_inst_prefetch_distance 0x2
	s_or_b32 exec_lo, exec_lo, s49
.LBB18_15:                              ;   in Loop: Header=BB18_11 Depth=1
	s_delay_alu instid0(SALU_CYCLE_1)
	s_or_b32 exec_lo, exec_lo, s48
	ds_store_b64 v15, v[3:4]
	s_waitcnt lgkmcnt(0)
	s_waitcnt_vscnt null, 0x0
	s_barrier
	buffer_gl0_inv
	s_and_saveexec_b32 s11, s3
	s_cbranch_execz .LBB18_17
; %bb.16:                               ;   in Loop: Header=BB18_11 Depth=1
	ds_load_2addr_stride64_b64 v[1:4], v15 offset1:2
	s_waitcnt lgkmcnt(0)
	v_add_f64 v[1:2], v[1:2], v[3:4]
	ds_store_b64 v15, v[1:2]
.LBB18_17:                              ;   in Loop: Header=BB18_11 Depth=1
	s_or_b32 exec_lo, exec_lo, s11
	s_waitcnt lgkmcnt(0)
	s_barrier
	buffer_gl0_inv
	s_and_saveexec_b32 s11, s4
	s_cbranch_execz .LBB18_19
; %bb.18:                               ;   in Loop: Header=BB18_11 Depth=1
	ds_load_2addr_stride64_b64 v[1:4], v15 offset1:1
	s_waitcnt lgkmcnt(0)
	v_add_f64 v[1:2], v[1:2], v[3:4]
	ds_store_b64 v15, v[1:2]
.LBB18_19:                              ;   in Loop: Header=BB18_11 Depth=1
	s_or_b32 exec_lo, exec_lo, s11
	s_waitcnt lgkmcnt(0)
	s_barrier
	buffer_gl0_inv
	s_and_saveexec_b32 s11, s5
	s_cbranch_execz .LBB18_21
; %bb.20:                               ;   in Loop: Header=BB18_11 Depth=1
	ds_load_2addr_b64 v[1:4], v15 offset1:32
	s_waitcnt lgkmcnt(0)
	v_add_f64 v[1:2], v[1:2], v[3:4]
	ds_store_b64 v15, v[1:2]
.LBB18_21:                              ;   in Loop: Header=BB18_11 Depth=1
	s_or_b32 exec_lo, exec_lo, s11
	s_waitcnt lgkmcnt(0)
	s_barrier
	buffer_gl0_inv
	s_and_saveexec_b32 s11, s6
	s_cbranch_execz .LBB18_23
; %bb.22:                               ;   in Loop: Header=BB18_11 Depth=1
	ds_load_2addr_b64 v[1:4], v15 offset1:16
	s_waitcnt lgkmcnt(0)
	v_add_f64 v[1:2], v[1:2], v[3:4]
	ds_store_b64 v15, v[1:2]
.LBB18_23:                              ;   in Loop: Header=BB18_11 Depth=1
	;; [unrolled: 12-line block ×5, first 2 shown]
	s_or_b32 exec_lo, exec_lo, s11
	s_waitcnt lgkmcnt(0)
	s_barrier
	buffer_gl0_inv
	s_and_saveexec_b32 s11, s10
	s_cbranch_execz .LBB18_31
; %bb.30:                               ;   in Loop: Header=BB18_11 Depth=1
	ds_load_b128 v[1:4], v16
	s_waitcnt lgkmcnt(0)
	v_add_f64 v[1:2], v[1:2], v[3:4]
	ds_store_b64 v16, v[1:2]
.LBB18_31:                              ;   in Loop: Header=BB18_11 Depth=1
	s_or_b32 exec_lo, exec_lo, s11
	s_waitcnt lgkmcnt(0)
	s_barrier
	buffer_gl0_inv
	s_and_saveexec_b32 s11, s10
	s_cbranch_execz .LBB18_10
; %bb.32:                               ;   in Loop: Header=BB18_11 Depth=1
	ds_load_b64 v[1:2], v16
	s_and_saveexec_b32 s46, s2
	s_cbranch_execz .LBB18_9
; %bb.33:                               ;   in Loop: Header=BB18_11 Depth=1
	s_add_u32 s48, s24, s44
	s_addc_u32 s49, s25, s45
	global_load_b64 v[3:4], v16, s[48:49]
	s_waitcnt vmcnt(0) lgkmcnt(0)
	v_fma_f64 v[1:2], v[5:6], v[3:4], v[1:2]
	s_branch .LBB18_9
.LBB18_34:
	s_mov_b32 s2, 0
.LBB18_35:
	s_delay_alu instid0(SALU_CYCLE_1)
	s_and_not1_b32 vcc_lo, exec_lo, s2
	s_cbranch_vccnz .LBB18_71
; %bb.36:
	s_load_b64 s[6:7], s[0:1], 0x18
	s_sub_u32 s8, s38, s26
	s_subb_u32 s9, s39, s27
	s_lshl_b64 s[2:3], s[38:39], 2
	v_cmp_eq_u32_e32 vcc_lo, 0, v0
	v_mov_b32_e32 v1, 0
	v_mov_b32_e32 v2, 0
	s_waitcnt lgkmcnt(0)
	s_add_u32 s4, s6, s2
	s_addc_u32 s5, s7, s3
	s_cmp_eq_u64 s[26:27], 0
	s_load_b32 s33, s[4:5], 0x0
	s_cselect_b32 s2, -1, 0
	s_cmp_lg_u64 s[26:27], 0
	s_cselect_b32 s35, -1, 0
	s_and_b32 s2, vcc_lo, s2
	s_delay_alu instid0(SALU_CYCLE_1)
	s_and_saveexec_b32 s3, s2
	s_cbranch_execz .LBB18_40
; %bb.37:
	v_add_f64 v[1:2], v[5:6], -1.0
	s_add_u32 s10, s24, s36
	s_addc_u32 s11, s25, s37
	s_mov_b32 s38, exec_lo
	s_load_b64 s[10:11], s[10:11], 0x0
	v_mbcnt_lo_u32_b32 v3, s38, 0
	s_mov_b32 s39, exec_lo
	s_waitcnt vmcnt(0) expcnt(0) lgkmcnt(0)
	s_waitcnt_vscnt null, 0x0
	s_delay_alu instid0(VALU_DEP_1)
	v_cmpx_eq_u32_e32 0, v3
	s_cbranch_execz .LBB18_39
; %bb.38:
	s_lshl_b64 s[40:41], s[8:9], 2
	s_delay_alu instid0(SALU_CYCLE_1) | instskip(SKIP_2) | instid1(SALU_CYCLE_1)
	s_add_u32 s40, s6, s40
	s_addc_u32 s41, s7, s41
	s_bcnt1_i32_b32 s2, s38
	s_and_b32 s2, s2, 1
	s_delay_alu instid0(SALU_CYCLE_1)
	v_dual_mov_b32 v3, 0 :: v_dual_mov_b32 v4, s2
	global_atomic_xor_b32 v3, v4, s[40:41]
.LBB18_39:
	s_or_b32 exec_lo, exec_lo, s39
	s_delay_alu instid0(VALU_DEP_3)
	v_mul_f64 v[1:2], v[1:2], s[10:11]
.LBB18_40:
	s_or_b32 exec_lo, exec_lo, s3
	s_load_b64 s[10:11], s[30:31], 0x8
	s_mul_i32 s2, s27, 0xc00
	s_mul_hi_u32 s3, s26, 0xc00
	s_delay_alu instid0(SALU_CYCLE_1)
	s_add_i32 s3, s3, s2
	s_mul_i32 s2, s26, 0xc00
	s_sub_u32 s38, s28, s34
	s_subb_u32 s40, s29, 0
	s_add_u32 s39, s38, s2
	s_addc_u32 s3, s40, s3
	v_add_co_u32 v3, s2, s39, v0
	s_delay_alu instid0(VALU_DEP_1) | instskip(SKIP_4) | instid1(SALU_CYCLE_1)
	v_add_co_ci_u32_e64 v4, null, s3, 0, s2
	s_mov_b32 s38, exec_lo
	s_waitcnt lgkmcnt(0)
	s_sub_u32 s10, s10, s34
	s_subb_u32 s11, s11, 0
	v_cmpx_gt_i64_e64 s[10:11], v[3:4]
	s_cbranch_execz .LBB18_44
; %bb.41:
	s_add_u32 s40, s39, 0xc00
	v_lshlrev_b64 v[11:12], 3, v[3:4]
	s_addc_u32 s41, s3, 0
	s_mov_b32 s39, 0
	v_cmp_lt_i64_e64 s3, s[40:41], s[10:11]
	s_delay_alu instid0(VALU_DEP_2) | instskip(NEXT) | instid1(VALU_DEP_1)
	v_add_co_u32 v9, s2, s16, v11
	v_add_co_ci_u32_e64 v10, s2, s17, v12, s2
	s_delay_alu instid0(VALU_DEP_3) | instskip(SKIP_1) | instid1(VALU_DEP_1)
	s_and_b32 s2, s3, exec_lo
	v_add_co_u32 v11, s2, s14, v11
	v_add_co_ci_u32_e64 v12, s2, s15, v12, s2
	s_cselect_b32 s11, s41, s11
	s_cselect_b32 s10, s40, s10
	s_set_inst_prefetch_distance 0x1
	.p2align	6
.LBB18_42:                              ; =>This Inner Loop Header: Depth=1
	global_load_b64 v[13:14], v[11:12], off
	global_load_b64 v[15:16], v[9:10], off
	v_add_co_u32 v11, s3, 0x800, v11
	s_delay_alu instid0(VALU_DEP_1) | instskip(SKIP_2) | instid1(VALU_DEP_1)
	v_add_co_ci_u32_e64 v12, s3, 0, v12, s3
	s_waitcnt vmcnt(1)
	v_sub_co_u32 v13, s2, v13, s34
	v_subrev_co_ci_u32_e64 v14, s2, 0, v14, s2
	s_waitcnt vmcnt(0)
	v_mul_f64 v[15:16], v[7:8], v[15:16]
	s_delay_alu instid0(VALU_DEP_2) | instskip(NEXT) | instid1(VALU_DEP_1)
	v_lshlrev_b64 v[13:14], 3, v[13:14]
	v_add_co_u32 v13, s2, s18, v13
	s_delay_alu instid0(VALU_DEP_1) | instskip(SKIP_1) | instid1(VALU_DEP_1)
	v_add_co_ci_u32_e64 v14, s2, s19, v14, s2
	v_add_co_u32 v3, s2, 0x100, v3
	v_add_co_ci_u32_e64 v4, s2, 0, v4, s2
	global_load_b64 v[13:14], v[13:14], off
	v_add_co_u32 v9, s2, 0x800, v9
	s_delay_alu instid0(VALU_DEP_1) | instskip(SKIP_1) | instid1(VALU_DEP_1)
	v_add_co_ci_u32_e64 v10, s2, 0, v10, s2
	v_cmp_le_i64_e64 s2, s[10:11], v[3:4]
	s_or_b32 s39, s2, s39
	s_waitcnt vmcnt(0)
	v_fma_f64 v[1:2], v[15:16], v[13:14], v[1:2]
	s_and_not1_b32 exec_lo, exec_lo, s39
	s_cbranch_execnz .LBB18_42
; %bb.43:
	s_set_inst_prefetch_distance 0x2
	s_or_b32 exec_lo, exec_lo, s39
.LBB18_44:
	s_delay_alu instid0(SALU_CYCLE_1)
	s_or_b32 exec_lo, exec_lo, s38
	v_lshlrev_b32_e32 v3, 3, v0
	s_mov_b32 s3, exec_lo
	ds_store_b64 v3, v[1:2]
	s_waitcnt lgkmcnt(0)
	s_waitcnt_vscnt null, 0x0
	s_barrier
	buffer_gl0_inv
	v_cmpx_gt_u32_e32 0x80, v0
	s_cbranch_execz .LBB18_46
; %bb.45:
	ds_load_2addr_stride64_b64 v[9:12], v3 offset1:2
	s_waitcnt lgkmcnt(0)
	v_add_f64 v[1:2], v[9:10], v[11:12]
	ds_store_b64 v3, v[1:2]
.LBB18_46:
	s_or_b32 exec_lo, exec_lo, s3
	s_delay_alu instid0(SALU_CYCLE_1)
	s_mov_b32 s3, exec_lo
	s_waitcnt lgkmcnt(0)
	s_barrier
	buffer_gl0_inv
	v_cmpx_gt_u32_e32 64, v0
	s_cbranch_execz .LBB18_48
; %bb.47:
	ds_load_2addr_stride64_b64 v[9:12], v3 offset1:1
	s_waitcnt lgkmcnt(0)
	v_add_f64 v[1:2], v[9:10], v[11:12]
	ds_store_b64 v3, v[1:2]
.LBB18_48:
	s_or_b32 exec_lo, exec_lo, s3
	s_delay_alu instid0(SALU_CYCLE_1)
	s_mov_b32 s3, exec_lo
	s_waitcnt lgkmcnt(0)
	s_barrier
	buffer_gl0_inv
	v_cmpx_gt_u32_e32 32, v0
	s_cbranch_execz .LBB18_50
; %bb.49:
	ds_load_2addr_b64 v[9:12], v3 offset1:32
	s_waitcnt lgkmcnt(0)
	v_add_f64 v[1:2], v[9:10], v[11:12]
	ds_store_b64 v3, v[1:2]
.LBB18_50:
	s_or_b32 exec_lo, exec_lo, s3
	s_delay_alu instid0(SALU_CYCLE_1)
	s_mov_b32 s3, exec_lo
	s_waitcnt lgkmcnt(0)
	s_barrier
	buffer_gl0_inv
	v_cmpx_gt_u32_e32 16, v0
	s_cbranch_execz .LBB18_52
; %bb.51:
	ds_load_2addr_b64 v[9:12], v3 offset1:16
	s_waitcnt lgkmcnt(0)
	v_add_f64 v[1:2], v[9:10], v[11:12]
	ds_store_b64 v3, v[1:2]
.LBB18_52:
	;; [unrolled: 14-line block ×5, first 2 shown]
	s_or_b32 exec_lo, exec_lo, s3
	s_waitcnt lgkmcnt(0)
	s_barrier
	buffer_gl0_inv
	s_and_saveexec_b32 s2, vcc_lo
	s_cbranch_execz .LBB18_60
; %bb.59:
	v_mov_b32_e32 v9, 0
	ds_load_b128 v[1:4], v9
	s_waitcnt lgkmcnt(0)
	v_add_f64 v[1:2], v[1:2], v[3:4]
	ds_store_b64 v9, v[1:2]
.LBB18_60:
	s_or_b32 exec_lo, exec_lo, s2
	s_waitcnt lgkmcnt(0)
	s_barrier
	buffer_gl0_inv
	s_and_saveexec_b32 s10, vcc_lo
	s_cbranch_execz .LBB18_70
; %bb.61:
	s_and_not1_b32 vcc_lo, exec_lo, s35
	s_cbranch_vccnz .LBB18_67
; %bb.62:
	s_lshl_b64 s[2:3], s[8:9], 2
	v_mov_b32_e32 v1, 0
	s_add_u32 s2, s6, s2
	s_addc_u32 s3, s7, s3
	s_branch .LBB18_64
.LBB18_63:                              ;   in Loop: Header=BB18_64 Depth=1
	s_or_b32 exec_lo, exec_lo, s6
	s_waitcnt vmcnt(0)
	v_readfirstlane_b32 s6, v2
	s_delay_alu instid0(VALU_DEP_1)
	s_cmp_eq_u32 s6, s33
	s_cbranch_scc0 .LBB18_66
.LBB18_64:                              ; =>This Inner Loop Header: Depth=1
	v_mbcnt_lo_u32_b32 v2, exec_lo, 0
	s_delay_alu instid0(VALU_DEP_1)
	v_cmp_eq_u32_e32 vcc_lo, 0, v2
                                        ; implicit-def: $vgpr2
	s_and_saveexec_b32 s6, vcc_lo
	s_cbranch_execz .LBB18_63
; %bb.65:                               ;   in Loop: Header=BB18_64 Depth=1
	global_load_b32 v2, v1, s[2:3] glc
	s_branch .LBB18_63
.LBB18_66:
	v_mov_b32_e32 v1, 0
	global_load_b32 v2, v1, s[4:5]
	s_waitcnt vmcnt(0)
	v_xor_b32_e32 v2, 1, v2
	global_store_b32 v1, v2, s[4:5]
.LBB18_67:
	s_mov_b32 s5, exec_lo
	s_mov_b32 s4, 0
	v_mbcnt_lo_u32_b32 v1, s5, 0
	s_delay_alu instid0(VALU_DEP_1) | instskip(SKIP_1) | instid1(SALU_CYCLE_1)
	v_cmp_eq_u32_e32 vcc_lo, 0, v1
	s_and_b32 s2, exec_lo, vcc_lo
	s_mov_b32 exec_lo, s2
	s_cbranch_execz .LBB18_70
; %bb.68:
	v_mov_b32_e32 v11, 0
	s_add_u32 s2, s24, s36
	s_addc_u32 s3, s25, s37
	s_bcnt1_i32_b32 s5, s5
	s_delay_alu instid0(SALU_CYCLE_1)
	v_cvt_f64_u32_e32 v[1:2], s5
	global_load_b64 v[3:4], v11, s[2:3]
	ds_load_b64 v[9:10], v11
	s_waitcnt lgkmcnt(0)
	v_mul_f64 v[9:10], v[9:10], v[1:2]
.LBB18_69:                              ; =>This Inner Loop Header: Depth=1
	s_waitcnt vmcnt(0)
	s_delay_alu instid0(VALU_DEP_1)
	v_add_f64 v[1:2], v[3:4], v[9:10]
	global_atomic_cmpswap_b64 v[1:2], v11, v[1:4], s[2:3] glc
	s_waitcnt vmcnt(0)
	v_cmp_eq_u64_e32 vcc_lo, v[1:2], v[3:4]
	v_dual_mov_b32 v4, v2 :: v_dual_mov_b32 v3, v1
	s_or_b32 s4, vcc_lo, s4
	s_delay_alu instid0(SALU_CYCLE_1)
	s_and_not1_b32 exec_lo, exec_lo, s4
	s_cbranch_execnz .LBB18_69
.LBB18_70:
	s_or_b32 exec_lo, exec_lo, s10
.LBB18_71:
	s_mov_b32 s4, 0
.LBB18_72:
	s_delay_alu instid0(SALU_CYCLE_1)
	s_and_not1_b32 vcc_lo, exec_lo, s4
	s_cbranch_vccnz .LBB18_116
; %bb.73:
	s_load_b64 s[0:1], s[0:1], 0x8
	v_sub_co_u32 v1, s2, v0, s34
	s_delay_alu instid0(VALU_DEP_1) | instskip(SKIP_1) | instid1(VALU_DEP_2)
	v_sub_co_ci_u32_e64 v2, null, 0, 0, s2
	s_waitcnt lgkmcnt(0)
	v_add_co_u32 v1, vcc_lo, s28, v1
	s_delay_alu instid0(VALU_DEP_2) | instskip(NEXT) | instid1(VALU_DEP_2)
	v_add_co_ci_u32_e32 v2, vcc_lo, s29, v2, vcc_lo
	v_add_co_u32 v3, vcc_lo, 0x300, v1
	s_delay_alu instid0(VALU_DEP_2) | instskip(NEXT) | instid1(VALU_DEP_1)
	v_add_co_ci_u32_e32 v4, vcc_lo, 0, v2, vcc_lo
	v_cmp_le_i64_e32 vcc_lo, s[0:1], v[3:4]
	s_and_saveexec_b32 s0, vcc_lo
	s_delay_alu instid0(SALU_CYCLE_1)
	s_xor_b32 s1, exec_lo, s0
	s_cbranch_execz .LBB18_78
; %bb.74:
	s_lshl_b64 s[2:3], s[22:23], 3
	s_mov_b32 s4, exec_lo
	s_add_u32 s2, s12, s2
	s_addc_u32 s3, s13, s3
	s_load_b64 s[2:3], s[2:3], 0x0
	s_waitcnt lgkmcnt(0)
	s_sub_u32 s2, s2, s34
	s_subb_u32 s3, s3, 0
	s_delay_alu instid0(SALU_CYCLE_1)
	v_cmpx_gt_i64_e64 s[2:3], v[1:2]
	s_cbranch_execz .LBB18_77
; %bb.75:
	v_lshlrev_b64 v[9:10], 3, v[1:2]
	v_lshlrev_b32_e32 v11, 3, v0
	s_mov_b32 s5, 0
	s_delay_alu instid0(VALU_DEP_2) | instskip(NEXT) | instid1(VALU_DEP_3)
	v_add_co_u32 v3, vcc_lo, s16, v9
	v_add_co_ci_u32_e32 v4, vcc_lo, s17, v10, vcc_lo
	v_add_co_u32 v9, vcc_lo, s14, v9
	v_add_co_ci_u32_e32 v10, vcc_lo, s15, v10, vcc_lo
	s_set_inst_prefetch_distance 0x1
	.p2align	6
.LBB18_76:                              ; =>This Inner Loop Header: Depth=1
	global_load_b64 v[12:13], v[9:10], off
	global_load_b64 v[14:15], v[3:4], off
	s_waitcnt vmcnt(1)
	v_sub_co_u32 v12, vcc_lo, v12, s34
	v_subrev_co_ci_u32_e32 v13, vcc_lo, 0, v13, vcc_lo
	s_waitcnt vmcnt(0)
	v_mul_f64 v[14:15], v[7:8], v[14:15]
	s_delay_alu instid0(VALU_DEP_2) | instskip(NEXT) | instid1(VALU_DEP_1)
	v_lshlrev_b64 v[12:13], 3, v[12:13]
	v_add_co_u32 v12, vcc_lo, s18, v12
	s_delay_alu instid0(VALU_DEP_2)
	v_add_co_ci_u32_e32 v13, vcc_lo, s19, v13, vcc_lo
	v_add_co_u32 v1, vcc_lo, 0x100, v1
	v_add_co_ci_u32_e32 v2, vcc_lo, 0, v2, vcc_lo
	global_load_b64 v[12:13], v[12:13], off
	v_add_co_u32 v3, vcc_lo, 0x800, v3
	v_add_co_ci_u32_e32 v4, vcc_lo, 0, v4, vcc_lo
	v_cmp_le_i64_e64 s0, s[2:3], v[1:2]
	v_add_co_u32 v9, vcc_lo, 0x800, v9
	v_add_co_ci_u32_e32 v10, vcc_lo, 0, v10, vcc_lo
	s_delay_alu instid0(VALU_DEP_3)
	s_or_b32 s5, s0, s5
	s_waitcnt vmcnt(0)
	v_mul_f64 v[12:13], v[14:15], v[12:13]
	ds_store_b64 v11, v[12:13]
	v_add_nc_u32_e32 v11, 0x800, v11
	s_and_not1_b32 exec_lo, exec_lo, s5
	s_cbranch_execnz .LBB18_76
.LBB18_77:
	s_set_inst_prefetch_distance 0x2
	s_or_b32 exec_lo, exec_lo, s4
                                        ; implicit-def: $vgpr1_vgpr2
                                        ; implicit-def: $vgpr7_vgpr8
.LBB18_78:
	s_or_saveexec_b32 s0, s1
	v_lshlrev_b32_e32 v15, 3, v0
	s_xor_b32 exec_lo, exec_lo, s0
	s_cbranch_execz .LBB18_80
; %bb.79:
	v_lshlrev_b64 v[1:2], 3, v[1:2]
	s_delay_alu instid0(VALU_DEP_1) | instskip(NEXT) | instid1(VALU_DEP_2)
	v_add_co_u32 v3, vcc_lo, s14, v1
	v_add_co_ci_u32_e32 v4, vcc_lo, s15, v2, vcc_lo
	s_delay_alu instid0(VALU_DEP_2)
	v_add_co_u32 v11, vcc_lo, 0x1000, v3
	global_load_b64 v[9:10], v[3:4], off
	v_add_co_ci_u32_e32 v12, vcc_lo, 0, v4, vcc_lo
	v_add_co_u32 v1, vcc_lo, s16, v1
	s_clause 0x2
	global_load_b64 v[3:4], v[3:4], off offset:2048
	global_load_b64 v[13:14], v[11:12], off
	global_load_b64 v[11:12], v[11:12], off offset:2048
	v_add_co_ci_u32_e32 v2, vcc_lo, s17, v2, vcc_lo
	v_add_co_u32 v16, vcc_lo, 0x1000, v1
	s_delay_alu instid0(VALU_DEP_2)
	v_add_co_ci_u32_e32 v17, vcc_lo, 0, v2, vcc_lo
	s_clause 0x3
	global_load_b64 v[18:19], v[1:2], off
	global_load_b64 v[1:2], v[1:2], off offset:2048
	global_load_b64 v[20:21], v[16:17], off
	global_load_b64 v[16:17], v[16:17], off offset:2048
	s_waitcnt vmcnt(7)
	v_sub_co_u32 v9, vcc_lo, v9, s34
	v_subrev_co_ci_u32_e32 v10, vcc_lo, 0, v10, vcc_lo
	s_waitcnt vmcnt(6)
	v_sub_co_u32 v3, vcc_lo, v3, s34
	v_subrev_co_ci_u32_e32 v4, vcc_lo, 0, v4, vcc_lo
	s_waitcnt vmcnt(5)
	v_sub_co_u32 v13, vcc_lo, v13, s34
	v_lshlrev_b64 v[9:10], 3, v[9:10]
	v_subrev_co_ci_u32_e32 v14, vcc_lo, 0, v14, vcc_lo
	s_waitcnt vmcnt(4)
	v_sub_co_u32 v11, vcc_lo, v11, s34
	v_lshlrev_b64 v[3:4], 3, v[3:4]
	v_subrev_co_ci_u32_e32 v12, vcc_lo, 0, v12, vcc_lo
	v_lshlrev_b64 v[13:14], 3, v[13:14]
	v_add_co_u32 v9, vcc_lo, s18, v9
	v_add_co_ci_u32_e32 v10, vcc_lo, s19, v10, vcc_lo
	s_delay_alu instid0(VALU_DEP_4)
	v_lshlrev_b64 v[11:12], 3, v[11:12]
	v_add_co_u32 v3, vcc_lo, s18, v3
	v_add_co_ci_u32_e32 v4, vcc_lo, s19, v4, vcc_lo
	v_add_co_u32 v13, vcc_lo, s18, v13
	v_add_co_ci_u32_e32 v14, vcc_lo, s19, v14, vcc_lo
	;; [unrolled: 2-line block ×3, first 2 shown]
	s_clause 0x3
	global_load_b64 v[9:10], v[9:10], off
	global_load_b64 v[3:4], v[3:4], off
	;; [unrolled: 1-line block ×4, first 2 shown]
	s_waitcnt vmcnt(7)
	v_mul_f64 v[18:19], v[7:8], v[18:19]
	s_waitcnt vmcnt(6)
	v_mul_f64 v[1:2], v[7:8], v[1:2]
	;; [unrolled: 2-line block ×4, first 2 shown]
	s_waitcnt vmcnt(3)
	s_delay_alu instid0(VALU_DEP_4) | instskip(SKIP_1) | instid1(VALU_DEP_4)
	v_mul_f64 v[9:10], v[18:19], v[9:10]
	s_waitcnt vmcnt(2)
	v_mul_f64 v[1:2], v[1:2], v[3:4]
	s_waitcnt vmcnt(1)
	s_delay_alu instid0(VALU_DEP_4) | instskip(SKIP_1) | instid1(VALU_DEP_4)
	v_mul_f64 v[3:4], v[20:21], v[13:14]
	s_waitcnt vmcnt(0)
	v_mul_f64 v[7:8], v[7:8], v[11:12]
	ds_store_2addr_stride64_b64 v15, v[9:10], v[1:2] offset1:4
	ds_store_2addr_stride64_b64 v15, v[3:4], v[7:8] offset0:8 offset1:12
.LBB18_80:
	s_or_b32 exec_lo, exec_lo, s0
	v_cmp_lt_i64_e64 s0, s[26:27], 2
	s_waitcnt lgkmcnt(0)
	s_waitcnt_vscnt null, 0x0
	s_barrier
	buffer_gl0_inv
	s_and_b32 vcc_lo, exec_lo, s0
	s_mov_b32 s0, -1
	s_cbranch_vccz .LBB18_91
; %bb.81:
	v_add_co_u32 v7, s0, s20, v0
	s_delay_alu instid0(VALU_DEP_1) | instskip(SKIP_1) | instid1(VALU_DEP_1)
	v_add_co_ci_u32_e64 v8, null, s21, 0, s0
	s_mov_b32 s2, exec_lo
	v_cmpx_gt_i64_e64 s[22:23], v[7:8]
	s_cbranch_execz .LBB18_90
; %bb.82:
	v_cmp_neq_f64_e32 vcc_lo, 0, v[5:6]
	s_lshl_b32 s0, s28, 3
	s_mov_b32 s3, 0
	s_sub_i32 s4, 0, s0
	s_branch .LBB18_84
.LBB18_83:                              ;   in Loop: Header=BB18_84 Depth=1
	s_or_b32 exec_lo, exec_lo, s1
	v_add_co_u32 v7, s0, 0x100, v7
	s_delay_alu instid0(VALU_DEP_1) | instskip(SKIP_1) | instid1(VALU_DEP_1)
	v_add_co_ci_u32_e64 v8, s0, 0, v8, s0
	v_add_co_u32 v1, s1, s24, v9
	v_add_co_ci_u32_e64 v2, s1, s25, v10, s1
	s_delay_alu instid0(VALU_DEP_3) | instskip(SKIP_2) | instid1(SALU_CYCLE_1)
	v_cmp_le_i64_e64 s0, s[22:23], v[7:8]
	global_store_b64 v[1:2], v[11:12], off
	s_or_b32 s3, s0, s3
	s_and_not1_b32 exec_lo, exec_lo, s3
	s_cbranch_execz .LBB18_90
.LBB18_84:                              ; =>This Loop Header: Depth=1
                                        ;     Child Loop BB18_86 Depth 2
	v_lshlrev_b64 v[9:10], 3, v[7:8]
	v_mov_b32_e32 v11, 0
	v_mov_b32_e32 v12, 0
	s_mov_b32 s1, exec_lo
	s_delay_alu instid0(VALU_DEP_3) | instskip(NEXT) | instid1(VALU_DEP_1)
	v_add_co_u32 v1, s0, s12, v9
	v_add_co_ci_u32_e64 v2, s0, s13, v10, s0
	global_load_b128 v[1:4], v[1:2], off
	s_waitcnt vmcnt(0)
	v_cmpx_lt_i64_e64 v[1:2], v[3:4]
	s_cbranch_execz .LBB18_88
; %bb.85:                               ;   in Loop: Header=BB18_84 Depth=1
	v_sub_co_u32 v3, s0, v3, s28
	s_delay_alu instid0(VALU_DEP_1)
	v_subrev_co_ci_u32_e64 v4, s0, s29, v4, s0
	v_sub_co_u32 v13, s0, v1, s28
	v_mov_b32_e32 v11, 0
	v_subrev_co_ci_u32_e64 v14, s0, s29, v2, s0
	v_mov_b32_e32 v12, 0
	v_lshl_add_u32 v1, v1, 3, s4
	s_mov_b32 s5, 0
.LBB18_86:                              ;   Parent Loop BB18_84 Depth=1
                                        ; =>  This Inner Loop Header: Depth=2
	ds_load_b64 v[16:17], v1
	v_add_co_u32 v13, s0, v13, 1
	s_delay_alu instid0(VALU_DEP_1) | instskip(SKIP_1) | instid1(VALU_DEP_2)
	v_add_co_ci_u32_e64 v14, s0, 0, v14, s0
	v_add_nc_u32_e32 v1, 8, v1
	v_cmp_ge_i64_e64 s0, v[13:14], v[3:4]
	s_delay_alu instid0(VALU_DEP_1)
	s_or_b32 s5, s0, s5
	s_waitcnt lgkmcnt(0)
	v_add_f64 v[11:12], v[11:12], v[16:17]
	s_and_not1_b32 exec_lo, exec_lo, s5
	s_cbranch_execnz .LBB18_86
; %bb.87:                               ;   in Loop: Header=BB18_84 Depth=1
	s_or_b32 exec_lo, exec_lo, s5
.LBB18_88:                              ;   in Loop: Header=BB18_84 Depth=1
	s_delay_alu instid0(SALU_CYCLE_1)
	s_or_b32 exec_lo, exec_lo, s1
	s_and_saveexec_b32 s1, vcc_lo
	s_cbranch_execz .LBB18_83
; %bb.89:                               ;   in Loop: Header=BB18_84 Depth=1
	v_add_co_u32 v1, s0, s24, v9
	s_delay_alu instid0(VALU_DEP_1)
	v_add_co_ci_u32_e64 v2, s0, s25, v10, s0
	global_load_b64 v[1:2], v[1:2], off
	s_waitcnt vmcnt(0)
	v_fma_f64 v[11:12], v[5:6], v[1:2], v[11:12]
	s_branch .LBB18_83
.LBB18_90:
	s_or_b32 exec_lo, exec_lo, s2
	s_mov_b32 s0, 0
.LBB18_91:
	s_delay_alu instid0(SALU_CYCLE_1)
	s_and_not1_b32 vcc_lo, exec_lo, s0
	s_cbranch_vccnz .LBB18_116
; %bb.92:
	s_clz_i32_u32 s0, s26
	s_add_i32 s1, s26, -1
	s_min_u32 s0, s0, 32
	v_mov_b32_e32 v7, 0
	s_sub_i32 s0, 31, s0
	v_dual_mov_b32 v8, 0 :: v_dual_and_b32 v3, s1, v0
	v_lshrrev_b32_e32 v9, s0, v0
	s_mov_b32 s1, exec_lo
	s_delay_alu instid0(VALU_DEP_1) | instskip(NEXT) | instid1(VALU_DEP_1)
	v_add_co_u32 v1, s0, s20, v9
	v_add_co_ci_u32_e64 v2, null, s21, 0, s0
	v_and_b32_e64 v4, s0, 0
	s_delay_alu instid0(VALU_DEP_2)
	v_cmp_le_i64_e64 s0, s[22:23], v[1:2]
	v_cmpx_gt_i64_e64 s[22:23], v[1:2]
	s_cbranch_execz .LBB18_98
; %bb.93:
	v_lshlrev_b32_e32 v0, 3, v9
	s_mov_b32 s2, exec_lo
	global_load_b128 v[7:10], v0, s[30:31]
	v_sub_co_u32 v0, vcc_lo, v3, s28
	v_subrev_co_ci_u32_e32 v12, vcc_lo, s29, v4, vcc_lo
	s_waitcnt vmcnt(0)
	v_sub_co_u32 v9, vcc_lo, v9, s28
	v_subrev_co_ci_u32_e32 v10, vcc_lo, s29, v10, vcc_lo
	v_add_co_u32 v11, vcc_lo, v7, v0
	v_add_co_ci_u32_e32 v12, vcc_lo, v8, v12, vcc_lo
	v_mov_b32_e32 v7, 0
	v_mov_b32_e32 v8, 0
	s_delay_alu instid0(VALU_DEP_3)
	v_cmpx_lt_i64_e64 v[11:12], v[9:10]
	s_cbranch_execz .LBB18_97
; %bb.94:
	v_dual_mov_b32 v7, 0 :: v_dual_lshlrev_b32 v0, 3, v11
	v_mov_b32_e32 v8, 0
	s_lshl_b32 s4, s26, 3
	s_mov_b32 s3, 0
.LBB18_95:                              ; =>This Inner Loop Header: Depth=1
	ds_load_b64 v[13:14], v0
	v_add_co_u32 v11, vcc_lo, v11, s26
	v_add_co_ci_u32_e32 v12, vcc_lo, s27, v12, vcc_lo
	v_add_nc_u32_e32 v0, s4, v0
	s_delay_alu instid0(VALU_DEP_2)
	v_cmp_ge_i64_e32 vcc_lo, v[11:12], v[9:10]
	s_or_b32 s3, vcc_lo, s3
	s_waitcnt lgkmcnt(0)
	v_add_f64 v[7:8], v[7:8], v[13:14]
	s_and_not1_b32 exec_lo, exec_lo, s3
	s_cbranch_execnz .LBB18_95
; %bb.96:
	s_or_b32 exec_lo, exec_lo, s3
.LBB18_97:
	s_delay_alu instid0(SALU_CYCLE_1)
	s_or_b32 exec_lo, exec_lo, s2
.LBB18_98:
	s_delay_alu instid0(SALU_CYCLE_1)
	s_or_b32 exec_lo, exec_lo, s1
	v_cmp_gt_i64_e64 s1, 0x81, s[26:27]
	s_waitcnt_vscnt null, 0x0
	s_barrier
	buffer_gl0_inv
	ds_store_b64 v15, v[7:8]
	s_waitcnt lgkmcnt(0)
	s_and_b32 vcc_lo, exec_lo, s1
	s_barrier
	buffer_gl0_inv
	s_cbranch_vccnz .LBB18_100
; %bb.99:
	ds_load_b64 v[9:10], v15 offset:1024
	s_waitcnt lgkmcnt(0)
	s_barrier
	buffer_gl0_inv
	v_add_f64 v[7:8], v[7:8], v[9:10]
	ds_store_b64 v15, v[7:8]
.LBB18_100:
	v_cmp_gt_i64_e64 s1, 0x41, s[26:27]
	s_waitcnt lgkmcnt(0)
	s_barrier
	buffer_gl0_inv
	s_and_b32 vcc_lo, exec_lo, s1
	s_cbranch_vccnz .LBB18_102
; %bb.101:
	ds_load_b64 v[9:10], v15 offset:512
	s_waitcnt lgkmcnt(0)
	s_barrier
	buffer_gl0_inv
	v_add_f64 v[7:8], v[7:8], v[9:10]
	ds_store_b64 v15, v[7:8]
.LBB18_102:
	v_cmp_lt_i64_e64 s1, s[26:27], 33
	s_waitcnt lgkmcnt(0)
	s_barrier
	buffer_gl0_inv
	s_and_b32 vcc_lo, exec_lo, s1
	s_cbranch_vccnz .LBB18_104
; %bb.103:
	ds_load_b64 v[9:10], v15 offset:256
	s_waitcnt lgkmcnt(0)
	s_barrier
	buffer_gl0_inv
	v_add_f64 v[7:8], v[7:8], v[9:10]
	ds_store_b64 v15, v[7:8]
.LBB18_104:
	v_cmp_lt_i64_e64 s1, s[26:27], 17
	;; [unrolled: 14-line block ×4, first 2 shown]
	s_waitcnt lgkmcnt(0)
	s_barrier
	buffer_gl0_inv
	s_and_b32 vcc_lo, exec_lo, s1
	s_cbranch_vccnz .LBB18_110
; %bb.109:
	ds_load_b64 v[9:10], v15 offset:32
	s_waitcnt lgkmcnt(0)
	s_barrier
	buffer_gl0_inv
	v_add_f64 v[7:8], v[7:8], v[9:10]
	ds_store_b64 v15, v[7:8]
.LBB18_110:
	s_cmp_eq_u64 s[26:27], 2
	s_waitcnt lgkmcnt(0)
	s_barrier
	buffer_gl0_inv
	s_cbranch_scc1 .LBB18_112
; %bb.111:
	ds_load_b64 v[9:10], v15 offset:16
	s_waitcnt lgkmcnt(0)
	s_barrier
	buffer_gl0_inv
	v_add_f64 v[7:8], v[7:8], v[9:10]
	ds_store_b64 v15, v[7:8]
.LBB18_112:
	s_waitcnt lgkmcnt(0)
	s_barrier
	buffer_gl0_inv
	ds_load_b64 v[9:10], v15 offset:8
	v_cmp_eq_u64_e32 vcc_lo, 0, v[3:4]
	s_xor_b32 s0, s0, -1
	s_waitcnt lgkmcnt(0)
	s_barrier
	buffer_gl0_inv
	s_and_b32 s0, vcc_lo, s0
	v_add_f64 v[7:8], v[7:8], v[9:10]
	ds_store_b64 v15, v[7:8]
	s_and_b32 exec_lo, exec_lo, s0
	s_cbranch_execz .LBB18_116
; %bb.113:
	v_lshlrev_b64 v[0:1], 3, v[1:2]
	s_mov_b32 s0, exec_lo
	v_cmpx_neq_f64_e32 0, v[5:6]
	s_cbranch_execz .LBB18_115
; %bb.114:
	s_delay_alu instid0(VALU_DEP_2) | instskip(NEXT) | instid1(VALU_DEP_3)
	v_add_co_u32 v2, vcc_lo, s24, v0
	v_add_co_ci_u32_e32 v3, vcc_lo, s25, v1, vcc_lo
	global_load_b64 v[2:3], v[2:3], off
	s_waitcnt vmcnt(0)
	v_fma_f64 v[7:8], v[5:6], v[2:3], v[7:8]
.LBB18_115:
	s_or_b32 exec_lo, exec_lo, s0
	s_delay_alu instid0(VALU_DEP_2)
	v_add_co_u32 v0, vcc_lo, s24, v0
	v_add_co_ci_u32_e32 v1, vcc_lo, s25, v1, vcc_lo
	global_store_b64 v[0:1], v[7:8], off
.LBB18_116:
	s_nop 0
	s_sendmsg sendmsg(MSG_DEALLOC_VGPRS)
	s_endpgm
	.section	.rodata,"a",@progbits
	.p2align	6, 0x0
	.amdhsa_kernel _ZN9rocsparseL22csrmvn_adaptive_kernelIllddddEEvbT_PKS1_PjPKT0_NS_24const_host_device_scalarIT4_EES3_S7_PKT1_PKT2_SA_PT3_21rocsparse_index_base_b
		.amdhsa_group_segment_fixed_size 8192
		.amdhsa_private_segment_fixed_size 0
		.amdhsa_kernarg_size 104
		.amdhsa_user_sgpr_count 15
		.amdhsa_user_sgpr_dispatch_ptr 0
		.amdhsa_user_sgpr_queue_ptr 0
		.amdhsa_user_sgpr_kernarg_segment_ptr 1
		.amdhsa_user_sgpr_dispatch_id 0
		.amdhsa_user_sgpr_private_segment_size 0
		.amdhsa_wavefront_size32 1
		.amdhsa_uses_dynamic_stack 0
		.amdhsa_enable_private_segment 0
		.amdhsa_system_sgpr_workgroup_id_x 1
		.amdhsa_system_sgpr_workgroup_id_y 0
		.amdhsa_system_sgpr_workgroup_id_z 0
		.amdhsa_system_sgpr_workgroup_info 0
		.amdhsa_system_vgpr_workitem_id 0
		.amdhsa_next_free_vgpr 22
		.amdhsa_next_free_sgpr 50
		.amdhsa_reserve_vcc 1
		.amdhsa_float_round_mode_32 0
		.amdhsa_float_round_mode_16_64 0
		.amdhsa_float_denorm_mode_32 3
		.amdhsa_float_denorm_mode_16_64 3
		.amdhsa_dx10_clamp 1
		.amdhsa_ieee_mode 1
		.amdhsa_fp16_overflow 0
		.amdhsa_workgroup_processor_mode 1
		.amdhsa_memory_ordered 1
		.amdhsa_forward_progress 0
		.amdhsa_shared_vgpr_count 0
		.amdhsa_exception_fp_ieee_invalid_op 0
		.amdhsa_exception_fp_denorm_src 0
		.amdhsa_exception_fp_ieee_div_zero 0
		.amdhsa_exception_fp_ieee_overflow 0
		.amdhsa_exception_fp_ieee_underflow 0
		.amdhsa_exception_fp_ieee_inexact 0
		.amdhsa_exception_int_div_zero 0
	.end_amdhsa_kernel
	.section	.text._ZN9rocsparseL22csrmvn_adaptive_kernelIllddddEEvbT_PKS1_PjPKT0_NS_24const_host_device_scalarIT4_EES3_S7_PKT1_PKT2_SA_PT3_21rocsparse_index_base_b,"axG",@progbits,_ZN9rocsparseL22csrmvn_adaptive_kernelIllddddEEvbT_PKS1_PjPKT0_NS_24const_host_device_scalarIT4_EES3_S7_PKT1_PKT2_SA_PT3_21rocsparse_index_base_b,comdat
.Lfunc_end18:
	.size	_ZN9rocsparseL22csrmvn_adaptive_kernelIllddddEEvbT_PKS1_PjPKT0_NS_24const_host_device_scalarIT4_EES3_S7_PKT1_PKT2_SA_PT3_21rocsparse_index_base_b, .Lfunc_end18-_ZN9rocsparseL22csrmvn_adaptive_kernelIllddddEEvbT_PKS1_PjPKT0_NS_24const_host_device_scalarIT4_EES3_S7_PKT1_PKT2_SA_PT3_21rocsparse_index_base_b
                                        ; -- End function
	.section	.AMDGPU.csdata,"",@progbits
; Kernel info:
; codeLenInByte = 5072
; NumSgprs: 52
; NumVgprs: 22
; ScratchSize: 0
; MemoryBound: 1
; FloatMode: 240
; IeeeMode: 1
; LDSByteSize: 8192 bytes/workgroup (compile time only)
; SGPRBlocks: 6
; VGPRBlocks: 2
; NumSGPRsForWavesPerEU: 52
; NumVGPRsForWavesPerEU: 22
; Occupancy: 16
; WaveLimiterHint : 1
; COMPUTE_PGM_RSRC2:SCRATCH_EN: 0
; COMPUTE_PGM_RSRC2:USER_SGPR: 15
; COMPUTE_PGM_RSRC2:TRAP_HANDLER: 0
; COMPUTE_PGM_RSRC2:TGID_X_EN: 1
; COMPUTE_PGM_RSRC2:TGID_Y_EN: 0
; COMPUTE_PGM_RSRC2:TGID_Z_EN: 0
; COMPUTE_PGM_RSRC2:TIDIG_COMP_CNT: 0
	.section	.text._ZN9rocsparseL22partial_scale_y_kernelIlddEEvT_S1_S1_NS_24const_host_device_scalarIT1_EEPT0_b,"axG",@progbits,_ZN9rocsparseL22partial_scale_y_kernelIlddEEvT_S1_S1_NS_24const_host_device_scalarIT1_EEPT0_b,comdat
	.globl	_ZN9rocsparseL22partial_scale_y_kernelIlddEEvT_S1_S1_NS_24const_host_device_scalarIT1_EEPT0_b ; -- Begin function _ZN9rocsparseL22partial_scale_y_kernelIlddEEvT_S1_S1_NS_24const_host_device_scalarIT1_EEPT0_b
	.p2align	8
	.type	_ZN9rocsparseL22partial_scale_y_kernelIlddEEvT_S1_S1_NS_24const_host_device_scalarIT1_EEPT0_b,@function
_ZN9rocsparseL22partial_scale_y_kernelIlddEEvT_S1_S1_NS_24const_host_device_scalarIT1_EEPT0_b: ; @_ZN9rocsparseL22partial_scale_y_kernelIlddEEvT_S1_S1_NS_24const_host_device_scalarIT1_EEPT0_b
; %bb.0:
	s_clause 0x1
	s_load_b32 s2, s[0:1], 0x28
	s_load_b256 s[4:11], s[0:1], 0x0
	s_waitcnt lgkmcnt(0)
	s_bitcmp1_b32 s2, 0
	v_dual_mov_b32 v1, s10 :: v_dual_mov_b32 v2, s11
	s_cselect_b32 s2, -1, 0
	s_delay_alu instid0(SALU_CYCLE_1)
	s_and_b32 vcc_lo, exec_lo, s2
	s_cbranch_vccnz .LBB19_2
; %bb.1:
	v_dual_mov_b32 v1, s10 :: v_dual_mov_b32 v2, s11
	flat_load_b64 v[1:2], v[1:2]
.LBB19_2:
	s_mov_b32 s2, exec_lo
	s_waitcnt vmcnt(0) lgkmcnt(0)
	v_cmpx_neq_f64_e32 1.0, v[1:2]
	s_cbranch_execz .LBB19_15
; %bb.3:
	v_lshl_or_b32 v3, s15, 8, v0
	v_mov_b32_e32 v4, 0
	s_add_u32 s2, s6, s4
	s_addc_u32 s3, s7, s5
	s_sub_u32 s2, s2, s8
	s_subb_u32 s3, s3, s9
	s_delay_alu instid0(SALU_CYCLE_1)
	v_cmp_gt_i64_e32 vcc_lo, s[2:3], v[3:4]
	s_and_b32 exec_lo, exec_lo, vcc_lo
	s_cbranch_execz .LBB19_15
; %bb.4:
	v_cmp_neq_f64_e32 vcc_lo, 0, v[1:2]
	s_load_b64 s[2:3], s[0:1], 0x20
	s_mov_b32 s1, exec_lo
	v_cmpx_le_i64_e64 s[6:7], v[3:4]
	s_xor_b32 s1, exec_lo, s1
	s_cbranch_execz .LBB19_10
; %bb.5:
	v_sub_co_u32 v3, s0, v3, s6
	s_delay_alu instid0(VALU_DEP_1) | instskip(SKIP_3) | instid1(VALU_DEP_1)
	v_sub_co_ci_u32_e64 v4, null, 0, s7, s0
	s_lshl_b64 s[4:5], s[8:9], 3
	s_waitcnt lgkmcnt(0)
	s_add_u32 s0, s4, s2
	v_lshlrev_b64 v[3:4], 3, v[3:4]
	s_addc_u32 s4, s5, s3
	s_delay_alu instid0(VALU_DEP_1) | instskip(NEXT) | instid1(VALU_DEP_1)
	v_add_co_u32 v3, s0, s0, v3
	v_add_co_ci_u32_e64 v4, s0, s4, v4, s0
	s_and_saveexec_b32 s0, vcc_lo
	s_delay_alu instid0(SALU_CYCLE_1)
	s_xor_b32 s0, exec_lo, s0
	s_cbranch_execz .LBB19_7
; %bb.6:
	global_load_b64 v[5:6], v[3:4], off
	s_waitcnt vmcnt(0)
	v_mul_f64 v[0:1], v[1:2], v[5:6]
	global_store_b64 v[3:4], v[0:1], off
                                        ; implicit-def: $vgpr3_vgpr4
.LBB19_7:
	s_and_not1_saveexec_b32 s0, s0
	s_cbranch_execz .LBB19_9
; %bb.8:
	v_mov_b32_e32 v0, 0
	s_delay_alu instid0(VALU_DEP_1)
	v_mov_b32_e32 v1, v0
	global_store_b64 v[3:4], v[0:1], off
.LBB19_9:
	s_or_b32 exec_lo, exec_lo, s0
                                        ; implicit-def: $vgpr3_vgpr4
                                        ; implicit-def: $vgpr1_vgpr2
.LBB19_10:
	s_and_not1_saveexec_b32 s0, s1
	s_cbranch_execz .LBB19_15
; %bb.11:
	v_lshlrev_b64 v[3:4], 3, v[3:4]
	s_waitcnt lgkmcnt(0)
	s_delay_alu instid0(VALU_DEP_1) | instskip(NEXT) | instid1(VALU_DEP_1)
	v_add_co_u32 v3, s0, s2, v3
	v_add_co_ci_u32_e64 v4, s0, s3, v4, s0
	s_and_saveexec_b32 s0, vcc_lo
	s_delay_alu instid0(SALU_CYCLE_1)
	s_xor_b32 s0, exec_lo, s0
	s_cbranch_execz .LBB19_13
; %bb.12:
	global_load_b64 v[5:6], v[3:4], off
	s_waitcnt vmcnt(0)
	v_mul_f64 v[0:1], v[1:2], v[5:6]
	global_store_b64 v[3:4], v[0:1], off
                                        ; implicit-def: $vgpr3_vgpr4
.LBB19_13:
	s_and_not1_saveexec_b32 s0, s0
	s_cbranch_execz .LBB19_15
; %bb.14:
	v_mov_b32_e32 v0, 0
	s_delay_alu instid0(VALU_DEP_1)
	v_mov_b32_e32 v1, v0
	global_store_b64 v[3:4], v[0:1], off
.LBB19_15:
	s_nop 0
	s_sendmsg sendmsg(MSG_DEALLOC_VGPRS)
	s_endpgm
	.section	.rodata,"a",@progbits
	.p2align	6, 0x0
	.amdhsa_kernel _ZN9rocsparseL22partial_scale_y_kernelIlddEEvT_S1_S1_NS_24const_host_device_scalarIT1_EEPT0_b
		.amdhsa_group_segment_fixed_size 0
		.amdhsa_private_segment_fixed_size 0
		.amdhsa_kernarg_size 44
		.amdhsa_user_sgpr_count 15
		.amdhsa_user_sgpr_dispatch_ptr 0
		.amdhsa_user_sgpr_queue_ptr 0
		.amdhsa_user_sgpr_kernarg_segment_ptr 1
		.amdhsa_user_sgpr_dispatch_id 0
		.amdhsa_user_sgpr_private_segment_size 0
		.amdhsa_wavefront_size32 1
		.amdhsa_uses_dynamic_stack 0
		.amdhsa_enable_private_segment 0
		.amdhsa_system_sgpr_workgroup_id_x 1
		.amdhsa_system_sgpr_workgroup_id_y 0
		.amdhsa_system_sgpr_workgroup_id_z 0
		.amdhsa_system_sgpr_workgroup_info 0
		.amdhsa_system_vgpr_workitem_id 0
		.amdhsa_next_free_vgpr 7
		.amdhsa_next_free_sgpr 16
		.amdhsa_reserve_vcc 1
		.amdhsa_float_round_mode_32 0
		.amdhsa_float_round_mode_16_64 0
		.amdhsa_float_denorm_mode_32 3
		.amdhsa_float_denorm_mode_16_64 3
		.amdhsa_dx10_clamp 1
		.amdhsa_ieee_mode 1
		.amdhsa_fp16_overflow 0
		.amdhsa_workgroup_processor_mode 1
		.amdhsa_memory_ordered 1
		.amdhsa_forward_progress 0
		.amdhsa_shared_vgpr_count 0
		.amdhsa_exception_fp_ieee_invalid_op 0
		.amdhsa_exception_fp_denorm_src 0
		.amdhsa_exception_fp_ieee_div_zero 0
		.amdhsa_exception_fp_ieee_overflow 0
		.amdhsa_exception_fp_ieee_underflow 0
		.amdhsa_exception_fp_ieee_inexact 0
		.amdhsa_exception_int_div_zero 0
	.end_amdhsa_kernel
	.section	.text._ZN9rocsparseL22partial_scale_y_kernelIlddEEvT_S1_S1_NS_24const_host_device_scalarIT1_EEPT0_b,"axG",@progbits,_ZN9rocsparseL22partial_scale_y_kernelIlddEEvT_S1_S1_NS_24const_host_device_scalarIT1_EEPT0_b,comdat
.Lfunc_end19:
	.size	_ZN9rocsparseL22partial_scale_y_kernelIlddEEvT_S1_S1_NS_24const_host_device_scalarIT1_EEPT0_b, .Lfunc_end19-_ZN9rocsparseL22partial_scale_y_kernelIlddEEvT_S1_S1_NS_24const_host_device_scalarIT1_EEPT0_b
                                        ; -- End function
	.section	.AMDGPU.csdata,"",@progbits
; Kernel info:
; codeLenInByte = 424
; NumSgprs: 18
; NumVgprs: 7
; ScratchSize: 0
; MemoryBound: 0
; FloatMode: 240
; IeeeMode: 1
; LDSByteSize: 0 bytes/workgroup (compile time only)
; SGPRBlocks: 2
; VGPRBlocks: 0
; NumSGPRsForWavesPerEU: 18
; NumVGPRsForWavesPerEU: 7
; Occupancy: 16
; WaveLimiterHint : 0
; COMPUTE_PGM_RSRC2:SCRATCH_EN: 0
; COMPUTE_PGM_RSRC2:USER_SGPR: 15
; COMPUTE_PGM_RSRC2:TRAP_HANDLER: 0
; COMPUTE_PGM_RSRC2:TGID_X_EN: 1
; COMPUTE_PGM_RSRC2:TGID_Y_EN: 0
; COMPUTE_PGM_RSRC2:TGID_Z_EN: 0
; COMPUTE_PGM_RSRC2:TIDIG_COMP_CNT: 0
	.section	.text._ZN9rocsparseL27csrmvn_symm_adaptive_kernelIllddddEEvbT_S1_PKS1_NS_24const_host_device_scalarIT4_EES3_PKT0_PKT1_PKT2_S6_PT3_21rocsparse_index_base_b,"axG",@progbits,_ZN9rocsparseL27csrmvn_symm_adaptive_kernelIllddddEEvbT_S1_PKS1_NS_24const_host_device_scalarIT4_EES3_PKT0_PKT1_PKT2_S6_PT3_21rocsparse_index_base_b,comdat
	.globl	_ZN9rocsparseL27csrmvn_symm_adaptive_kernelIllddddEEvbT_S1_PKS1_NS_24const_host_device_scalarIT4_EES3_PKT0_PKT1_PKT2_S6_PT3_21rocsparse_index_base_b ; -- Begin function _ZN9rocsparseL27csrmvn_symm_adaptive_kernelIllddddEEvbT_S1_PKS1_NS_24const_host_device_scalarIT4_EES3_PKT0_PKT1_PKT2_S6_PT3_21rocsparse_index_base_b
	.p2align	8
	.type	_ZN9rocsparseL27csrmvn_symm_adaptive_kernelIllddddEEvbT_S1_PKS1_NS_24const_host_device_scalarIT4_EES3_PKT0_PKT1_PKT2_S6_PT3_21rocsparse_index_base_b,@function
_ZN9rocsparseL27csrmvn_symm_adaptive_kernelIllddddEEvbT_S1_PKS1_NS_24const_host_device_scalarIT4_EES3_PKT0_PKT1_PKT2_S6_PT3_21rocsparse_index_base_b: ; @_ZN9rocsparseL27csrmvn_symm_adaptive_kernelIllddddEEvbT_S1_PKS1_NS_24const_host_device_scalarIT4_EES3_PKT0_PKT1_PKT2_S6_PT3_21rocsparse_index_base_b
; %bb.0:
	s_clause 0x2
	s_load_b64 s[24:25], s[0:1], 0x58
	s_load_b64 s[6:7], s[0:1], 0x20
	;; [unrolled: 1-line block ×3, first 2 shown]
	s_mov_b32 s4, s15
	s_waitcnt lgkmcnt(0)
	s_bitcmp1_b32 s25, 0
	v_dual_mov_b32 v11, s7 :: v_dual_mov_b32 v10, s6
	s_cselect_b32 s5, -1, 0
	s_delay_alu instid0(SALU_CYCLE_1)
	s_and_b32 vcc_lo, exec_lo, s5
	s_xor_b32 s5, s5, -1
	s_cbranch_vccnz .LBB20_2
; %bb.1:
	v_dual_mov_b32 v1, s6 :: v_dual_mov_b32 v2, s7
	flat_load_b64 v[10:11], v[1:2]
.LBB20_2:
	v_dual_mov_b32 v1, s2 :: v_dual_mov_b32 v2, s3
	s_and_not1_b32 vcc_lo, exec_lo, s5
	s_cbranch_vccnz .LBB20_4
; %bb.3:
	v_dual_mov_b32 v1, s2 :: v_dual_mov_b32 v2, s3
	flat_load_b64 v[1:2], v[1:2]
.LBB20_4:
	s_waitcnt vmcnt(0) lgkmcnt(0)
	v_cmp_neq_f64_e32 vcc_lo, 0, v[10:11]
	v_cmp_neq_f64_e64 s2, 1.0, v[1:2]
	s_delay_alu instid0(VALU_DEP_1) | instskip(NEXT) | instid1(SALU_CYCLE_1)
	s_or_b32 s2, vcc_lo, s2
	s_and_saveexec_b32 s3, s2
	s_cbranch_execz .LBB20_180
; %bb.5:
	s_load_b64 s[2:3], s[0:1], 0x18
	s_mov_b32 s6, 0
	s_ashr_i32 s5, s4, 31
	s_mov_b32 s7, s6
	v_dual_mov_b32 v1, s6 :: v_dual_lshlrev_b32 v18, 3, v0
	v_mov_b32_e32 v2, s7
	s_lshl_b64 s[4:5], s[4:5], 3
	ds_store_2addr_stride64_b64 v18, v[1:2], v[1:2] offset1:4
	ds_store_2addr_stride64_b64 v18, v[1:2], v[1:2] offset0:8 offset1:12
	s_waitcnt lgkmcnt(0)
	s_barrier
	buffer_gl0_inv
	s_add_u32 s2, s2, s4
	s_addc_u32 s3, s3, s5
	s_load_b128 s[16:19], s[2:3], 0x0
	s_clause 0x1
	s_load_b256 s[8:15], s[0:1], 0x28
	s_load_b64 s[20:21], s[0:1], 0x50
	s_waitcnt lgkmcnt(0)
	s_sub_u32 s22, s18, s16
	s_subb_u32 s23, s19, s17
	s_delay_alu instid0(SALU_CYCLE_1) | instskip(NEXT) | instid1(VALU_DEP_1)
	v_cmp_gt_i64_e64 s2, s[22:23], 2
	s_and_b32 vcc_lo, exec_lo, s2
	s_mov_b32 s2, -1
	s_cbranch_vccnz .LBB20_43
; %bb.6:
	v_cmp_gt_i64_e64 s2, s[18:19], s[16:17]
	v_sub_co_u32 v9, s3, v0, s24
	s_delay_alu instid0(VALU_DEP_1) | instskip(NEXT) | instid1(VALU_DEP_3)
	v_sub_co_ci_u32_e64 v12, null, 0, 0, s3
	s_and_b32 vcc_lo, exec_lo, s2
	s_cbranch_vccnz .LBB20_8
; %bb.7:
	s_lshl_b64 s[2:3], s[16:17], 3
	s_delay_alu instid0(SALU_CYCLE_1)
	s_add_u32 s2, s8, s2
	s_addc_u32 s3, s9, s3
	s_load_b64 s[26:27], s[2:3], 0x0
	s_cbranch_execz .LBB20_9
	s_branch .LBB20_32
.LBB20_8:
                                        ; implicit-def: $sgpr26_sgpr27
.LBB20_9:
	s_lshl_b64 s[2:3], s[16:17], 3
	v_cmp_gt_u32_e64 s4, 16, v0
	s_add_u32 s2, s8, s2
	s_addc_u32 s3, s9, s3
	v_cmp_gt_u32_e64 s5, 4, v0
	s_waitcnt lgkmcnt(0)
	s_load_b64 s[26:27], s[2:3], 0x0
	v_cmp_gt_u32_e64 s2, 0x100, v0
	v_cmp_gt_u32_e64 s3, 64, v0
	v_cmp_eq_u32_e64 s6, 0, v0
	v_mov_b32_e32 v13, 0
	s_add_u32 s25, s8, 8
	s_addc_u32 s33, s9, 0
	s_mov_b64 s[28:29], s[16:17]
	s_waitcnt lgkmcnt(0)
	s_mov_b64 s[30:31], s[26:27]
	s_branch .LBB20_11
.LBB20_10:                              ;   in Loop: Header=BB20_11 Depth=1
	s_or_b32 exec_lo, exec_lo, s7
	s_add_u32 s28, s28, 1
	s_addc_u32 s29, s29, 0
	s_delay_alu instid0(SALU_CYCLE_1) | instskip(NEXT) | instid1(VALU_DEP_1)
	v_cmp_ge_i64_e64 s7, s[28:29], s[18:19]
	s_and_b32 vcc_lo, exec_lo, s7
	s_cbranch_vccnz .LBB20_32
.LBB20_11:                              ; =>This Loop Header: Depth=1
                                        ;     Child Loop BB20_13 Depth 2
                                        ;     Child Loop BB20_27 Depth 2
	;; [unrolled: 1-line block ×3, first 2 shown]
	s_lshl_b64 s[34:35], s[28:29], 3
	s_mov_b64 s[38:39], s[30:31]
	s_add_u32 s36, s25, s34
	s_addc_u32 s37, s33, s35
	v_add_co_u32 v1, vcc_lo, s38, v9
	s_load_b64 s[30:31], s[36:37], 0x0
	v_mov_b32_e32 v3, 0
	v_add_co_ci_u32_e32 v2, vcc_lo, s39, v12, vcc_lo
	v_mov_b32_e32 v4, 0
	s_mov_b32 s38, exec_lo
	s_waitcnt lgkmcnt(0)
	s_sub_u32 s36, s30, s24
	s_subb_u32 s37, s31, 0
	s_delay_alu instid0(SALU_CYCLE_1)
	v_cmpx_gt_i64_e64 s[36:37], v[1:2]
	s_cbranch_execz .LBB20_15
; %bb.12:                               ;   in Loop: Header=BB20_11 Depth=1
	v_lshlrev_b64 v[7:8], 3, v[1:2]
	v_mov_b32_e32 v3, 0
	v_mov_b32_e32 v4, 0
	s_mov_b32 s39, 0
	s_delay_alu instid0(VALU_DEP_3) | instskip(NEXT) | instid1(VALU_DEP_4)
	v_add_co_u32 v5, vcc_lo, s10, v7
	v_add_co_ci_u32_e32 v6, vcc_lo, s11, v8, vcc_lo
	v_add_co_u32 v7, vcc_lo, s12, v7
	v_add_co_ci_u32_e32 v8, vcc_lo, s13, v8, vcc_lo
	s_set_inst_prefetch_distance 0x1
	.p2align	6
.LBB20_13:                              ;   Parent Loop BB20_11 Depth=1
                                        ; =>  This Inner Loop Header: Depth=2
	global_load_b64 v[14:15], v[5:6], off
	s_waitcnt vmcnt(0)
	v_sub_co_u32 v14, vcc_lo, v14, s24
	v_subrev_co_ci_u32_e32 v15, vcc_lo, 0, v15, vcc_lo
	s_delay_alu instid0(VALU_DEP_1) | instskip(NEXT) | instid1(VALU_DEP_1)
	v_lshlrev_b64 v[14:15], 3, v[14:15]
	v_add_co_u32 v14, vcc_lo, s14, v14
	s_delay_alu instid0(VALU_DEP_2)
	v_add_co_ci_u32_e32 v15, vcc_lo, s15, v15, vcc_lo
	v_add_co_u32 v1, vcc_lo, 0x100, v1
	global_load_b64 v[16:17], v[7:8], off
	global_load_b64 v[14:15], v[14:15], off
	v_add_co_ci_u32_e32 v2, vcc_lo, 0, v2, vcc_lo
	v_add_co_u32 v5, vcc_lo, 0x800, v5
	v_add_co_ci_u32_e32 v6, vcc_lo, 0, v6, vcc_lo
	s_delay_alu instid0(VALU_DEP_3) | instskip(SKIP_1) | instid1(VALU_DEP_1)
	v_cmp_le_i64_e32 vcc_lo, s[36:37], v[1:2]
	v_add_co_u32 v7, s7, 0x800, v7
	v_add_co_ci_u32_e64 v8, s7, 0, v8, s7
	s_or_b32 s39, vcc_lo, s39
	s_waitcnt vmcnt(0)
	v_fma_f64 v[3:4], v[16:17], v[14:15], v[3:4]
	s_and_not1_b32 exec_lo, exec_lo, s39
	s_cbranch_execnz .LBB20_13
; %bb.14:                               ;   in Loop: Header=BB20_11 Depth=1
	s_set_inst_prefetch_distance 0x2
	s_or_b32 exec_lo, exec_lo, s39
.LBB20_15:                              ;   in Loop: Header=BB20_11 Depth=1
	s_delay_alu instid0(SALU_CYCLE_1)
	s_or_b32 exec_lo, exec_lo, s38
	ds_store_b64 v18, v[3:4]
	s_waitcnt lgkmcnt(0)
	s_barrier
	buffer_gl0_inv
	s_and_saveexec_b32 s7, s2
	s_cbranch_execz .LBB20_17
; %bb.16:                               ;   in Loop: Header=BB20_11 Depth=1
	ds_load_2addr_stride64_b64 v[1:4], v18 offset1:4
	ds_load_2addr_stride64_b64 v[5:8], v18 offset0:8 offset1:12
	s_waitcnt lgkmcnt(0)
	v_add_f64 v[3:4], v[3:4], v[5:6]
	s_delay_alu instid0(VALU_DEP_1) | instskip(NEXT) | instid1(VALU_DEP_1)
	v_add_f64 v[3:4], v[3:4], v[7:8]
	v_add_f64 v[1:2], v[1:2], v[3:4]
	ds_store_b64 v18, v[1:2]
.LBB20_17:                              ;   in Loop: Header=BB20_11 Depth=1
	s_or_b32 exec_lo, exec_lo, s7
	s_waitcnt lgkmcnt(0)
	s_barrier
	buffer_gl0_inv
	s_and_saveexec_b32 s7, s3
	s_cbranch_execz .LBB20_19
; %bb.18:                               ;   in Loop: Header=BB20_11 Depth=1
	ds_load_2addr_stride64_b64 v[1:4], v18 offset1:1
	ds_load_2addr_stride64_b64 v[5:8], v18 offset0:2 offset1:3
	s_waitcnt lgkmcnt(0)
	v_add_f64 v[3:4], v[3:4], v[5:6]
	s_delay_alu instid0(VALU_DEP_1) | instskip(NEXT) | instid1(VALU_DEP_1)
	v_add_f64 v[3:4], v[3:4], v[7:8]
	v_add_f64 v[1:2], v[1:2], v[3:4]
	ds_store_b64 v18, v[1:2]
.LBB20_19:                              ;   in Loop: Header=BB20_11 Depth=1
	s_or_b32 exec_lo, exec_lo, s7
	s_waitcnt lgkmcnt(0)
	s_barrier
	buffer_gl0_inv
	s_and_saveexec_b32 s7, s4
	s_cbranch_execz .LBB20_21
; %bb.20:                               ;   in Loop: Header=BB20_11 Depth=1
	ds_load_2addr_b64 v[1:4], v18 offset1:16
	ds_load_2addr_b64 v[5:8], v18 offset0:32 offset1:48
	s_waitcnt lgkmcnt(0)
	v_add_f64 v[3:4], v[3:4], v[5:6]
	s_delay_alu instid0(VALU_DEP_1) | instskip(NEXT) | instid1(VALU_DEP_1)
	v_add_f64 v[3:4], v[3:4], v[7:8]
	v_add_f64 v[1:2], v[1:2], v[3:4]
	ds_store_b64 v18, v[1:2]
.LBB20_21:                              ;   in Loop: Header=BB20_11 Depth=1
	s_or_b32 exec_lo, exec_lo, s7
	s_waitcnt lgkmcnt(0)
	s_barrier
	buffer_gl0_inv
	s_and_saveexec_b32 s7, s5
	s_cbranch_execz .LBB20_23
; %bb.22:                               ;   in Loop: Header=BB20_11 Depth=1
	ds_load_2addr_b64 v[1:4], v18 offset1:4
	ds_load_2addr_b64 v[5:8], v18 offset0:8 offset1:12
	s_waitcnt lgkmcnt(0)
	v_add_f64 v[3:4], v[3:4], v[5:6]
	s_delay_alu instid0(VALU_DEP_1) | instskip(NEXT) | instid1(VALU_DEP_1)
	v_add_f64 v[3:4], v[3:4], v[7:8]
	v_add_f64 v[1:2], v[1:2], v[3:4]
	ds_store_b64 v18, v[1:2]
.LBB20_23:                              ;   in Loop: Header=BB20_11 Depth=1
	s_or_b32 exec_lo, exec_lo, s7
	s_waitcnt lgkmcnt(0)
	s_barrier
	buffer_gl0_inv
	s_and_saveexec_b32 s7, s6
	s_cbranch_execz .LBB20_25
; %bb.24:                               ;   in Loop: Header=BB20_11 Depth=1
	ds_load_2addr_b64 v[1:4], v13 offset0:1 offset1:2
	ds_load_b64 v[5:6], v18
	s_waitcnt lgkmcnt(1)
	v_add_f64 v[1:2], v[1:2], v[3:4]
	ds_load_b64 v[3:4], v13 offset:24
	s_waitcnt lgkmcnt(0)
	v_add_f64 v[1:2], v[1:2], v[3:4]
	s_delay_alu instid0(VALU_DEP_1)
	v_add_f64 v[1:2], v[5:6], v[1:2]
	ds_store_b64 v18, v[1:2]
.LBB20_25:                              ;   in Loop: Header=BB20_11 Depth=1
	s_or_b32 exec_lo, exec_lo, s7
	s_waitcnt lgkmcnt(0)
	s_barrier
	buffer_gl0_inv
	s_and_saveexec_b32 s7, s6
	s_cbranch_execz .LBB20_10
; %bb.26:                               ;   in Loop: Header=BB20_11 Depth=1
	ds_load_b64 v[1:2], v13
	v_mov_b32_e32 v5, 0
	v_bfrev_b32_e32 v6, 1
	s_mov_b32 s36, exec_lo
	s_waitcnt lgkmcnt(0)
	v_mul_f64 v[1:2], v[10:11], v[1:2]
.LBB20_27:                              ;   Parent Loop BB20_11 Depth=1
                                        ; =>  This Inner Loop Header: Depth=2
	s_ctz_i32_b32 s37, s36
	s_delay_alu instid0(VALU_DEP_1) | instid1(SALU_CYCLE_1)
	v_readlane_b32 s39, v2, s37
	s_delay_alu instid0(VALU_DEP_2) | instskip(SKIP_1) | instid1(SALU_CYCLE_1)
	v_readlane_b32 s38, v1, s37
	s_lshl_b32 s37, 1, s37
	s_and_not1_b32 s36, s36, s37
	s_delay_alu instid0(VALU_DEP_1)
	v_add_f64 v[5:6], v[5:6], s[38:39]
	s_cmp_lg_u32 s36, 0
	s_cbranch_scc1 .LBB20_27
; %bb.28:                               ;   in Loop: Header=BB20_11 Depth=1
	v_mbcnt_lo_u32_b32 v1, exec_lo, 0
	s_mov_b32 s36, exec_lo
	s_delay_alu instid0(VALU_DEP_1)
	v_cmpx_eq_u32_e32 0, v1
	s_xor_b32 s36, exec_lo, s36
	s_cbranch_execz .LBB20_10
; %bb.29:                               ;   in Loop: Header=BB20_11 Depth=1
	s_add_u32 s34, s20, s34
	s_addc_u32 s35, s21, s35
	s_mov_b32 s36, 0
	global_load_b64 v[3:4], v13, s[34:35]
.LBB20_30:                              ;   Parent Loop BB20_11 Depth=1
                                        ; =>  This Inner Loop Header: Depth=2
	s_waitcnt vmcnt(0)
	v_add_f64 v[1:2], v[3:4], v[5:6]
	global_atomic_cmpswap_b64 v[1:2], v13, v[1:4], s[34:35] glc
	s_waitcnt vmcnt(0)
	v_cmp_eq_u64_e32 vcc_lo, v[1:2], v[3:4]
	v_dual_mov_b32 v4, v2 :: v_dual_mov_b32 v3, v1
	s_or_b32 s36, vcc_lo, s36
	s_delay_alu instid0(SALU_CYCLE_1)
	s_and_not1_b32 exec_lo, exec_lo, s36
	s_cbranch_execnz .LBB20_30
; %bb.31:                               ;   in Loop: Header=BB20_11 Depth=1
	s_or_b32 exec_lo, exec_lo, s36
	s_branch .LBB20_10
.LBB20_32:
	s_lshl_b64 s[2:3], s[18:19], 3
	s_waitcnt lgkmcnt(0)
	v_add_co_u32 v5, vcc_lo, s26, v9
	s_add_u32 s2, s8, s2
	s_addc_u32 s3, s9, s3
	v_add_co_ci_u32_e32 v6, vcc_lo, s27, v12, vcc_lo
	s_load_b64 s[2:3], s[2:3], 0x0
	s_waitcnt lgkmcnt(0)
	s_sub_u32 s4, s2, s24
	s_subb_u32 s5, s3, 0
	s_mov_b32 s3, exec_lo
	v_cmpx_gt_i64_e64 s[4:5], v[5:6]
	s_cbranch_execz .LBB20_42
; %bb.33:
	s_add_u32 s6, s18, -1
	s_addc_u32 s7, s19, -1
	s_add_u32 s26, s18, -2
	v_cmp_gt_i64_e64 s2, s[6:7], s[16:17]
	s_addc_u32 s27, s19, -1
	s_delay_alu instid0(SALU_CYCLE_1)
	s_cmp_lg_u64 s[26:27], s[16:17]
	s_mov_b32 s26, 0
	s_cselect_b32 s25, -1, 0
	s_delay_alu instid0(VALU_DEP_1) | instid1(SALU_CYCLE_1)
	s_and_b32 s25, s2, s25
	s_branch .LBB20_35
.LBB20_34:                              ;   in Loop: Header=BB20_35 Depth=1
	s_or_b32 exec_lo, exec_lo, s2
	v_add_co_u32 v5, vcc_lo, 0x100, v5
	v_add_co_ci_u32_e32 v6, vcc_lo, 0, v6, vcc_lo
	s_delay_alu instid0(VALU_DEP_1) | instskip(SKIP_1) | instid1(SALU_CYCLE_1)
	v_cmp_le_i64_e32 vcc_lo, s[4:5], v[5:6]
	s_or_b32 s26, vcc_lo, s26
	s_and_not1_b32 exec_lo, exec_lo, s26
	s_cbranch_execz .LBB20_42
.LBB20_35:                              ; =>This Loop Header: Depth=1
                                        ;     Child Loop BB20_37 Depth 2
                                        ;     Child Loop BB20_41 Depth 2
	v_dual_mov_b32 v1, s16 :: v_dual_mov_b32 v2, s17
	v_dual_mov_b32 v3, s6 :: v_dual_mov_b32 v4, s7
	s_and_not1_b32 vcc_lo, exec_lo, s25
	s_cbranch_vccnz .LBB20_39
; %bb.36:                               ;   in Loop: Header=BB20_35 Depth=1
	v_dual_mov_b32 v1, s16 :: v_dual_mov_b32 v2, s17
	v_dual_mov_b32 v3, s6 :: v_dual_mov_b32 v4, s7
	s_mov_b32 s27, 0
	s_set_inst_prefetch_distance 0x1
	.p2align	6
.LBB20_37:                              ;   Parent Loop BB20_35 Depth=1
                                        ; =>  This Inner Loop Header: Depth=2
	s_delay_alu instid0(VALU_DEP_1) | instskip(NEXT) | instid1(VALU_DEP_2)
	v_add_co_u32 v7, vcc_lo, v3, v1
	v_add_co_ci_u32_e32 v8, vcc_lo, v4, v2, vcc_lo
	s_delay_alu instid0(VALU_DEP_1) | instskip(NEXT) | instid1(VALU_DEP_1)
	v_lshrrev_b32_e32 v9, 31, v8
	v_add_co_u32 v7, vcc_lo, v7, v9
	v_add_co_ci_u32_e32 v8, vcc_lo, 0, v8, vcc_lo
	s_delay_alu instid0(VALU_DEP_1) | instskip(NEXT) | instid1(VALU_DEP_1)
	v_ashrrev_i64 v[7:8], 1, v[7:8]
	v_lshlrev_b64 v[12:13], 3, v[7:8]
	s_delay_alu instid0(VALU_DEP_1) | instskip(NEXT) | instid1(VALU_DEP_2)
	v_add_co_u32 v12, vcc_lo, s8, v12
	v_add_co_ci_u32_e32 v13, vcc_lo, s9, v13, vcc_lo
	global_load_b64 v[12:13], v[12:13], off
	s_waitcnt vmcnt(0)
	v_sub_co_u32 v12, vcc_lo, v12, s24
	v_subrev_co_ci_u32_e32 v13, vcc_lo, 0, v13, vcc_lo
	s_delay_alu instid0(VALU_DEP_1) | instskip(SKIP_2) | instid1(VALU_DEP_2)
	v_cmp_gt_i64_e32 vcc_lo, v[12:13], v[5:6]
	v_dual_cndmask_b32 v4, v4, v8 :: v_dual_cndmask_b32 v3, v3, v7
	v_dual_cndmask_b32 v2, v8, v2 :: v_dual_cndmask_b32 v1, v7, v1
	v_add_co_u32 v7, vcc_lo, v3, -1
	s_delay_alu instid0(VALU_DEP_3) | instskip(NEXT) | instid1(VALU_DEP_3)
	v_add_co_ci_u32_e32 v8, vcc_lo, -1, v4, vcc_lo
	v_cmp_ge_i64_e32 vcc_lo, v[1:2], v[3:4]
	s_delay_alu instid0(VALU_DEP_2) | instskip(NEXT) | instid1(VALU_DEP_1)
	v_cmp_eq_u64_e64 s2, v[1:2], v[7:8]
	s_or_b32 s2, vcc_lo, s2
	s_delay_alu instid0(SALU_CYCLE_1) | instskip(NEXT) | instid1(SALU_CYCLE_1)
	s_and_b32 s2, exec_lo, s2
	s_or_b32 s27, s2, s27
	s_delay_alu instid0(SALU_CYCLE_1)
	s_and_not1_b32 exec_lo, exec_lo, s27
	s_cbranch_execnz .LBB20_37
; %bb.38:                               ;   in Loop: Header=BB20_35 Depth=1
	s_set_inst_prefetch_distance 0x2
	s_or_b32 exec_lo, exec_lo, s27
.LBB20_39:                              ;   in Loop: Header=BB20_35 Depth=1
	s_delay_alu instid0(VALU_DEP_1) | instskip(SKIP_1) | instid1(VALU_DEP_1)
	v_lshlrev_b64 v[7:8], 3, v[3:4]
	s_mov_b32 s2, exec_lo
	v_add_co_u32 v7, vcc_lo, s8, v7
	s_delay_alu instid0(VALU_DEP_2) | instskip(SKIP_2) | instid1(VALU_DEP_1)
	v_add_co_ci_u32_e32 v8, vcc_lo, s9, v8, vcc_lo
	global_load_b64 v[12:13], v[7:8], off
	v_lshlrev_b64 v[7:8], 3, v[5:6]
	v_add_co_u32 v14, vcc_lo, s10, v7
	s_delay_alu instid0(VALU_DEP_2) | instskip(SKIP_4) | instid1(VALU_DEP_1)
	v_add_co_ci_u32_e32 v15, vcc_lo, s11, v8, vcc_lo
	global_load_b64 v[14:15], v[14:15], off
	s_waitcnt vmcnt(1)
	v_sub_co_u32 v12, vcc_lo, v12, s24
	v_subrev_co_ci_u32_e32 v13, vcc_lo, 0, v13, vcc_lo
	v_cmp_gt_i64_e32 vcc_lo, v[12:13], v[5:6]
	v_dual_cndmask_b32 v4, v4, v2 :: v_dual_cndmask_b32 v3, v3, v1
	s_waitcnt vmcnt(0)
	v_sub_co_u32 v1, vcc_lo, v14, s24
	v_subrev_co_ci_u32_e32 v2, vcc_lo, 0, v15, vcc_lo
	s_delay_alu instid0(VALU_DEP_1)
	v_cmpx_ne_u64_e64 v[1:2], v[3:4]
	s_cbranch_execz .LBB20_34
; %bb.40:                               ;   in Loop: Header=BB20_35 Depth=1
	v_add_co_u32 v7, vcc_lo, s12, v7
	v_add_co_ci_u32_e32 v8, vcc_lo, s13, v8, vcc_lo
	v_lshlrev_b64 v[3:4], 3, v[3:4]
	v_lshlrev_b64 v[1:2], 3, v[1:2]
	s_mov_b32 s27, 0
	global_load_b64 v[12:13], v[7:8], off
	v_add_co_u32 v3, vcc_lo, s14, v3
	v_add_co_ci_u32_e32 v4, vcc_lo, s15, v4, vcc_lo
	v_add_co_u32 v7, vcc_lo, s20, v1
	v_add_co_ci_u32_e32 v8, vcc_lo, s21, v2, vcc_lo
	global_load_b64 v[14:15], v[3:4], off
	global_load_b64 v[3:4], v[7:8], off
	s_waitcnt vmcnt(2)
	v_mul_f64 v[1:2], v[10:11], v[12:13]
	s_waitcnt vmcnt(1)
	s_delay_alu instid0(VALU_DEP_1)
	v_mul_f64 v[12:13], v[1:2], v[14:15]
.LBB20_41:                              ;   Parent Loop BB20_35 Depth=1
                                        ; =>  This Inner Loop Header: Depth=2
	s_waitcnt vmcnt(0)
	s_delay_alu instid0(VALU_DEP_1)
	v_add_f64 v[1:2], v[3:4], v[12:13]
	global_atomic_cmpswap_b64 v[1:2], v[7:8], v[1:4], off glc
	s_waitcnt vmcnt(0)
	v_cmp_eq_u64_e32 vcc_lo, v[1:2], v[3:4]
	v_dual_mov_b32 v4, v2 :: v_dual_mov_b32 v3, v1
	s_or_b32 s27, vcc_lo, s27
	s_delay_alu instid0(SALU_CYCLE_1)
	s_and_not1_b32 exec_lo, exec_lo, s27
	s_cbranch_execnz .LBB20_41
	s_branch .LBB20_34
.LBB20_42:
	s_or_b32 exec_lo, exec_lo, s3
	s_mov_b32 s2, 0
.LBB20_43:
	s_delay_alu instid0(SALU_CYCLE_1)
	s_and_b32 vcc_lo, exec_lo, s2
	s_cbranch_vccz .LBB20_180
; %bb.44:
	s_load_b32 s2, s[0:1], 0x6c
	s_mov_b32 s7, 0
	s_mov_b64 s[28:29], 0
	s_waitcnt lgkmcnt(0)
	s_and_b32 s6, s2, 0xffff
	s_delay_alu instid0(SALU_CYCLE_1) | instskip(NEXT) | instid1(VALU_DEP_1)
	v_cmp_lt_u64_e64 s2, s[6:7], s[22:23]
	s_and_b32 vcc_lo, exec_lo, s2
	s_cbranch_vccnz .LBB20_46
; %bb.45:
	v_cvt_f32_u32_e32 v1, s22
	s_sub_i32 s3, 0, s22
	s_delay_alu instid0(VALU_DEP_1) | instskip(SKIP_2) | instid1(VALU_DEP_1)
	v_rcp_iflag_f32_e32 v1, v1
	s_waitcnt_depctr 0xfff
	v_mul_f32_e32 v1, 0x4f7ffffe, v1
	v_cvt_u32_f32_e32 v1, v1
	s_delay_alu instid0(VALU_DEP_1) | instskip(NEXT) | instid1(VALU_DEP_1)
	v_readfirstlane_b32 s2, v1
	s_mul_i32 s3, s3, s2
	s_delay_alu instid0(SALU_CYCLE_1) | instskip(NEXT) | instid1(SALU_CYCLE_1)
	s_mul_hi_u32 s3, s2, s3
	s_add_i32 s2, s2, s3
	s_delay_alu instid0(SALU_CYCLE_1) | instskip(NEXT) | instid1(SALU_CYCLE_1)
	s_mul_hi_u32 s2, s6, s2
	s_mul_i32 s3, s2, s22
	s_add_i32 s4, s2, 1
	s_sub_i32 s3, s6, s3
	s_delay_alu instid0(SALU_CYCLE_1)
	s_sub_i32 s5, s3, s22
	s_cmp_ge_u32 s3, s22
	s_cselect_b32 s2, s4, s2
	s_cselect_b32 s3, s5, s3
	s_add_i32 s4, s2, 1
	s_cmp_ge_u32 s3, s22
	s_cselect_b32 s28, s4, s2
.LBB20_46:
	s_lshl_b64 s[2:3], s[16:17], 3
	v_sub_co_u32 v1, s7, v0, s24
	s_add_u32 s26, s8, s2
	s_addc_u32 s27, s9, s3
	s_load_b64 s[4:5], s[26:27], 0x0
	s_load_b128 s[0:3], s[0:1], 0x8
	v_sub_co_ci_u32_e64 v2, null, 0, 0, s7
	s_waitcnt lgkmcnt(0)
	v_add_co_u32 v6, vcc_lo, s4, v1
	s_delay_alu instid0(VALU_DEP_2) | instskip(SKIP_1) | instid1(VALU_DEP_3)
	v_add_co_ci_u32_e32 v7, vcc_lo, s5, v2, vcc_lo
	v_mov_b32_e32 v1, 0
	v_add_co_u32 v8, vcc_lo, 0x300, v6
	s_delay_alu instid0(VALU_DEP_3) | instskip(NEXT) | instid1(VALU_DEP_1)
	v_add_co_ci_u32_e32 v9, vcc_lo, 0, v7, vcc_lo
	v_cmp_le_i64_e32 vcc_lo, s[0:1], v[8:9]
	s_and_saveexec_b32 s0, vcc_lo
	s_delay_alu instid0(SALU_CYCLE_1)
	s_xor_b32 s7, exec_lo, s0
	s_cbranch_execnz .LBB20_49
; %bb.47:
	s_or_saveexec_b32 s1, s7
	v_lshlrev_b64 v[2:3], 3, v[6:7]
	s_xor_b32 exec_lo, exec_lo, s1
	s_cbranch_execnz .LBB20_53
.LBB20_48:
	s_or_b32 exec_lo, exec_lo, s1
	s_delay_alu instid0(SALU_CYCLE_1)
	s_mov_b32 s1, exec_lo
	v_cmpx_gt_i64_e64 s[2:3], v[0:1]
	s_cbranch_execnz .LBB20_54
	s_branch .LBB20_56
.LBB20_49:
	s_lshl_b64 s[0:1], s[18:19], 3
	s_mov_b32 s25, exec_lo
	s_add_u32 s0, s8, s0
	s_addc_u32 s1, s9, s1
	s_load_b64 s[0:1], s[0:1], 0x0
	s_waitcnt lgkmcnt(0)
	s_sub_u32 s30, s0, s4
	s_subb_u32 s31, s1, s5
	s_delay_alu instid0(SALU_CYCLE_1)
	v_cmpx_gt_i64_e64 s[30:31], v[0:1]
	s_cbranch_execz .LBB20_52
; %bb.50:
	v_lshlrev_b64 v[2:3], 3, v[6:7]
	v_dual_mov_b32 v12, v18 :: v_dual_mov_b32 v5, v1
	v_mov_b32_e32 v4, v0
	s_mov_b32 s29, 0
	s_delay_alu instid0(VALU_DEP_3) | instskip(NEXT) | instid1(VALU_DEP_1)
	v_add_co_u32 v2, s0, s12, v2
	v_add_co_ci_u32_e64 v3, s0, s13, v3, s0
	.p2align	6
.LBB20_51:                              ; =>This Inner Loop Header: Depth=1
	global_load_b64 v[13:14], v[2:3], off
	v_add_co_u32 v4, s0, 0x100, v4
	s_delay_alu instid0(VALU_DEP_1) | instskip(SKIP_1) | instid1(VALU_DEP_1)
	v_add_co_ci_u32_e64 v5, s0, 0, v5, s0
	v_add_co_u32 v2, s0, 0x800, v2
	v_add_co_ci_u32_e64 v3, s0, 0, v3, s0
	s_delay_alu instid0(VALU_DEP_3) | instskip(NEXT) | instid1(VALU_DEP_1)
	v_cmp_le_i64_e64 s1, s[30:31], v[4:5]
	s_or_b32 s29, s1, s29
	s_waitcnt vmcnt(0)
	v_mul_f64 v[13:14], v[10:11], v[13:14]
	ds_store_b64 v12, v[13:14]
	v_add_nc_u32_e32 v12, 0x800, v12
	s_and_not1_b32 exec_lo, exec_lo, s29
	s_cbranch_execnz .LBB20_51
.LBB20_52:
	s_or_b32 exec_lo, exec_lo, s25
                                        ; implicit-def: $vgpr10_vgpr11
	s_or_saveexec_b32 s1, s7
	v_lshlrev_b64 v[2:3], 3, v[6:7]
	s_xor_b32 exec_lo, exec_lo, s1
	s_cbranch_execz .LBB20_48
.LBB20_53:
	s_delay_alu instid0(VALU_DEP_1) | instskip(NEXT) | instid1(VALU_DEP_1)
	v_add_co_u32 v4, s0, s12, v2
	v_add_co_ci_u32_e64 v5, s0, s13, v3, s0
	s_delay_alu instid0(VALU_DEP_2) | instskip(NEXT) | instid1(VALU_DEP_1)
	v_add_co_u32 v12, s0, 0x1000, v4
	v_add_co_ci_u32_e64 v13, s0, 0, v5, s0
	s_clause 0x3
	global_load_b64 v[14:15], v[4:5], off
	global_load_b64 v[4:5], v[4:5], off offset:2048
	global_load_b64 v[16:17], v[12:13], off
	global_load_b64 v[12:13], v[12:13], off offset:2048
	s_waitcnt vmcnt(3)
	v_mul_f64 v[14:15], v[10:11], v[14:15]
	s_waitcnt vmcnt(2)
	v_mul_f64 v[4:5], v[10:11], v[4:5]
	;; [unrolled: 2-line block ×4, first 2 shown]
	ds_store_2addr_stride64_b64 v18, v[14:15], v[4:5] offset1:4
	ds_store_2addr_stride64_b64 v18, v[16:17], v[10:11] offset0:8 offset1:12
	s_or_b32 exec_lo, exec_lo, s1
	s_delay_alu instid0(SALU_CYCLE_1)
	s_mov_b32 s1, exec_lo
	v_cmpx_gt_i64_e64 s[2:3], v[0:1]
	s_cbranch_execz .LBB20_56
.LBB20_54:
	v_dual_mov_b32 v4, 0 :: v_dual_mov_b32 v11, v1
	v_lshl_add_u32 v12, v0, 3, 0x2000
	v_mov_b32_e32 v10, v0
	s_mov_b32 s7, 0
	s_delay_alu instid0(VALU_DEP_3)
	v_mov_b32_e32 v5, v4
.LBB20_55:                              ; =>This Inner Loop Header: Depth=1
	s_delay_alu instid0(VALU_DEP_2) | instskip(NEXT) | instid1(VALU_DEP_1)
	v_add_co_u32 v10, s0, 0x100, v10
	v_add_co_ci_u32_e64 v11, s0, 0, v11, s0
	ds_store_b64 v12, v[4:5]
	v_add_nc_u32_e32 v12, 0x800, v12
	v_cmp_le_i64_e64 s0, s[2:3], v[10:11]
	s_delay_alu instid0(VALU_DEP_1) | instskip(NEXT) | instid1(SALU_CYCLE_1)
	s_or_b32 s7, s0, s7
	s_and_not1_b32 exec_lo, exec_lo, s7
	s_cbranch_execnz .LBB20_55
.LBB20_56:
	s_or_b32 exec_lo, exec_lo, s1
	v_cmp_ge_i64_e64 s0, s[18:19], s[2:3]
	s_sub_u32 s1, s18, s2
	s_subb_u32 s7, s19, s3
	s_waitcnt lgkmcnt(0)
	s_barrier
	buffer_gl0_inv
	s_and_b32 s0, s0, exec_lo
	s_cselect_b32 s13, s7, 0
	s_cselect_b32 s12, s1, 0
	s_and_saveexec_b32 s0, vcc_lo
	s_delay_alu instid0(SALU_CYCLE_1)
	s_xor_b32 s7, exec_lo, s0
	s_cbranch_execz .LBB20_77
; %bb.57:
	s_lshl_b64 s[0:1], s[18:19], 3
	s_mov_b32 s25, exec_lo
	s_add_u32 s0, s8, s0
	s_addc_u32 s1, s9, s1
	s_load_b64 s[0:1], s[0:1], 0x0
	s_waitcnt lgkmcnt(0)
	s_sub_u32 s30, s0, s4
	s_subb_u32 s31, s1, s5
	s_delay_alu instid0(SALU_CYCLE_1)
	v_cmpx_gt_i64_e64 s[30:31], v[0:1]
	s_cbranch_execz .LBB20_76
; %bb.58:
	s_add_u32 s34, s18, -1
	s_addc_u32 s35, s19, -1
	s_add_u32 s36, s18, -2
	v_cmp_gt_i64_e64 s29, s[34:35], s[16:17]
	s_addc_u32 s37, s19, -1
	s_mov_b64 s[38:39], 0
	s_cmp_lg_u64 s[36:37], s[16:17]
	s_cselect_b32 s33, -1, 0
	s_delay_alu instid0(VALU_DEP_1) | instid1(SALU_CYCLE_1)
	s_and_b32 s29, s29, s33
	s_sub_u32 s36, s0, s24
	s_subb_u32 s37, s1, 0
	s_mov_b32 s1, 0
	s_branch .LBB20_61
.LBB20_59:                              ;   in Loop: Header=BB20_61 Depth=1
	s_or_b32 exec_lo, exec_lo, s0
.LBB20_60:                              ;   in Loop: Header=BB20_61 Depth=1
	s_delay_alu instid0(SALU_CYCLE_1) | instskip(SKIP_4) | instid1(VALU_DEP_1)
	s_or_b32 exec_lo, exec_lo, s33
	v_lshlrev_b64 v[2:3], 3, v[8:9]
	s_add_u32 s38, s38, 0x100
	s_addc_u32 s39, s39, 0
	v_add_co_u32 v4, s0, s38, v0
	v_add_co_ci_u32_e64 v5, null, s39, 0, s0
	s_delay_alu instid0(VALU_DEP_3) | instskip(SKIP_1) | instid1(VALU_DEP_3)
	v_add_co_u32 v2, vcc_lo, s14, v2
	v_add_co_ci_u32_e32 v3, vcc_lo, s15, v3, vcc_lo
	v_cmp_le_i64_e32 vcc_lo, s[30:31], v[4:5]
	v_lshlrev_b32_e32 v4, 3, v16
	global_load_b64 v[2:3], v[2:3], off
	s_or_b32 s1, vcc_lo, s1
	s_waitcnt vmcnt(0) lgkmcnt(0)
	v_mul_f64 v[2:3], v[2:3], v[10:11]
	ds_store_b64 v4, v[2:3]
	s_and_not1_b32 exec_lo, exec_lo, s1
	s_cbranch_execz .LBB20_76
.LBB20_61:                              ; =>This Loop Header: Depth=1
                                        ;     Child Loop BB20_63 Depth 2
                                        ;     Child Loop BB20_70 Depth 2
	;; [unrolled: 1-line block ×3, first 2 shown]
	v_add_co_u32 v2, vcc_lo, s38, v6
	v_add_co_ci_u32_e32 v3, vcc_lo, s39, v7, vcc_lo
	v_dual_mov_b32 v4, s16 :: v_dual_mov_b32 v5, s17
	v_dual_mov_b32 v10, s34 :: v_dual_mov_b32 v11, s35
	s_and_not1_b32 vcc_lo, exec_lo, s29
	s_cbranch_vccnz .LBB20_65
; %bb.62:                               ;   in Loop: Header=BB20_61 Depth=1
	v_dual_mov_b32 v4, s16 :: v_dual_mov_b32 v5, s17
	v_dual_mov_b32 v10, s34 :: v_dual_mov_b32 v11, s35
	s_mov_b32 s33, 0
	s_set_inst_prefetch_distance 0x1
	.p2align	6
.LBB20_63:                              ;   Parent Loop BB20_61 Depth=1
                                        ; =>  This Inner Loop Header: Depth=2
	s_delay_alu instid0(VALU_DEP_1) | instskip(NEXT) | instid1(VALU_DEP_2)
	v_add_co_u32 v8, vcc_lo, v10, v4
	v_add_co_ci_u32_e32 v9, vcc_lo, v11, v5, vcc_lo
	s_delay_alu instid0(VALU_DEP_1) | instskip(NEXT) | instid1(VALU_DEP_1)
	v_lshrrev_b32_e32 v12, 31, v9
	v_add_co_u32 v8, vcc_lo, v8, v12
	v_add_co_ci_u32_e32 v9, vcc_lo, 0, v9, vcc_lo
	s_delay_alu instid0(VALU_DEP_1) | instskip(NEXT) | instid1(VALU_DEP_1)
	v_ashrrev_i64 v[8:9], 1, v[8:9]
	v_lshlrev_b64 v[12:13], 3, v[8:9]
	s_delay_alu instid0(VALU_DEP_1) | instskip(NEXT) | instid1(VALU_DEP_2)
	v_add_co_u32 v12, vcc_lo, s8, v12
	v_add_co_ci_u32_e32 v13, vcc_lo, s9, v13, vcc_lo
	global_load_b64 v[12:13], v[12:13], off
	s_waitcnt vmcnt(0)
	v_sub_co_u32 v12, vcc_lo, v12, s24
	v_subrev_co_ci_u32_e32 v13, vcc_lo, 0, v13, vcc_lo
	s_delay_alu instid0(VALU_DEP_1) | instskip(SKIP_2) | instid1(VALU_DEP_2)
	v_cmp_gt_i64_e32 vcc_lo, v[12:13], v[2:3]
	v_dual_cndmask_b32 v11, v11, v9 :: v_dual_cndmask_b32 v10, v10, v8
	v_dual_cndmask_b32 v5, v9, v5 :: v_dual_cndmask_b32 v4, v8, v4
	v_add_co_u32 v8, vcc_lo, v10, -1
	s_delay_alu instid0(VALU_DEP_3) | instskip(NEXT) | instid1(VALU_DEP_3)
	v_add_co_ci_u32_e32 v9, vcc_lo, -1, v11, vcc_lo
	v_cmp_ge_i64_e32 vcc_lo, v[4:5], v[10:11]
	s_delay_alu instid0(VALU_DEP_2) | instskip(NEXT) | instid1(VALU_DEP_1)
	v_cmp_eq_u64_e64 s0, v[4:5], v[8:9]
	s_or_b32 s0, vcc_lo, s0
	s_delay_alu instid0(SALU_CYCLE_1) | instskip(NEXT) | instid1(SALU_CYCLE_1)
	s_and_b32 s0, exec_lo, s0
	s_or_b32 s33, s0, s33
	s_delay_alu instid0(SALU_CYCLE_1)
	s_and_not1_b32 exec_lo, exec_lo, s33
	s_cbranch_execnz .LBB20_63
; %bb.64:                               ;   in Loop: Header=BB20_61 Depth=1
	s_set_inst_prefetch_distance 0x2
	s_or_b32 exec_lo, exec_lo, s33
.LBB20_65:                              ;   in Loop: Header=BB20_61 Depth=1
	s_delay_alu instid0(VALU_DEP_1) | instskip(SKIP_2) | instid1(VALU_DEP_3)
	v_lshlrev_b64 v[8:9], 3, v[10:11]
	v_lshlrev_b64 v[12:13], 3, v[2:3]
	v_add_co_u32 v16, null, s38, v0
	v_add_co_u32 v8, vcc_lo, s8, v8
	s_delay_alu instid0(VALU_DEP_4) | instskip(NEXT) | instid1(VALU_DEP_4)
	v_add_co_ci_u32_e32 v9, vcc_lo, s9, v9, vcc_lo
	v_add_co_u32 v12, vcc_lo, s10, v12
	v_add_co_ci_u32_e32 v13, vcc_lo, s11, v13, vcc_lo
	global_load_b64 v[8:9], v[8:9], off
	v_lshlrev_b32_e32 v14, 3, v16
	global_load_b64 v[12:13], v[12:13], off
	s_waitcnt vmcnt(1)
	v_sub_co_u32 v8, vcc_lo, v8, s24
	v_subrev_co_ci_u32_e32 v9, vcc_lo, 0, v9, vcc_lo
	s_delay_alu instid0(VALU_DEP_1) | instskip(SKIP_2) | instid1(VALU_DEP_1)
	v_cmp_gt_i64_e32 vcc_lo, v[8:9], v[2:3]
	s_waitcnt vmcnt(0)
	v_sub_co_u32 v8, s0, v12, s24
	v_subrev_co_ci_u32_e64 v9, s0, 0, v13, s0
	v_cmp_le_i64_e64 s0, s[36:37], v[2:3]
	v_dual_cndmask_b32 v5, v11, v5 :: v_dual_cndmask_b32 v4, v10, v4
                                        ; implicit-def: $vgpr10_vgpr11
	s_delay_alu instid0(VALU_DEP_1) | instskip(NEXT) | instid1(VALU_DEP_3)
	v_cmp_eq_u64_e32 vcc_lo, v[8:9], v[4:5]
	s_or_b32 s0, vcc_lo, s0
	s_delay_alu instid0(SALU_CYCLE_1) | instskip(NEXT) | instid1(SALU_CYCLE_1)
	s_and_saveexec_b32 s33, s0
	s_xor_b32 s0, exec_lo, s33
	s_cbranch_execz .LBB20_67
; %bb.66:                               ;   in Loop: Header=BB20_61 Depth=1
	ds_load_b64 v[10:11], v14
                                        ; implicit-def: $vgpr4_vgpr5
                                        ; implicit-def: $vgpr14
.LBB20_67:                              ;   in Loop: Header=BB20_61 Depth=1
	s_and_not1_saveexec_b32 s33, s0
	s_cbranch_execz .LBB20_60
; %bb.68:                               ;   in Loop: Header=BB20_61 Depth=1
	v_cmp_gt_i64_e32 vcc_lo, s[12:13], v[8:9]
	v_cmp_le_i64_e64 s0, s[18:19], v[8:9]
	v_lshlrev_b64 v[2:3], 3, v[4:5]
                                        ; implicit-def: $vgpr10_vgpr11
	s_delay_alu instid0(VALU_DEP_2) | instskip(NEXT) | instid1(SALU_CYCLE_1)
	s_or_b32 s0, vcc_lo, s0
	s_and_saveexec_b32 s40, s0
	s_delay_alu instid0(SALU_CYCLE_1)
	s_xor_b32 s0, exec_lo, s40
	s_cbranch_execz .LBB20_72
; %bb.69:                               ;   in Loop: Header=BB20_61 Depth=1
	s_delay_alu instid0(VALU_DEP_1)
	v_add_co_u32 v2, vcc_lo, s14, v2
	v_add_co_ci_u32_e32 v3, vcc_lo, s15, v3, vcc_lo
	v_lshlrev_b64 v[4:5], 3, v[8:9]
	s_waitcnt lgkmcnt(0)
	ds_load_b64 v[10:11], v14
	s_mov_b32 s40, 0
	global_load_b64 v[2:3], v[2:3], off
	v_add_co_u32 v12, vcc_lo, s20, v4
	v_add_co_ci_u32_e32 v13, vcc_lo, s21, v5, vcc_lo
	global_load_b64 v[4:5], v[12:13], off
	s_waitcnt vmcnt(1) lgkmcnt(0)
	v_mul_f64 v[14:15], v[10:11], v[2:3]
.LBB20_70:                              ;   Parent Loop BB20_61 Depth=1
                                        ; =>  This Inner Loop Header: Depth=2
	s_waitcnt vmcnt(0)
	s_delay_alu instid0(VALU_DEP_1)
	v_add_f64 v[2:3], v[4:5], v[14:15]
	global_atomic_cmpswap_b64 v[2:3], v[12:13], v[2:5], off glc
	s_waitcnt vmcnt(0)
	v_cmp_eq_u64_e32 vcc_lo, v[2:3], v[4:5]
	v_dual_mov_b32 v5, v3 :: v_dual_mov_b32 v4, v2
	s_or_b32 s40, vcc_lo, s40
	s_delay_alu instid0(SALU_CYCLE_1)
	s_and_not1_b32 exec_lo, exec_lo, s40
	s_cbranch_execnz .LBB20_70
; %bb.71:                               ;   in Loop: Header=BB20_61 Depth=1
	s_or_b32 exec_lo, exec_lo, s40
                                        ; implicit-def: $vgpr14
                                        ; implicit-def: $vgpr2_vgpr3
.LBB20_72:                              ;   in Loop: Header=BB20_61 Depth=1
	s_and_not1_saveexec_b32 s0, s0
	s_cbranch_execz .LBB20_59
; %bb.73:                               ;   in Loop: Header=BB20_61 Depth=1
	v_add_co_u32 v2, vcc_lo, s14, v2
	v_add_co_ci_u32_e32 v3, vcc_lo, s15, v3, vcc_lo
	s_waitcnt lgkmcnt(0)
	ds_load_b64 v[10:11], v14
	v_subrev_nc_u32_e32 v4, s12, v8
	s_mov_b32 s40, 0
	global_load_b64 v[2:3], v[2:3], off
	v_lshl_add_u32 v12, v4, 3, 0x2000
	ds_load_b64 v[4:5], v12
	s_waitcnt vmcnt(0) lgkmcnt(1)
	v_mul_f64 v[2:3], v[10:11], v[2:3]
.LBB20_74:                              ;   Parent Loop BB20_61 Depth=1
                                        ; =>  This Inner Loop Header: Depth=2
	s_waitcnt lgkmcnt(0)
	s_delay_alu instid0(VALU_DEP_1)
	v_add_f64 v[13:14], v[4:5], v[2:3]
	ds_cmpstore_rtn_b64 v[13:14], v12, v[13:14], v[4:5]
	s_waitcnt lgkmcnt(0)
	v_cmp_eq_u64_e32 vcc_lo, v[13:14], v[4:5]
	v_dual_mov_b32 v4, v13 :: v_dual_mov_b32 v5, v14
	s_or_b32 s40, vcc_lo, s40
	s_delay_alu instid0(SALU_CYCLE_1)
	s_and_not1_b32 exec_lo, exec_lo, s40
	s_cbranch_execnz .LBB20_74
; %bb.75:                               ;   in Loop: Header=BB20_61 Depth=1
	s_or_b32 exec_lo, exec_lo, s40
	s_branch .LBB20_59
.LBB20_76:
	s_or_b32 exec_lo, exec_lo, s25
                                        ; implicit-def: $vgpr8_vgpr9
                                        ; implicit-def: $vgpr6
                                        ; implicit-def: $vgpr2_vgpr3
.LBB20_77:
	s_and_not1_saveexec_b32 s1, s7
	s_cbranch_execz .LBB20_135
; %bb.78:
	s_add_u32 s30, s18, -1
	s_addc_u32 s31, s19, -1
	s_add_u32 s34, s18, -2
	v_cmp_le_i64_e64 s0, s[30:31], s[16:17]
	s_addc_u32 s35, s19, -1
	v_dual_mov_b32 v4, s16 :: v_dual_mov_b32 v5, s17
	s_cmp_eq_u64 s[34:35], s[16:17]
	v_dual_mov_b32 v12, s30 :: v_dual_mov_b32 v13, s31
	s_cselect_b32 s7, -1, 0
	s_delay_alu instid0(SALU_CYCLE_1) | instskip(NEXT) | instid1(SALU_CYCLE_1)
	s_or_b32 s7, s0, s7
	s_and_b32 vcc_lo, exec_lo, s7
	s_cbranch_vccnz .LBB20_82
; %bb.79:
	v_dual_mov_b32 v4, s16 :: v_dual_mov_b32 v5, s17
	v_dual_mov_b32 v12, s30 :: v_dual_mov_b32 v13, s31
	s_mov_b32 s25, 0
	s_set_inst_prefetch_distance 0x1
	.p2align	6
.LBB20_80:                              ; =>This Inner Loop Header: Depth=1
	s_delay_alu instid0(VALU_DEP_1) | instskip(NEXT) | instid1(VALU_DEP_2)
	v_add_co_u32 v10, vcc_lo, v12, v4
	v_add_co_ci_u32_e32 v11, vcc_lo, v13, v5, vcc_lo
	s_delay_alu instid0(VALU_DEP_1) | instskip(NEXT) | instid1(VALU_DEP_1)
	v_lshrrev_b32_e32 v14, 31, v11
	v_add_co_u32 v10, vcc_lo, v10, v14
	v_add_co_ci_u32_e32 v11, vcc_lo, 0, v11, vcc_lo
	s_delay_alu instid0(VALU_DEP_1) | instskip(NEXT) | instid1(VALU_DEP_1)
	v_ashrrev_i64 v[10:11], 1, v[10:11]
	v_lshlrev_b64 v[14:15], 3, v[10:11]
	s_delay_alu instid0(VALU_DEP_1) | instskip(NEXT) | instid1(VALU_DEP_2)
	v_add_co_u32 v14, vcc_lo, s8, v14
	v_add_co_ci_u32_e32 v15, vcc_lo, s9, v15, vcc_lo
	global_load_b64 v[14:15], v[14:15], off
	s_waitcnt vmcnt(0)
	v_sub_co_u32 v14, vcc_lo, v14, s24
	v_subrev_co_ci_u32_e32 v15, vcc_lo, 0, v15, vcc_lo
	s_delay_alu instid0(VALU_DEP_1) | instskip(SKIP_2) | instid1(VALU_DEP_2)
	v_cmp_gt_i64_e32 vcc_lo, v[14:15], v[6:7]
	v_dual_cndmask_b32 v13, v13, v11 :: v_dual_cndmask_b32 v12, v12, v10
	v_dual_cndmask_b32 v5, v11, v5 :: v_dual_cndmask_b32 v4, v10, v4
	v_add_co_u32 v10, vcc_lo, v12, -1
	s_delay_alu instid0(VALU_DEP_3) | instskip(NEXT) | instid1(VALU_DEP_3)
	v_add_co_ci_u32_e32 v11, vcc_lo, -1, v13, vcc_lo
	v_cmp_ge_i64_e32 vcc_lo, v[4:5], v[12:13]
	s_delay_alu instid0(VALU_DEP_2) | instskip(NEXT) | instid1(VALU_DEP_1)
	v_cmp_eq_u64_e64 s0, v[4:5], v[10:11]
	s_or_b32 s0, vcc_lo, s0
	s_delay_alu instid0(SALU_CYCLE_1) | instskip(NEXT) | instid1(SALU_CYCLE_1)
	s_and_b32 s0, exec_lo, s0
	s_or_b32 s25, s0, s25
	s_delay_alu instid0(SALU_CYCLE_1)
	s_and_not1_b32 exec_lo, exec_lo, s25
	s_cbranch_execnz .LBB20_80
; %bb.81:
	s_set_inst_prefetch_distance 0x2
	s_or_b32 exec_lo, exec_lo, s25
.LBB20_82:
	v_lshlrev_b64 v[10:11], 3, v[12:13]
	s_xor_b32 s7, s7, -1
	s_mov_b32 s25, exec_lo
	s_delay_alu instid0(VALU_DEP_1) | instskip(NEXT) | instid1(VALU_DEP_2)
	v_add_co_u32 v10, vcc_lo, s8, v10
	v_add_co_ci_u32_e32 v11, vcc_lo, s9, v11, vcc_lo
	global_load_b64 v[14:15], v[10:11], off
	v_add_co_u32 v10, vcc_lo, s10, v2
	v_add_co_ci_u32_e32 v11, vcc_lo, s11, v3, vcc_lo
	s_lshl_b64 s[10:11], s[18:19], 3
	s_delay_alu instid0(SALU_CYCLE_1)
	s_add_u32 s10, s8, s10
	global_load_b64 v[16:17], v[10:11], off
	s_addc_u32 s11, s9, s11
	s_waitcnt vmcnt(1)
	v_sub_co_u32 v2, vcc_lo, v14, s24
	v_subrev_co_ci_u32_e32 v3, vcc_lo, 0, v15, vcc_lo
	s_delay_alu instid0(VALU_DEP_1) | instskip(SKIP_4) | instid1(VALU_DEP_1)
	v_cmp_gt_i64_e32 vcc_lo, v[2:3], v[6:7]
	v_dual_cndmask_b32 v3, v13, v5 :: v_dual_cndmask_b32 v2, v12, v4
	s_waitcnt vmcnt(0)
	v_sub_co_u32 v12, vcc_lo, v16, s24
	v_subrev_co_ci_u32_e32 v13, vcc_lo, 0, v17, vcc_lo
	v_cmpx_ne_u64_e64 v[12:13], v[2:3]
	s_cbranch_execz .LBB20_92
; %bb.83:
	s_load_b64 s[34:35], s[10:11], 0x0
	s_waitcnt lgkmcnt(0)
	s_sub_u32 s34, s34, s24
	s_subb_u32 s35, s35, 0
	s_delay_alu instid0(SALU_CYCLE_1)
	v_cmp_gt_i64_e32 vcc_lo, s[34:35], v[6:7]
	s_and_b32 exec_lo, exec_lo, vcc_lo
	s_cbranch_execz .LBB20_92
; %bb.84:
	v_cmp_gt_i64_e32 vcc_lo, s[12:13], v[12:13]
	v_cmp_le_i64_e64 s0, s[18:19], v[12:13]
	v_lshlrev_b64 v[2:3], 3, v[2:3]
	s_delay_alu instid0(VALU_DEP_2) | instskip(NEXT) | instid1(SALU_CYCLE_1)
	s_or_b32 s0, vcc_lo, s0
	s_and_saveexec_b32 s29, s0
	s_delay_alu instid0(SALU_CYCLE_1)
	s_xor_b32 s0, exec_lo, s29
	s_cbranch_execz .LBB20_88
; %bb.85:
	s_delay_alu instid0(VALU_DEP_1)
	v_add_co_u32 v2, vcc_lo, s14, v2
	v_add_co_ci_u32_e32 v3, vcc_lo, s15, v3, vcc_lo
	v_lshlrev_b64 v[4:5], 3, v[12:13]
	ds_load_b64 v[16:17], v18
	s_mov_b32 s29, 0
	global_load_b64 v[2:3], v[2:3], off
	v_add_co_u32 v14, vcc_lo, s20, v4
	v_add_co_ci_u32_e32 v15, vcc_lo, s21, v5, vcc_lo
	global_load_b64 v[4:5], v[14:15], off
	s_waitcnt vmcnt(1) lgkmcnt(0)
	v_mul_f64 v[16:17], v[16:17], v[2:3]
.LBB20_86:                              ; =>This Inner Loop Header: Depth=1
	s_waitcnt vmcnt(0)
	s_delay_alu instid0(VALU_DEP_1)
	v_add_f64 v[2:3], v[4:5], v[16:17]
	global_atomic_cmpswap_b64 v[2:3], v[14:15], v[2:5], off glc
	s_waitcnt vmcnt(0)
	v_cmp_eq_u64_e32 vcc_lo, v[2:3], v[4:5]
	v_dual_mov_b32 v5, v3 :: v_dual_mov_b32 v4, v2
	s_or_b32 s29, vcc_lo, s29
	s_delay_alu instid0(SALU_CYCLE_1)
	s_and_not1_b32 exec_lo, exec_lo, s29
	s_cbranch_execnz .LBB20_86
; %bb.87:
	s_or_b32 exec_lo, exec_lo, s29
                                        ; implicit-def: $vgpr2_vgpr3
.LBB20_88:
	s_and_not1_saveexec_b32 s0, s0
	s_cbranch_execz .LBB20_92
; %bb.89:
	v_add_co_u32 v2, vcc_lo, s14, v2
	v_add_co_ci_u32_e32 v3, vcc_lo, s15, v3, vcc_lo
	ds_load_b64 v[4:5], v18
	s_mov_b32 s0, 0
	global_load_b64 v[2:3], v[2:3], off
	s_waitcnt vmcnt(0) lgkmcnt(0)
	v_mul_f64 v[2:3], v[4:5], v[2:3]
	v_subrev_nc_u32_e32 v4, s12, v12
	s_delay_alu instid0(VALU_DEP_1)
	v_lshl_add_u32 v14, v4, 3, 0x2000
	ds_load_b64 v[4:5], v14
.LBB20_90:                              ; =>This Inner Loop Header: Depth=1
	s_waitcnt lgkmcnt(0)
	v_add_f64 v[15:16], v[4:5], v[2:3]
	ds_cmpstore_rtn_b64 v[15:16], v14, v[15:16], v[4:5]
	s_waitcnt lgkmcnt(0)
	v_cmp_eq_u64_e32 vcc_lo, v[15:16], v[4:5]
	v_dual_mov_b32 v4, v15 :: v_dual_mov_b32 v5, v16
	s_or_b32 s0, vcc_lo, s0
	s_delay_alu instid0(SALU_CYCLE_1)
	s_and_not1_b32 exec_lo, exec_lo, s0
	s_cbranch_execnz .LBB20_90
; %bb.91:
	s_or_b32 exec_lo, exec_lo, s0
.LBB20_92:
	s_delay_alu instid0(SALU_CYCLE_1)
	s_or_b32 exec_lo, exec_lo, s25
	v_lshlrev_b64 v[2:3], 3, v[12:13]
	ds_load_b64 v[4:5], v18
	v_cndmask_b32_e64 v19, 0, 1, s7
	v_dual_mov_b32 v12, s30 :: v_dual_mov_b32 v13, s31
	v_add_co_u32 v2, vcc_lo, s14, v2
	v_add_co_ci_u32_e32 v3, vcc_lo, s15, v3, vcc_lo
	global_load_b64 v[2:3], v[2:3], off
	s_waitcnt vmcnt(0) lgkmcnt(0)
	v_mul_f64 v[14:15], v[2:3], v[4:5]
	v_add_co_u32 v2, vcc_lo, 0x100, v6
	v_add_co_ci_u32_e32 v3, vcc_lo, 0, v7, vcc_lo
	v_dual_mov_b32 v4, s16 :: v_dual_mov_b32 v5, s17
	s_and_not1_b32 vcc_lo, exec_lo, s7
	ds_store_b64 v18, v[14:15]
	s_cbranch_vccnz .LBB20_96
; %bb.93:
	v_dual_mov_b32 v4, s16 :: v_dual_mov_b32 v5, s17
	v_dual_mov_b32 v12, s30 :: v_dual_mov_b32 v13, s31
	s_mov_b32 s7, 0
	s_set_inst_prefetch_distance 0x1
	.p2align	6
.LBB20_94:                              ; =>This Inner Loop Header: Depth=1
	s_delay_alu instid0(VALU_DEP_1) | instskip(NEXT) | instid1(VALU_DEP_2)
	v_add_co_u32 v14, vcc_lo, v12, v4
	v_add_co_ci_u32_e32 v15, vcc_lo, v13, v5, vcc_lo
	s_delay_alu instid0(VALU_DEP_1) | instskip(NEXT) | instid1(VALU_DEP_1)
	v_lshrrev_b32_e32 v16, 31, v15
	v_add_co_u32 v14, vcc_lo, v14, v16
	v_add_co_ci_u32_e32 v15, vcc_lo, 0, v15, vcc_lo
	s_delay_alu instid0(VALU_DEP_1) | instskip(NEXT) | instid1(VALU_DEP_1)
	v_ashrrev_i64 v[14:15], 1, v[14:15]
	v_lshlrev_b64 v[16:17], 3, v[14:15]
	s_delay_alu instid0(VALU_DEP_1) | instskip(NEXT) | instid1(VALU_DEP_2)
	v_add_co_u32 v16, vcc_lo, s8, v16
	v_add_co_ci_u32_e32 v17, vcc_lo, s9, v17, vcc_lo
	global_load_b64 v[16:17], v[16:17], off
	s_waitcnt vmcnt(0)
	v_sub_co_u32 v16, vcc_lo, v16, s24
	v_subrev_co_ci_u32_e32 v17, vcc_lo, 0, v17, vcc_lo
	s_delay_alu instid0(VALU_DEP_1) | instskip(SKIP_2) | instid1(VALU_DEP_2)
	v_cmp_gt_i64_e32 vcc_lo, v[16:17], v[2:3]
	v_dual_cndmask_b32 v13, v13, v15 :: v_dual_cndmask_b32 v12, v12, v14
	v_dual_cndmask_b32 v5, v15, v5 :: v_dual_cndmask_b32 v4, v14, v4
	v_add_co_u32 v14, vcc_lo, v12, -1
	s_delay_alu instid0(VALU_DEP_3) | instskip(NEXT) | instid1(VALU_DEP_3)
	v_add_co_ci_u32_e32 v15, vcc_lo, -1, v13, vcc_lo
	v_cmp_ge_i64_e32 vcc_lo, v[4:5], v[12:13]
	s_delay_alu instid0(VALU_DEP_2) | instskip(NEXT) | instid1(VALU_DEP_1)
	v_cmp_eq_u64_e64 s0, v[4:5], v[14:15]
	s_or_b32 s0, vcc_lo, s0
	s_delay_alu instid0(SALU_CYCLE_1) | instskip(NEXT) | instid1(SALU_CYCLE_1)
	s_and_b32 s0, exec_lo, s0
	s_or_b32 s7, s0, s7
	s_delay_alu instid0(SALU_CYCLE_1)
	s_and_not1_b32 exec_lo, exec_lo, s7
	s_cbranch_execnz .LBB20_94
; %bb.95:
	s_set_inst_prefetch_distance 0x2
	s_or_b32 exec_lo, exec_lo, s7
.LBB20_96:
	v_lshlrev_b64 v[14:15], 3, v[12:13]
	s_mov_b32 s7, exec_lo
	s_delay_alu instid0(VALU_DEP_1) | instskip(NEXT) | instid1(VALU_DEP_2)
	v_add_co_u32 v14, vcc_lo, s8, v14
	v_add_co_ci_u32_e32 v15, vcc_lo, s9, v15, vcc_lo
	global_load_b64 v[14:15], v[14:15], off
	global_load_b64 v[16:17], v[10:11], off offset:2048
	s_waitcnt vmcnt(1)
	v_sub_co_u32 v14, vcc_lo, v14, s24
	v_subrev_co_ci_u32_e32 v15, vcc_lo, 0, v15, vcc_lo
	s_delay_alu instid0(VALU_DEP_1) | instskip(SKIP_4) | instid1(VALU_DEP_1)
	v_cmp_gt_i64_e32 vcc_lo, v[14:15], v[2:3]
	v_dual_cndmask_b32 v5, v13, v5 :: v_dual_cndmask_b32 v4, v12, v4
	s_waitcnt vmcnt(0)
	v_sub_co_u32 v12, vcc_lo, v16, s24
	v_subrev_co_ci_u32_e32 v13, vcc_lo, 0, v17, vcc_lo
	v_cmpx_ne_u64_e64 v[12:13], v[4:5]
	s_cbranch_execz .LBB20_106
; %bb.97:
	s_load_b64 s[34:35], s[10:11], 0x0
	s_waitcnt lgkmcnt(0)
	s_sub_u32 s34, s34, s24
	s_subb_u32 s35, s35, 0
	s_delay_alu instid0(SALU_CYCLE_1)
	v_cmp_gt_i64_e32 vcc_lo, s[34:35], v[2:3]
	s_and_b32 exec_lo, exec_lo, vcc_lo
	s_cbranch_execz .LBB20_106
; %bb.98:
	v_cmp_gt_i64_e32 vcc_lo, s[12:13], v[12:13]
	v_cmp_le_i64_e64 s0, s[18:19], v[12:13]
	v_lshlrev_b64 v[2:3], 3, v[4:5]
	s_delay_alu instid0(VALU_DEP_2) | instskip(NEXT) | instid1(SALU_CYCLE_1)
	s_or_b32 s0, vcc_lo, s0
	s_and_saveexec_b32 s25, s0
	s_delay_alu instid0(SALU_CYCLE_1)
	s_xor_b32 s0, exec_lo, s25
	s_cbranch_execz .LBB20_102
; %bb.99:
	s_delay_alu instid0(VALU_DEP_1)
	v_add_co_u32 v2, vcc_lo, s14, v2
	v_add_co_ci_u32_e32 v3, vcc_lo, s15, v3, vcc_lo
	v_lshlrev_b64 v[4:5], 3, v[12:13]
	ds_load_b64 v[16:17], v18 offset:2048
	s_mov_b32 s25, 0
	global_load_b64 v[2:3], v[2:3], off
	v_add_co_u32 v14, vcc_lo, s20, v4
	v_add_co_ci_u32_e32 v15, vcc_lo, s21, v5, vcc_lo
	global_load_b64 v[4:5], v[14:15], off
	s_waitcnt vmcnt(1) lgkmcnt(0)
	v_mul_f64 v[16:17], v[16:17], v[2:3]
.LBB20_100:                             ; =>This Inner Loop Header: Depth=1
	s_waitcnt vmcnt(0)
	s_delay_alu instid0(VALU_DEP_1)
	v_add_f64 v[2:3], v[4:5], v[16:17]
	global_atomic_cmpswap_b64 v[2:3], v[14:15], v[2:5], off glc
	s_waitcnt vmcnt(0)
	v_cmp_eq_u64_e32 vcc_lo, v[2:3], v[4:5]
	v_dual_mov_b32 v5, v3 :: v_dual_mov_b32 v4, v2
	s_or_b32 s25, vcc_lo, s25
	s_delay_alu instid0(SALU_CYCLE_1)
	s_and_not1_b32 exec_lo, exec_lo, s25
	s_cbranch_execnz .LBB20_100
; %bb.101:
	s_or_b32 exec_lo, exec_lo, s25
                                        ; implicit-def: $vgpr2_vgpr3
.LBB20_102:
	s_and_not1_saveexec_b32 s0, s0
	s_cbranch_execz .LBB20_106
; %bb.103:
	v_add_co_u32 v2, vcc_lo, s14, v2
	v_add_co_ci_u32_e32 v3, vcc_lo, s15, v3, vcc_lo
	ds_load_b64 v[4:5], v18 offset:2048
	s_mov_b32 s0, 0
	global_load_b64 v[2:3], v[2:3], off
	s_waitcnt vmcnt(0) lgkmcnt(0)
	v_mul_f64 v[2:3], v[4:5], v[2:3]
	v_subrev_nc_u32_e32 v4, s12, v12
	s_delay_alu instid0(VALU_DEP_1)
	v_lshl_add_u32 v14, v4, 3, 0x2000
	ds_load_b64 v[4:5], v14
.LBB20_104:                             ; =>This Inner Loop Header: Depth=1
	s_waitcnt lgkmcnt(0)
	v_add_f64 v[15:16], v[4:5], v[2:3]
	ds_cmpstore_rtn_b64 v[15:16], v14, v[15:16], v[4:5]
	s_waitcnt lgkmcnt(0)
	v_cmp_eq_u64_e32 vcc_lo, v[15:16], v[4:5]
	v_dual_mov_b32 v4, v15 :: v_dual_mov_b32 v5, v16
	s_or_b32 s0, vcc_lo, s0
	s_delay_alu instid0(SALU_CYCLE_1)
	s_and_not1_b32 exec_lo, exec_lo, s0
	s_cbranch_execnz .LBB20_104
; %bb.105:
	s_or_b32 exec_lo, exec_lo, s0
.LBB20_106:
	s_delay_alu instid0(SALU_CYCLE_1)
	s_or_b32 exec_lo, exec_lo, s7
	v_lshlrev_b64 v[2:3], 3, v[12:13]
	ds_load_b64 v[4:5], v18 offset:2048
	v_dual_mov_b32 v12, s30 :: v_dual_mov_b32 v13, s31
	v_add_co_u32 v2, vcc_lo, s14, v2
	v_add_co_ci_u32_e32 v3, vcc_lo, s15, v3, vcc_lo
	v_cmp_ne_u32_e32 vcc_lo, 1, v19
	global_load_b64 v[2:3], v[2:3], off
	s_and_b32 vcc_lo, exec_lo, vcc_lo
	s_waitcnt vmcnt(0) lgkmcnt(0)
	v_mul_f64 v[14:15], v[2:3], v[4:5]
	v_add_co_u32 v2, s0, 0x200, v6
	s_delay_alu instid0(VALU_DEP_1)
	v_add_co_ci_u32_e64 v3, s0, 0, v7, s0
	v_dual_mov_b32 v4, s16 :: v_dual_mov_b32 v5, s17
	ds_store_b64 v18, v[14:15] offset:2048
	s_cbranch_vccnz .LBB20_110
; %bb.107:
	v_dual_mov_b32 v4, s16 :: v_dual_mov_b32 v5, s17
	v_dual_mov_b32 v12, s30 :: v_dual_mov_b32 v13, s31
	s_mov_b32 s7, 0
	s_set_inst_prefetch_distance 0x1
	.p2align	6
.LBB20_108:                             ; =>This Inner Loop Header: Depth=1
	s_delay_alu instid0(VALU_DEP_1) | instskip(NEXT) | instid1(VALU_DEP_2)
	v_add_co_u32 v6, vcc_lo, v12, v4
	v_add_co_ci_u32_e32 v7, vcc_lo, v13, v5, vcc_lo
	s_delay_alu instid0(VALU_DEP_1) | instskip(NEXT) | instid1(VALU_DEP_1)
	v_lshrrev_b32_e32 v14, 31, v7
	v_add_co_u32 v6, vcc_lo, v6, v14
	v_add_co_ci_u32_e32 v7, vcc_lo, 0, v7, vcc_lo
	s_delay_alu instid0(VALU_DEP_1) | instskip(NEXT) | instid1(VALU_DEP_1)
	v_ashrrev_i64 v[6:7], 1, v[6:7]
	v_lshlrev_b64 v[14:15], 3, v[6:7]
	s_delay_alu instid0(VALU_DEP_1) | instskip(NEXT) | instid1(VALU_DEP_2)
	v_add_co_u32 v14, vcc_lo, s8, v14
	v_add_co_ci_u32_e32 v15, vcc_lo, s9, v15, vcc_lo
	global_load_b64 v[14:15], v[14:15], off
	s_waitcnt vmcnt(0)
	v_sub_co_u32 v14, vcc_lo, v14, s24
	v_subrev_co_ci_u32_e32 v15, vcc_lo, 0, v15, vcc_lo
	s_delay_alu instid0(VALU_DEP_1) | instskip(SKIP_2) | instid1(VALU_DEP_2)
	v_cmp_gt_i64_e32 vcc_lo, v[14:15], v[2:3]
	v_dual_cndmask_b32 v13, v13, v7 :: v_dual_cndmask_b32 v12, v12, v6
	v_dual_cndmask_b32 v5, v7, v5 :: v_dual_cndmask_b32 v4, v6, v4
	v_add_co_u32 v6, vcc_lo, v12, -1
	s_delay_alu instid0(VALU_DEP_3) | instskip(NEXT) | instid1(VALU_DEP_3)
	v_add_co_ci_u32_e32 v7, vcc_lo, -1, v13, vcc_lo
	v_cmp_ge_i64_e32 vcc_lo, v[4:5], v[12:13]
	s_delay_alu instid0(VALU_DEP_2) | instskip(NEXT) | instid1(VALU_DEP_1)
	v_cmp_eq_u64_e64 s0, v[4:5], v[6:7]
	s_or_b32 s0, vcc_lo, s0
	s_delay_alu instid0(SALU_CYCLE_1) | instskip(NEXT) | instid1(SALU_CYCLE_1)
	s_and_b32 s0, exec_lo, s0
	s_or_b32 s7, s0, s7
	s_delay_alu instid0(SALU_CYCLE_1)
	s_and_not1_b32 exec_lo, exec_lo, s7
	s_cbranch_execnz .LBB20_108
; %bb.109:
	s_set_inst_prefetch_distance 0x2
	s_or_b32 exec_lo, exec_lo, s7
.LBB20_110:
	v_lshlrev_b64 v[6:7], 3, v[12:13]
	s_mov_b32 s7, exec_lo
	s_delay_alu instid0(VALU_DEP_1) | instskip(NEXT) | instid1(VALU_DEP_2)
	v_add_co_u32 v6, vcc_lo, s8, v6
	v_add_co_ci_u32_e32 v7, vcc_lo, s9, v7, vcc_lo
	global_load_b64 v[14:15], v[6:7], off
	v_add_co_u32 v6, vcc_lo, 0x1000, v10
	v_add_co_ci_u32_e32 v7, vcc_lo, 0, v11, vcc_lo
	global_load_b64 v[10:11], v[6:7], off
	s_waitcnt vmcnt(1)
	v_sub_co_u32 v14, vcc_lo, v14, s24
	v_subrev_co_ci_u32_e32 v15, vcc_lo, 0, v15, vcc_lo
	s_delay_alu instid0(VALU_DEP_1) | instskip(SKIP_4) | instid1(VALU_DEP_1)
	v_cmp_gt_i64_e32 vcc_lo, v[14:15], v[2:3]
	v_dual_cndmask_b32 v5, v13, v5 :: v_dual_cndmask_b32 v4, v12, v4
	s_waitcnt vmcnt(0)
	v_sub_co_u32 v10, vcc_lo, v10, s24
	v_subrev_co_ci_u32_e32 v11, vcc_lo, 0, v11, vcc_lo
	v_cmpx_ne_u64_e64 v[10:11], v[4:5]
	s_cbranch_execz .LBB20_120
; %bb.111:
	s_load_b64 s[34:35], s[10:11], 0x0
	s_waitcnt lgkmcnt(0)
	s_sub_u32 s34, s34, s24
	s_subb_u32 s35, s35, 0
	s_delay_alu instid0(SALU_CYCLE_1)
	v_cmp_gt_i64_e32 vcc_lo, s[34:35], v[2:3]
	s_and_b32 exec_lo, exec_lo, vcc_lo
	s_cbranch_execz .LBB20_120
; %bb.112:
	v_cmp_gt_i64_e32 vcc_lo, s[12:13], v[10:11]
	v_cmp_le_i64_e64 s0, s[18:19], v[10:11]
	v_lshlrev_b64 v[2:3], 3, v[4:5]
	s_delay_alu instid0(VALU_DEP_2) | instskip(NEXT) | instid1(SALU_CYCLE_1)
	s_or_b32 s0, vcc_lo, s0
	s_and_saveexec_b32 s25, s0
	s_delay_alu instid0(SALU_CYCLE_1)
	s_xor_b32 s0, exec_lo, s25
	s_cbranch_execz .LBB20_116
; %bb.113:
	s_delay_alu instid0(VALU_DEP_1)
	v_add_co_u32 v2, vcc_lo, s14, v2
	v_add_co_ci_u32_e32 v3, vcc_lo, s15, v3, vcc_lo
	v_lshlrev_b64 v[4:5], 3, v[10:11]
	ds_load_b64 v[14:15], v18 offset:4096
	s_mov_b32 s25, 0
	global_load_b64 v[2:3], v[2:3], off
	v_add_co_u32 v12, vcc_lo, s20, v4
	v_add_co_ci_u32_e32 v13, vcc_lo, s21, v5, vcc_lo
	global_load_b64 v[4:5], v[12:13], off
	s_waitcnt vmcnt(1) lgkmcnt(0)
	v_mul_f64 v[14:15], v[14:15], v[2:3]
.LBB20_114:                             ; =>This Inner Loop Header: Depth=1
	s_waitcnt vmcnt(0)
	s_delay_alu instid0(VALU_DEP_1)
	v_add_f64 v[2:3], v[4:5], v[14:15]
	global_atomic_cmpswap_b64 v[2:3], v[12:13], v[2:5], off glc
	s_waitcnt vmcnt(0)
	v_cmp_eq_u64_e32 vcc_lo, v[2:3], v[4:5]
	v_dual_mov_b32 v5, v3 :: v_dual_mov_b32 v4, v2
	s_or_b32 s25, vcc_lo, s25
	s_delay_alu instid0(SALU_CYCLE_1)
	s_and_not1_b32 exec_lo, exec_lo, s25
	s_cbranch_execnz .LBB20_114
; %bb.115:
	s_or_b32 exec_lo, exec_lo, s25
                                        ; implicit-def: $vgpr2_vgpr3
.LBB20_116:
	s_and_not1_saveexec_b32 s0, s0
	s_cbranch_execz .LBB20_120
; %bb.117:
	v_add_co_u32 v2, vcc_lo, s14, v2
	v_add_co_ci_u32_e32 v3, vcc_lo, s15, v3, vcc_lo
	ds_load_b64 v[4:5], v18 offset:4096
	s_mov_b32 s0, 0
	global_load_b64 v[2:3], v[2:3], off
	s_waitcnt vmcnt(0) lgkmcnt(0)
	v_mul_f64 v[2:3], v[4:5], v[2:3]
	v_subrev_nc_u32_e32 v4, s12, v10
	s_delay_alu instid0(VALU_DEP_1)
	v_lshl_add_u32 v12, v4, 3, 0x2000
	ds_load_b64 v[4:5], v12
.LBB20_118:                             ; =>This Inner Loop Header: Depth=1
	s_waitcnt lgkmcnt(0)
	v_add_f64 v[13:14], v[4:5], v[2:3]
	ds_cmpstore_rtn_b64 v[13:14], v12, v[13:14], v[4:5]
	s_waitcnt lgkmcnt(0)
	v_cmp_eq_u64_e32 vcc_lo, v[13:14], v[4:5]
	v_dual_mov_b32 v4, v13 :: v_dual_mov_b32 v5, v14
	s_or_b32 s0, vcc_lo, s0
	s_delay_alu instid0(SALU_CYCLE_1)
	s_and_not1_b32 exec_lo, exec_lo, s0
	s_cbranch_execnz .LBB20_118
; %bb.119:
	s_or_b32 exec_lo, exec_lo, s0
.LBB20_120:
	s_delay_alu instid0(SALU_CYCLE_1)
	s_or_b32 exec_lo, exec_lo, s7
	v_lshlrev_b64 v[2:3], 3, v[10:11]
	ds_load_b64 v[4:5], v18 offset:4096
	v_add_co_u32 v2, vcc_lo, s14, v2
	v_add_co_ci_u32_e32 v3, vcc_lo, s15, v3, vcc_lo
	v_cmp_ne_u32_e32 vcc_lo, 1, v19
	global_load_b64 v[2:3], v[2:3], off
	s_and_b32 vcc_lo, exec_lo, vcc_lo
	s_waitcnt vmcnt(0) lgkmcnt(0)
	v_mul_f64 v[10:11], v[2:3], v[4:5]
	v_dual_mov_b32 v2, s16 :: v_dual_mov_b32 v3, s17
	v_dual_mov_b32 v4, s30 :: v_dual_mov_b32 v5, s31
	ds_store_b64 v18, v[10:11] offset:4096
	s_cbranch_vccnz .LBB20_124
; %bb.121:
	v_dual_mov_b32 v2, s16 :: v_dual_mov_b32 v3, s17
	v_dual_mov_b32 v4, s30 :: v_dual_mov_b32 v5, s31
	s_mov_b32 s7, 0
	s_set_inst_prefetch_distance 0x1
	.p2align	6
.LBB20_122:                             ; =>This Inner Loop Header: Depth=1
	s_delay_alu instid0(VALU_DEP_1) | instskip(NEXT) | instid1(VALU_DEP_2)
	v_add_co_u32 v10, vcc_lo, v4, v2
	v_add_co_ci_u32_e32 v11, vcc_lo, v5, v3, vcc_lo
	s_delay_alu instid0(VALU_DEP_1) | instskip(NEXT) | instid1(VALU_DEP_1)
	v_lshrrev_b32_e32 v12, 31, v11
	v_add_co_u32 v10, vcc_lo, v10, v12
	v_add_co_ci_u32_e32 v11, vcc_lo, 0, v11, vcc_lo
	s_delay_alu instid0(VALU_DEP_1) | instskip(NEXT) | instid1(VALU_DEP_1)
	v_ashrrev_i64 v[10:11], 1, v[10:11]
	v_lshlrev_b64 v[12:13], 3, v[10:11]
	s_delay_alu instid0(VALU_DEP_1) | instskip(NEXT) | instid1(VALU_DEP_2)
	v_add_co_u32 v12, vcc_lo, s8, v12
	v_add_co_ci_u32_e32 v13, vcc_lo, s9, v13, vcc_lo
	global_load_b64 v[12:13], v[12:13], off
	s_waitcnt vmcnt(0)
	v_sub_co_u32 v12, vcc_lo, v12, s24
	v_subrev_co_ci_u32_e32 v13, vcc_lo, 0, v13, vcc_lo
	s_delay_alu instid0(VALU_DEP_1) | instskip(SKIP_2) | instid1(VALU_DEP_2)
	v_cmp_gt_i64_e32 vcc_lo, v[12:13], v[8:9]
	v_dual_cndmask_b32 v5, v5, v11 :: v_dual_cndmask_b32 v4, v4, v10
	v_dual_cndmask_b32 v3, v11, v3 :: v_dual_cndmask_b32 v2, v10, v2
	v_add_co_u32 v10, vcc_lo, v4, -1
	s_delay_alu instid0(VALU_DEP_3) | instskip(NEXT) | instid1(VALU_DEP_3)
	v_add_co_ci_u32_e32 v11, vcc_lo, -1, v5, vcc_lo
	v_cmp_ge_i64_e32 vcc_lo, v[2:3], v[4:5]
	s_delay_alu instid0(VALU_DEP_2) | instskip(NEXT) | instid1(VALU_DEP_1)
	v_cmp_eq_u64_e64 s0, v[2:3], v[10:11]
	s_or_b32 s0, vcc_lo, s0
	s_delay_alu instid0(SALU_CYCLE_1) | instskip(NEXT) | instid1(SALU_CYCLE_1)
	s_and_b32 s0, exec_lo, s0
	s_or_b32 s7, s0, s7
	s_delay_alu instid0(SALU_CYCLE_1)
	s_and_not1_b32 exec_lo, exec_lo, s7
	s_cbranch_execnz .LBB20_122
; %bb.123:
	s_set_inst_prefetch_distance 0x2
	s_or_b32 exec_lo, exec_lo, s7
.LBB20_124:
	v_lshlrev_b64 v[10:11], 3, v[4:5]
	s_mov_b32 s7, exec_lo
	s_delay_alu instid0(VALU_DEP_1) | instskip(NEXT) | instid1(VALU_DEP_2)
	v_add_co_u32 v10, vcc_lo, s8, v10
	v_add_co_ci_u32_e32 v11, vcc_lo, s9, v11, vcc_lo
	global_load_b64 v[10:11], v[10:11], off
	global_load_b64 v[6:7], v[6:7], off offset:2048
	s_waitcnt vmcnt(1)
	v_sub_co_u32 v10, vcc_lo, v10, s24
	v_subrev_co_ci_u32_e32 v11, vcc_lo, 0, v11, vcc_lo
	s_delay_alu instid0(VALU_DEP_1) | instskip(SKIP_4) | instid1(VALU_DEP_1)
	v_cmp_gt_i64_e32 vcc_lo, v[10:11], v[8:9]
	v_dual_cndmask_b32 v3, v5, v3 :: v_dual_cndmask_b32 v2, v4, v2
	s_waitcnt vmcnt(0)
	v_sub_co_u32 v6, vcc_lo, v6, s24
	v_subrev_co_ci_u32_e32 v7, vcc_lo, 0, v7, vcc_lo
	v_cmpx_ne_u64_e64 v[6:7], v[2:3]
	s_cbranch_execz .LBB20_134
; %bb.125:
	s_load_b64 s[10:11], s[10:11], 0x0
	s_waitcnt lgkmcnt(0)
	s_sub_u32 s10, s10, s24
	s_subb_u32 s11, s11, 0
	s_delay_alu instid0(SALU_CYCLE_1)
	v_cmp_gt_i64_e32 vcc_lo, s[10:11], v[8:9]
	s_and_b32 exec_lo, exec_lo, vcc_lo
	s_cbranch_execz .LBB20_134
; %bb.126:
	v_cmp_gt_i64_e32 vcc_lo, s[12:13], v[6:7]
	v_cmp_le_i64_e64 s0, s[18:19], v[6:7]
	v_lshlrev_b64 v[2:3], 3, v[2:3]
	s_delay_alu instid0(VALU_DEP_2) | instskip(NEXT) | instid1(SALU_CYCLE_1)
	s_or_b32 s0, vcc_lo, s0
	s_and_saveexec_b32 s10, s0
	s_delay_alu instid0(SALU_CYCLE_1)
	s_xor_b32 s0, exec_lo, s10
	s_cbranch_execz .LBB20_130
; %bb.127:
	s_delay_alu instid0(VALU_DEP_1)
	v_add_co_u32 v2, vcc_lo, s14, v2
	v_add_co_ci_u32_e32 v3, vcc_lo, s15, v3, vcc_lo
	v_lshlrev_b64 v[4:5], 3, v[6:7]
	ds_load_b64 v[10:11], v18 offset:6144
	s_mov_b32 s10, 0
	global_load_b64 v[2:3], v[2:3], off
	v_add_co_u32 v8, vcc_lo, s20, v4
	v_add_co_ci_u32_e32 v9, vcc_lo, s21, v5, vcc_lo
	global_load_b64 v[4:5], v[8:9], off
	s_waitcnt vmcnt(1) lgkmcnt(0)
	v_mul_f64 v[10:11], v[10:11], v[2:3]
.LBB20_128:                             ; =>This Inner Loop Header: Depth=1
	s_waitcnt vmcnt(0)
	s_delay_alu instid0(VALU_DEP_1)
	v_add_f64 v[2:3], v[4:5], v[10:11]
	global_atomic_cmpswap_b64 v[2:3], v[8:9], v[2:5], off glc
	s_waitcnt vmcnt(0)
	v_cmp_eq_u64_e32 vcc_lo, v[2:3], v[4:5]
	v_dual_mov_b32 v5, v3 :: v_dual_mov_b32 v4, v2
	s_or_b32 s10, vcc_lo, s10
	s_delay_alu instid0(SALU_CYCLE_1)
	s_and_not1_b32 exec_lo, exec_lo, s10
	s_cbranch_execnz .LBB20_128
; %bb.129:
	s_or_b32 exec_lo, exec_lo, s10
                                        ; implicit-def: $vgpr2_vgpr3
.LBB20_130:
	s_and_not1_saveexec_b32 s0, s0
	s_cbranch_execz .LBB20_134
; %bb.131:
	v_add_co_u32 v2, vcc_lo, s14, v2
	v_add_co_ci_u32_e32 v3, vcc_lo, s15, v3, vcc_lo
	ds_load_b64 v[4:5], v18 offset:6144
	s_mov_b32 s0, 0
	global_load_b64 v[2:3], v[2:3], off
	s_waitcnt vmcnt(0) lgkmcnt(0)
	v_mul_f64 v[2:3], v[4:5], v[2:3]
	v_subrev_nc_u32_e32 v4, s12, v6
	s_delay_alu instid0(VALU_DEP_1)
	v_lshl_add_u32 v8, v4, 3, 0x2000
	ds_load_b64 v[4:5], v8
.LBB20_132:                             ; =>This Inner Loop Header: Depth=1
	s_waitcnt lgkmcnt(0)
	v_add_f64 v[9:10], v[4:5], v[2:3]
	ds_cmpstore_rtn_b64 v[9:10], v8, v[9:10], v[4:5]
	s_waitcnt lgkmcnt(0)
	v_cmp_eq_u64_e32 vcc_lo, v[9:10], v[4:5]
	v_dual_mov_b32 v4, v9 :: v_dual_mov_b32 v5, v10
	s_or_b32 s0, vcc_lo, s0
	s_delay_alu instid0(SALU_CYCLE_1)
	s_and_not1_b32 exec_lo, exec_lo, s0
	s_cbranch_execnz .LBB20_132
; %bb.133:
	s_or_b32 exec_lo, exec_lo, s0
.LBB20_134:
	s_delay_alu instid0(SALU_CYCLE_1)
	s_or_b32 exec_lo, exec_lo, s7
	v_lshlrev_b64 v[2:3], 3, v[6:7]
	ds_load_b64 v[4:5], v18 offset:6144
	v_add_co_u32 v2, vcc_lo, s14, v2
	v_add_co_ci_u32_e32 v3, vcc_lo, s15, v3, vcc_lo
	global_load_b64 v[2:3], v[2:3], off
	s_waitcnt vmcnt(0) lgkmcnt(0)
	v_mul_f64 v[2:3], v[2:3], v[4:5]
	ds_store_b64 v18, v[2:3] offset:6144
.LBB20_135:
	s_or_b32 exec_lo, exec_lo, s1
	v_cmp_lt_i64_e64 s0, s[18:19], s[2:3]
	s_waitcnt lgkmcnt(0)
	s_barrier
	buffer_gl0_inv
	s_and_b32 s0, s0, exec_lo
	s_cselect_b32 s1, s18, s2
	s_cselect_b32 s0, s19, s3
	s_sub_u32 s2, s1, s22
	s_subb_u32 s3, s0, s23
	s_mov_b32 s0, exec_lo
	v_cmpx_gt_i64_e64 s[2:3], v[0:1]
	s_cbranch_execz .LBB20_140
; %bb.136:
	s_lshl_b64 s[10:11], s[12:13], 3
	v_dual_mov_b32 v7, v1 :: v_dual_mov_b32 v6, v0
	s_add_u32 s7, s20, s10
	s_addc_u32 s10, s21, s11
	s_mov_b32 s11, 0
	.p2align	6
.LBB20_137:                             ; =>This Loop Header: Depth=1
                                        ;     Child Loop BB20_138 Depth 2
	s_delay_alu instid0(VALU_DEP_1) | instskip(SKIP_1) | instid1(VALU_DEP_1)
	v_lshlrev_b64 v[2:3], 3, v[6:7]
	s_mov_b32 s12, 0
	v_add_co_u32 v8, vcc_lo, s7, v2
	s_delay_alu instid0(VALU_DEP_2)
	v_add_co_ci_u32_e32 v9, vcc_lo, s10, v3, vcc_lo
	v_lshl_add_u32 v2, v6, 3, 0x2000
	global_load_b64 v[4:5], v[8:9], off
	ds_load_b64 v[10:11], v2
.LBB20_138:                             ;   Parent Loop BB20_137 Depth=1
                                        ; =>  This Inner Loop Header: Depth=2
	s_waitcnt vmcnt(0) lgkmcnt(0)
	v_add_f64 v[2:3], v[4:5], v[10:11]
	global_atomic_cmpswap_b64 v[2:3], v[8:9], v[2:5], off glc
	s_waitcnt vmcnt(0)
	v_cmp_eq_u64_e32 vcc_lo, v[2:3], v[4:5]
	v_dual_mov_b32 v5, v3 :: v_dual_mov_b32 v4, v2
	s_or_b32 s12, vcc_lo, s12
	s_delay_alu instid0(SALU_CYCLE_1)
	s_and_not1_b32 exec_lo, exec_lo, s12
	s_cbranch_execnz .LBB20_138
; %bb.139:                              ;   in Loop: Header=BB20_137 Depth=1
	s_or_b32 exec_lo, exec_lo, s12
	v_add_co_u32 v6, vcc_lo, 0x100, v6
	v_add_co_ci_u32_e32 v7, vcc_lo, 0, v7, vcc_lo
	s_delay_alu instid0(VALU_DEP_1) | instskip(SKIP_1) | instid1(SALU_CYCLE_1)
	v_cmp_le_i64_e32 vcc_lo, s[2:3], v[6:7]
	s_or_b32 s11, vcc_lo, s11
	s_and_not1_b32 exec_lo, exec_lo, s11
	s_cbranch_execnz .LBB20_137
.LBB20_140:
	s_or_b32 exec_lo, exec_lo, s0
	s_add_i32 s0, s28, -1
	v_add_co_u32 v6, s10, s16, v0
	s_ashr_i32 s3, s0, 1
	v_add_co_ci_u32_e64 v7, null, s17, 0, s10
	s_or_b32 s0, s3, s0
	s_delay_alu instid0(SALU_CYCLE_1) | instskip(SKIP_4) | instid1(SALU_CYCLE_1)
	s_ashr_i32 s3, s0, 2
	s_barrier
	s_or_b32 s0, s3, s0
	buffer_gl0_inv
	s_ashr_i32 s3, s0, 4
	s_or_b32 s0, s3, s0
	s_delay_alu instid0(SALU_CYCLE_1) | instskip(NEXT) | instid1(SALU_CYCLE_1)
	s_ashr_i32 s3, s0, 8
	s_or_b32 s0, s3, s0
	s_delay_alu instid0(SALU_CYCLE_1) | instskip(NEXT) | instid1(SALU_CYCLE_1)
	s_ashr_i32 s3, s0, 16
	s_or_b32 s3, s3, s0
	s_mov_b32 s0, -1
	s_add_i32 s3, s3, 1
	s_delay_alu instid0(SALU_CYCLE_1) | instskip(NEXT) | instid1(SALU_CYCLE_1)
	s_ashr_i32 s7, s3, 1
	s_cmp_gt_i32 s7, 1
	s_cbranch_scc1 .LBB20_151
; %bb.141:
	s_mov_b32 s0, exec_lo
	v_cmpx_gt_i64_e64 s[18:19], v[6:7]
	s_cbranch_execz .LBB20_150
; %bb.142:
	s_sub_i32 s1, s1, s18
	v_dual_mov_b32 v9, v7 :: v_dual_mov_b32 v8, v6
	s_lshl_b32 s11, s4, 3
	s_lshl_b32 s1, s1, 3
	s_mov_b32 s10, 0
	s_addk_i32 s1, 0x2000
	s_sub_i32 s11, 0, s11
.LBB20_143:                             ; =>This Loop Header: Depth=1
                                        ;     Child Loop BB20_145 Depth 2
                                        ;     Child Loop BB20_148 Depth 2
	v_lshlrev_b64 v[10:11], 3, v[8:9]
	v_mov_b32_e32 v12, 0
	v_mov_b32_e32 v13, 0
	s_mov_b32 s12, exec_lo
	s_delay_alu instid0(VALU_DEP_3) | instskip(NEXT) | instid1(VALU_DEP_4)
	v_add_co_u32 v2, vcc_lo, s8, v10
	v_add_co_ci_u32_e32 v3, vcc_lo, s9, v11, vcc_lo
	global_load_b128 v[2:5], v[2:3], off
	s_waitcnt vmcnt(0)
	v_cmpx_lt_i64_e64 v[2:3], v[4:5]
	s_cbranch_execz .LBB20_147
; %bb.144:                              ;   in Loop: Header=BB20_143 Depth=1
	v_sub_co_u32 v4, vcc_lo, v4, s4
	v_subrev_co_ci_u32_e32 v5, vcc_lo, s5, v5, vcc_lo
	v_sub_co_u32 v14, vcc_lo, v2, s4
	v_mov_b32_e32 v12, 0
	v_subrev_co_ci_u32_e32 v15, vcc_lo, s5, v3, vcc_lo
	v_mov_b32_e32 v13, 0
	v_lshl_add_u32 v2, v2, 3, s11
	s_mov_b32 s13, 0
.LBB20_145:                             ;   Parent Loop BB20_143 Depth=1
                                        ; =>  This Inner Loop Header: Depth=2
	ds_load_b64 v[16:17], v2
	v_add_co_u32 v14, vcc_lo, v14, 1
	v_add_co_ci_u32_e32 v15, vcc_lo, 0, v15, vcc_lo
	v_add_nc_u32_e32 v2, 8, v2
	s_delay_alu instid0(VALU_DEP_2)
	v_cmp_ge_i64_e32 vcc_lo, v[14:15], v[4:5]
	s_or_b32 s13, vcc_lo, s13
	s_waitcnt lgkmcnt(0)
	v_add_f64 v[12:13], v[12:13], v[16:17]
	s_and_not1_b32 exec_lo, exec_lo, s13
	s_cbranch_execnz .LBB20_145
; %bb.146:                              ;   in Loop: Header=BB20_143 Depth=1
	s_or_b32 exec_lo, exec_lo, s13
.LBB20_147:                             ;   in Loop: Header=BB20_143 Depth=1
	s_delay_alu instid0(SALU_CYCLE_1)
	s_or_b32 exec_lo, exec_lo, s12
	v_add_co_u32 v10, vcc_lo, s20, v10
	v_add_co_ci_u32_e32 v11, vcc_lo, s21, v11, vcc_lo
	v_lshl_add_u32 v2, v8, 3, s1
	s_mov_b32 s12, 0
	global_load_b64 v[4:5], v[10:11], off
	ds_load_b64 v[2:3], v2
	s_waitcnt lgkmcnt(0)
	v_add_f64 v[12:13], v[12:13], v[2:3]
.LBB20_148:                             ;   Parent Loop BB20_143 Depth=1
                                        ; =>  This Inner Loop Header: Depth=2
	s_waitcnt vmcnt(0)
	s_delay_alu instid0(VALU_DEP_1)
	v_add_f64 v[2:3], v[4:5], v[12:13]
	global_atomic_cmpswap_b64 v[2:3], v[10:11], v[2:5], off glc
	s_waitcnt vmcnt(0)
	v_cmp_eq_u64_e32 vcc_lo, v[2:3], v[4:5]
	v_dual_mov_b32 v5, v3 :: v_dual_mov_b32 v4, v2
	s_or_b32 s12, vcc_lo, s12
	s_delay_alu instid0(SALU_CYCLE_1)
	s_and_not1_b32 exec_lo, exec_lo, s12
	s_cbranch_execnz .LBB20_148
; %bb.149:                              ;   in Loop: Header=BB20_143 Depth=1
	s_or_b32 exec_lo, exec_lo, s12
	v_add_co_u32 v8, vcc_lo, v8, s6
	v_add_co_ci_u32_e32 v9, vcc_lo, 0, v9, vcc_lo
	s_delay_alu instid0(VALU_DEP_1) | instskip(SKIP_1) | instid1(SALU_CYCLE_1)
	v_cmp_le_i64_e32 vcc_lo, s[18:19], v[8:9]
	s_or_b32 s10, vcc_lo, s10
	s_and_not1_b32 exec_lo, exec_lo, s10
	s_cbranch_execnz .LBB20_143
.LBB20_150:
	s_or_b32 exec_lo, exec_lo, s0
	s_mov_b32 s0, 0
.LBB20_151:
	s_delay_alu instid0(SALU_CYCLE_1)
	s_and_not1_b32 vcc_lo, exec_lo, s0
	s_cbranch_vccnz .LBB20_180
; %bb.152:
	v_cvt_f32_u32_e32 v13, s7
	s_sub_i32 s1, 0, s7
	v_mov_b32_e32 v11, 0
	s_delay_alu instid0(VALU_DEP_2) | instskip(SKIP_2) | instid1(VALU_DEP_1)
	v_rcp_iflag_f32_e32 v2, v13
	s_waitcnt_depctr 0xfff
	v_mul_f32_e32 v2, 0x4f7ffffe, v2
	v_cvt_u32_f32_e32 v2, v2
	s_delay_alu instid0(VALU_DEP_1) | instskip(NEXT) | instid1(VALU_DEP_1)
	v_mul_lo_u32 v3, s1, v2
	v_mul_hi_u32 v3, v2, v3
	s_delay_alu instid0(VALU_DEP_1) | instskip(NEXT) | instid1(VALU_DEP_1)
	v_add_nc_u32_e32 v2, v2, v3
	v_mul_hi_u32 v2, v0, v2
	s_delay_alu instid0(VALU_DEP_1) | instskip(SKIP_1) | instid1(VALU_DEP_2)
	v_mul_lo_u32 v3, v2, s7
	v_add_nc_u32_e32 v4, 1, v2
	v_sub_nc_u32_e32 v3, v0, v3
	s_delay_alu instid0(VALU_DEP_1) | instskip(SKIP_1) | instid1(VALU_DEP_2)
	v_subrev_nc_u32_e32 v5, s7, v3
	v_cmp_le_u32_e32 vcc_lo, s7, v3
	v_dual_cndmask_b32 v2, v2, v4 :: v_dual_cndmask_b32 v3, v3, v5
	s_delay_alu instid0(VALU_DEP_1) | instskip(NEXT) | instid1(VALU_DEP_2)
	v_add_nc_u32_e32 v4, 1, v2
	v_cmp_le_u32_e32 vcc_lo, s7, v3
	s_delay_alu instid0(VALU_DEP_2) | instskip(NEXT) | instid1(VALU_DEP_1)
	v_cndmask_b32_e32 v10, v2, v4, vcc_lo
	v_lshlrev_b64 v[2:3], 3, v[10:11]
	s_delay_alu instid0(VALU_DEP_1) | instskip(NEXT) | instid1(VALU_DEP_2)
	v_add_co_u32 v2, vcc_lo, s26, v2
	v_add_co_ci_u32_e32 v3, vcc_lo, s27, v3, vcc_lo
	global_load_b128 v[2:5], v[2:3], off
	s_waitcnt vmcnt(0)
	v_sub_co_u32 v8, vcc_lo, v2, s4
	v_subrev_co_ci_u32_e32 v9, vcc_lo, s5, v3, vcc_lo
	v_sub_co_u32 v16, vcc_lo, v4, s4
	v_subrev_co_ci_u32_e32 v17, vcc_lo, s5, v5, vcc_lo
	v_mov_b32_e32 v4, v11
	s_delay_alu instid0(VALU_DEP_3) | instskip(NEXT) | instid1(VALU_DEP_3)
	v_sub_co_u32 v12, vcc_lo, v16, v8
	v_sub_co_ci_u32_e32 v5, vcc_lo, v17, v9, vcc_lo
	s_delay_alu instid0(VALU_DEP_1) | instskip(SKIP_1) | instid1(SALU_CYCLE_1)
	v_cmp_ne_u64_e32 vcc_lo, 0, v[4:5]
                                        ; implicit-def: $vgpr3_vgpr4
	s_and_saveexec_b32 s0, vcc_lo
	s_xor_b32 s5, exec_lo, s0
	s_cbranch_execz .LBB20_154
; %bb.153:
	v_cvt_f32_ubyte0_e32 v3, 0
	s_sub_u32 s0, 0, s7
	s_subb_u32 s6, 0, 0
	s_delay_alu instid0(VALU_DEP_1) | instskip(NEXT) | instid1(VALU_DEP_1)
	v_fmamk_f32 v3, v3, 0x4f800000, v13
	v_rcp_f32_e32 v3, v3
	s_waitcnt_depctr 0xfff
	v_mul_f32_e32 v3, 0x5f7ffffc, v3
	s_delay_alu instid0(VALU_DEP_1) | instskip(NEXT) | instid1(VALU_DEP_1)
	v_mul_f32_e32 v4, 0x2f800000, v3
	v_trunc_f32_e32 v4, v4
	s_delay_alu instid0(VALU_DEP_1) | instskip(SKIP_1) | instid1(VALU_DEP_2)
	v_fmamk_f32 v3, v4, 0xcf800000, v3
	v_cvt_u32_f32_e32 v4, v4
	v_cvt_u32_f32_e32 v3, v3
	s_delay_alu instid0(VALU_DEP_2) | instskip(NEXT) | instid1(VALU_DEP_2)
	v_mul_lo_u32 v13, s0, v4
	v_mul_hi_u32 v14, s0, v3
	v_mul_lo_u32 v15, s6, v3
	s_delay_alu instid0(VALU_DEP_2) | instskip(SKIP_1) | instid1(VALU_DEP_2)
	v_add_nc_u32_e32 v13, v14, v13
	v_mul_lo_u32 v14, s0, v3
	v_add_nc_u32_e32 v13, v13, v15
	s_delay_alu instid0(VALU_DEP_2) | instskip(NEXT) | instid1(VALU_DEP_2)
	v_mul_hi_u32 v15, v3, v14
	v_mul_lo_u32 v19, v3, v13
	v_mul_hi_u32 v20, v3, v13
	v_mul_hi_u32 v21, v4, v14
	v_mul_lo_u32 v14, v4, v14
	v_mul_hi_u32 v22, v4, v13
	v_mul_lo_u32 v13, v4, v13
	v_add_co_u32 v15, vcc_lo, v15, v19
	v_add_co_ci_u32_e32 v19, vcc_lo, 0, v20, vcc_lo
	s_delay_alu instid0(VALU_DEP_2) | instskip(NEXT) | instid1(VALU_DEP_2)
	v_add_co_u32 v14, vcc_lo, v15, v14
	v_add_co_ci_u32_e32 v14, vcc_lo, v19, v21, vcc_lo
	v_add_co_ci_u32_e32 v15, vcc_lo, 0, v22, vcc_lo
	v_ashrrev_i32_e32 v21, 31, v5
	s_delay_alu instid0(VALU_DEP_3) | instskip(NEXT) | instid1(VALU_DEP_3)
	v_add_co_u32 v13, vcc_lo, v14, v13
	v_add_co_ci_u32_e32 v14, vcc_lo, 0, v15, vcc_lo
	s_delay_alu instid0(VALU_DEP_2) | instskip(NEXT) | instid1(VALU_DEP_2)
	v_add_co_u32 v3, vcc_lo, v3, v13
	v_add_co_ci_u32_e32 v4, vcc_lo, v4, v14, vcc_lo
	s_delay_alu instid0(VALU_DEP_2) | instskip(SKIP_1) | instid1(VALU_DEP_3)
	v_mul_hi_u32 v13, s0, v3
	v_mul_lo_u32 v15, s6, v3
	v_mul_lo_u32 v14, s0, v4
	s_delay_alu instid0(VALU_DEP_1) | instskip(SKIP_1) | instid1(VALU_DEP_2)
	v_add_nc_u32_e32 v13, v13, v14
	v_mul_lo_u32 v14, s0, v3
	v_add_nc_u32_e32 v13, v13, v15
	s_delay_alu instid0(VALU_DEP_2) | instskip(NEXT) | instid1(VALU_DEP_2)
	v_mul_hi_u32 v15, v3, v14
	v_mul_lo_u32 v19, v3, v13
	v_mul_hi_u32 v20, v3, v13
	v_mul_hi_u32 v22, v4, v14
	v_mul_lo_u32 v14, v4, v14
	v_mul_hi_u32 v23, v4, v13
	v_mul_lo_u32 v13, v4, v13
	v_add_co_u32 v15, vcc_lo, v15, v19
	v_add_co_ci_u32_e32 v19, vcc_lo, 0, v20, vcc_lo
	s_delay_alu instid0(VALU_DEP_2) | instskip(NEXT) | instid1(VALU_DEP_2)
	v_add_co_u32 v14, vcc_lo, v15, v14
	v_add_co_ci_u32_e32 v14, vcc_lo, v19, v22, vcc_lo
	v_add_co_ci_u32_e32 v15, vcc_lo, 0, v23, vcc_lo
	v_add_co_u32 v12, vcc_lo, v12, v21
	v_add_co_ci_u32_e32 v5, vcc_lo, v5, v21, vcc_lo
	s_delay_alu instid0(VALU_DEP_4) | instskip(NEXT) | instid1(VALU_DEP_4)
	v_add_co_u32 v13, vcc_lo, v14, v13
	v_add_co_ci_u32_e32 v14, vcc_lo, 0, v15, vcc_lo
	s_delay_alu instid0(VALU_DEP_4) | instskip(NEXT) | instid1(VALU_DEP_3)
	v_xor_b32_e32 v19, v12, v21
	v_add_co_u32 v15, vcc_lo, v3, v13
	s_delay_alu instid0(VALU_DEP_3) | instskip(SKIP_1) | instid1(VALU_DEP_3)
	v_add_co_ci_u32_e32 v20, vcc_lo, v4, v14, vcc_lo
	v_xor_b32_e32 v5, v5, v21
	v_mul_hi_u32 v22, v19, v15
	s_delay_alu instid0(VALU_DEP_3) | instskip(NEXT) | instid1(VALU_DEP_3)
	v_mad_u64_u32 v[3:4], null, v19, v20, 0
	v_mad_u64_u32 v[12:13], null, v5, v15, 0
	;; [unrolled: 1-line block ×3, first 2 shown]
	s_delay_alu instid0(VALU_DEP_3) | instskip(NEXT) | instid1(VALU_DEP_4)
	v_add_co_u32 v3, vcc_lo, v22, v3
	v_add_co_ci_u32_e32 v4, vcc_lo, 0, v4, vcc_lo
	s_delay_alu instid0(VALU_DEP_2) | instskip(NEXT) | instid1(VALU_DEP_2)
	v_add_co_u32 v3, vcc_lo, v3, v12
	v_add_co_ci_u32_e32 v3, vcc_lo, v4, v13, vcc_lo
	v_add_co_ci_u32_e32 v4, vcc_lo, 0, v15, vcc_lo
	s_delay_alu instid0(VALU_DEP_2) | instskip(NEXT) | instid1(VALU_DEP_2)
	v_add_co_u32 v14, vcc_lo, v3, v14
	v_add_co_ci_u32_e32 v15, vcc_lo, 0, v4, vcc_lo
	s_delay_alu instid0(VALU_DEP_2) | instskip(NEXT) | instid1(VALU_DEP_1)
	v_mad_u64_u32 v[3:4], null, s7, v14, 0
	v_mad_u64_u32 v[12:13], null, s7, v15, v[4:5]
	s_delay_alu instid0(VALU_DEP_2) | instskip(NEXT) | instid1(VALU_DEP_2)
	v_sub_co_u32 v3, vcc_lo, v19, v3
	v_sub_co_ci_u32_e32 v4, vcc_lo, v5, v12, vcc_lo
	s_delay_alu instid0(VALU_DEP_2) | instskip(NEXT) | instid1(VALU_DEP_2)
	v_sub_co_u32 v5, vcc_lo, v3, s7
	v_subrev_co_ci_u32_e32 v12, vcc_lo, 0, v4, vcc_lo
	s_delay_alu instid0(VALU_DEP_2)
	v_cmp_le_u32_e32 vcc_lo, s7, v5
	v_cmp_eq_u32_e64 s0, 0, v4
	v_cndmask_b32_e64 v5, 0, -1, vcc_lo
	v_add_co_u32 v13, vcc_lo, v14, 2
	v_add_co_ci_u32_e32 v19, vcc_lo, 0, v15, vcc_lo
	v_cmp_le_u32_e32 vcc_lo, s7, v3
	v_cndmask_b32_e64 v3, 0, -1, vcc_lo
	v_cmp_eq_u32_e32 vcc_lo, 0, v12
	s_delay_alu instid0(VALU_DEP_2) | instskip(SKIP_3) | instid1(VALU_DEP_3)
	v_cndmask_b32_e64 v3, -1, v3, s0
	v_cndmask_b32_e32 v5, -1, v5, vcc_lo
	v_add_co_u32 v12, vcc_lo, v14, 1
	v_add_co_ci_u32_e32 v20, vcc_lo, 0, v15, vcc_lo
	v_cmp_ne_u32_e32 vcc_lo, 0, v5
	s_delay_alu instid0(VALU_DEP_2) | instskip(NEXT) | instid1(VALU_DEP_4)
	v_cndmask_b32_e32 v4, v20, v19, vcc_lo
	v_cndmask_b32_e32 v5, v12, v13, vcc_lo
	v_cmp_ne_u32_e32 vcc_lo, 0, v3
                                        ; implicit-def: $vgpr12
	s_delay_alu instid0(VALU_DEP_2) | instskip(NEXT) | instid1(VALU_DEP_1)
	v_dual_cndmask_b32 v3, v15, v4 :: v_dual_cndmask_b32 v4, v14, v5
	v_xor_b32_e32 v5, v3, v21
	s_delay_alu instid0(VALU_DEP_2) | instskip(NEXT) | instid1(VALU_DEP_1)
	v_xor_b32_e32 v4, v4, v21
	v_sub_co_u32 v3, vcc_lo, v4, v21
	s_delay_alu instid0(VALU_DEP_3)
	v_sub_co_ci_u32_e32 v4, vcc_lo, v5, v21, vcc_lo
.LBB20_154:
	s_and_not1_saveexec_b32 s0, s5
	s_cbranch_execz .LBB20_156
; %bb.155:
	v_cvt_f32_u32_e32 v3, s7
	s_delay_alu instid0(VALU_DEP_1) | instskip(SKIP_2) | instid1(VALU_DEP_1)
	v_rcp_iflag_f32_e32 v3, v3
	s_waitcnt_depctr 0xfff
	v_mul_f32_e32 v3, 0x4f7ffffe, v3
	v_cvt_u32_f32_e32 v3, v3
	s_delay_alu instid0(VALU_DEP_1) | instskip(NEXT) | instid1(VALU_DEP_1)
	v_mul_lo_u32 v4, s1, v3
	v_mul_hi_u32 v4, v3, v4
	s_delay_alu instid0(VALU_DEP_1) | instskip(NEXT) | instid1(VALU_DEP_1)
	v_add_nc_u32_e32 v3, v3, v4
	v_mul_hi_u32 v3, v12, v3
	s_delay_alu instid0(VALU_DEP_1) | instskip(SKIP_1) | instid1(VALU_DEP_2)
	v_mul_lo_u32 v4, v3, s7
	v_add_nc_u32_e32 v5, 1, v3
	v_sub_nc_u32_e32 v4, v12, v4
	s_delay_alu instid0(VALU_DEP_1) | instskip(SKIP_1) | instid1(VALU_DEP_2)
	v_subrev_nc_u32_e32 v12, s7, v4
	v_cmp_le_u32_e32 vcc_lo, s7, v4
	v_dual_cndmask_b32 v4, v4, v12 :: v_dual_cndmask_b32 v3, v3, v5
	s_delay_alu instid0(VALU_DEP_1) | instskip(NEXT) | instid1(VALU_DEP_2)
	v_cmp_le_u32_e32 vcc_lo, s7, v4
	v_dual_mov_b32 v4, 0 :: v_dual_add_nc_u32 v5, 1, v3
	s_delay_alu instid0(VALU_DEP_1)
	v_cndmask_b32_e32 v3, v3, v5, vcc_lo
.LBB20_156:
	s_or_b32 exec_lo, exec_lo, s0
	v_cmp_gt_i64_e32 vcc_lo, s[22:23], v[10:11]
	v_mov_b32_e32 v10, 0
	v_mov_b32_e32 v11, 0
	s_and_saveexec_b32 s5, vcc_lo
	s_cbranch_execz .LBB20_170
; %bb.157:
	s_add_i32 s0, s7, -1
	v_mov_b32_e32 v10, 0
	v_dual_mov_b32 v11, 0 :: v_dual_and_b32 v12, s0, v0
	s_mov_b32 s6, exec_lo
	v_cmpx_lt_i64_e32 0, v[3:4]
	s_cbranch_execz .LBB20_167
; %bb.158:
	v_dual_mov_b32 v13, 0 :: v_dual_mov_b32 v10, 0
	v_dual_mov_b32 v14, 0 :: v_dual_mov_b32 v11, 0
	s_mov_b32 s8, exec_lo
	v_cmpx_lt_u64_e32 3, v[3:4]
	s_cbranch_execz .LBB20_162
; %bb.159:
	v_dual_mov_b32 v10, 0 :: v_dual_lshlrev_b32 v5, 3, v2
	s_lshl_b32 s0, s7, 3
	s_lshl_b32 s1, s4, 3
	v_dual_mov_b32 v11, 0 :: v_dual_and_b32 v14, 0x7fffffff, v4
	s_sub_i32 s9, s0, s1
	s_lshl_b32 s0, s7, 4
	v_and_b32_e32 v13, -4, v3
	v_lshl_add_u32 v5, v12, 3, v5
	s_sub_i32 s11, s0, s1
	s_mul_i32 s0, s7, 24
	s_lshl_b32 s10, s7, 5
	s_sub_i32 s13, s0, s1
	s_mov_b32 s12, 0
	s_sub_i32 s14, 0, s1
	s_mov_b64 s[0:1], 0
	.p2align	6
.LBB20_160:                             ; =>This Inner Loop Header: Depth=1
	v_add_nc_u32_e32 v15, s14, v5
	v_add_nc_u32_e32 v23, s11, v5
	;; [unrolled: 1-line block ×3, first 2 shown]
	s_add_u32 s0, s0, 4
	s_addc_u32 s1, s1, 0
	ds_load_b64 v[19:20], v15
	v_add_nc_u32_e32 v15, s9, v5
	v_cmp_eq_u64_e32 vcc_lo, s[0:1], v[13:14]
	v_add_nc_u32_e32 v5, s10, v5
	ds_load_b64 v[21:22], v15
	ds_load_b64 v[23:24], v23
	;; [unrolled: 1-line block ×3, first 2 shown]
	s_or_b32 s12, vcc_lo, s12
	s_waitcnt lgkmcnt(3)
	v_add_f64 v[10:11], v[10:11], v[19:20]
	s_waitcnt lgkmcnt(2)
	s_delay_alu instid0(VALU_DEP_1) | instskip(SKIP_1) | instid1(VALU_DEP_1)
	v_add_f64 v[10:11], v[10:11], v[21:22]
	s_waitcnt lgkmcnt(1)
	v_add_f64 v[10:11], v[10:11], v[23:24]
	s_waitcnt lgkmcnt(0)
	s_delay_alu instid0(VALU_DEP_1)
	v_add_f64 v[10:11], v[10:11], v[25:26]
	s_and_not1_b32 exec_lo, exec_lo, s12
	s_cbranch_execnz .LBB20_160
; %bb.161:
	s_or_b32 exec_lo, exec_lo, s12
.LBB20_162:
	s_delay_alu instid0(SALU_CYCLE_1) | instskip(SKIP_2) | instid1(VALU_DEP_1)
	s_or_b32 exec_lo, exec_lo, s8
	v_dual_mov_b32 v15, 0 :: v_dual_and_b32 v14, 3, v3
	s_mov_b32 s0, exec_lo
	v_cmpx_ne_u64_e32 0, v[14:15]
	s_cbranch_execz .LBB20_166
; %bb.163:
	v_mul_lo_u32 v5, s7, v13
	s_mov_b32 s1, 0
	s_delay_alu instid0(VALU_DEP_1) | instskip(NEXT) | instid1(VALU_DEP_1)
	v_add3_u32 v2, v12, v5, v2
	v_subrev_nc_u32_e32 v2, s4, v2
	s_lshl_b32 s4, s7, 3
	s_delay_alu instid0(VALU_DEP_1)
	v_lshlrev_b32_e32 v2, 3, v2
.LBB20_164:                             ; =>This Inner Loop Header: Depth=1
	ds_load_b64 v[19:20], v2
	v_add_co_u32 v14, vcc_lo, v14, -1
	v_add_co_ci_u32_e32 v15, vcc_lo, -1, v15, vcc_lo
	v_add_nc_u32_e32 v2, s4, v2
	s_delay_alu instid0(VALU_DEP_2)
	v_cmp_eq_u64_e32 vcc_lo, 0, v[14:15]
	s_or_b32 s1, vcc_lo, s1
	s_waitcnt lgkmcnt(0)
	v_add_f64 v[10:11], v[10:11], v[19:20]
	s_and_not1_b32 exec_lo, exec_lo, s1
	s_cbranch_execnz .LBB20_164
; %bb.165:
	s_or_b32 exec_lo, exec_lo, s1
.LBB20_166:
	s_delay_alu instid0(SALU_CYCLE_1)
	s_or_b32 exec_lo, exec_lo, s0
.LBB20_167:
	s_delay_alu instid0(SALU_CYCLE_1) | instskip(SKIP_3) | instid1(VALU_DEP_2)
	s_or_b32 exec_lo, exec_lo, s6
	v_mad_u64_u32 v[14:15], null, v3, s7, v[8:9]
	v_mov_b32_e32 v13, 0
	s_mov_b32 s0, exec_lo
	v_mov_b32_e32 v2, v15
	s_delay_alu instid0(VALU_DEP_1) | instskip(NEXT) | instid1(VALU_DEP_4)
	v_mad_u64_u32 v[8:9], null, v4, s7, v[2:3]
	v_sub_co_u32 v2, vcc_lo, v16, v14
	s_delay_alu instid0(VALU_DEP_2) | instskip(NEXT) | instid1(VALU_DEP_1)
	v_mov_b32_e32 v3, v8
	v_sub_co_ci_u32_e32 v3, vcc_lo, v17, v3, vcc_lo
	s_delay_alu instid0(VALU_DEP_1)
	v_cmpx_gt_i64_e64 v[2:3], v[12:13]
	s_cbranch_execz .LBB20_169
; %bb.168:
	v_add_lshl_u32 v2, v12, v14, 3
	ds_load_b64 v[2:3], v2
	s_waitcnt lgkmcnt(0)
	v_add_f64 v[10:11], v[10:11], v[2:3]
.LBB20_169:
	s_or_b32 exec_lo, exec_lo, s0
.LBB20_170:
	s_delay_alu instid0(SALU_CYCLE_1)
	s_or_b32 exec_lo, exec_lo, s5
	v_cmp_gt_i64_e32 vcc_lo, s[22:23], v[0:1]
	s_barrier
	buffer_gl0_inv
	ds_store_b64 v18, v[10:11]
	s_waitcnt lgkmcnt(0)
	s_barrier
	buffer_gl0_inv
	s_and_b32 exec_lo, exec_lo, vcc_lo
	s_cbranch_execz .LBB20_180
; %bb.171:
	v_mul_lo_u32 v1, s7, v0
	v_mov_b32_e32 v4, 0
	v_mov_b32_e32 v5, 0
	s_cmp_lt_u32 s7, 8
	s_cbranch_scc1 .LBB20_174
; %bb.172:
	s_delay_alu instid0(VALU_DEP_3)
	v_lshlrev_b32_e32 v2, 3, v1
	s_and_b32 s0, s7, 0x7ffffff8
	s_mov_b32 s1, 0
	.p2align	6
.LBB20_173:                             ; =>This Inner Loop Header: Depth=1
	ds_load_2addr_b64 v[8:11], v2 offset1:1
	ds_load_2addr_b64 v[12:15], v2 offset0:2 offset1:3
	s_add_i32 s1, s1, 8
	s_delay_alu instid0(SALU_CYCLE_1) | instskip(SKIP_2) | instid1(VALU_DEP_1)
	s_cmp_eq_u32 s0, s1
	s_waitcnt lgkmcnt(1)
	v_add_f64 v[3:4], v[4:5], v[8:9]
	v_add_f64 v[3:4], v[3:4], v[10:11]
	s_waitcnt lgkmcnt(0)
	s_delay_alu instid0(VALU_DEP_1) | instskip(NEXT) | instid1(VALU_DEP_1)
	v_add_f64 v[3:4], v[3:4], v[12:13]
	v_add_f64 v[3:4], v[3:4], v[14:15]
	ds_load_2addr_b64 v[8:11], v2 offset0:4 offset1:5
	ds_load_2addr_b64 v[12:15], v2 offset0:6 offset1:7
	v_add_nc_u32_e32 v2, 64, v2
	s_waitcnt lgkmcnt(1)
	v_add_f64 v[3:4], v[3:4], v[8:9]
	s_delay_alu instid0(VALU_DEP_1) | instskip(SKIP_1) | instid1(VALU_DEP_1)
	v_add_f64 v[3:4], v[3:4], v[10:11]
	s_waitcnt lgkmcnt(0)
	v_add_f64 v[3:4], v[3:4], v[12:13]
	s_delay_alu instid0(VALU_DEP_1)
	v_add_f64 v[4:5], v[3:4], v[14:15]
	s_cbranch_scc0 .LBB20_173
	s_branch .LBB20_175
.LBB20_174:
	s_mov_b32 s0, 0
.LBB20_175:
	s_bfe_u32 s1, s3, 0x30001
	s_delay_alu instid0(SALU_CYCLE_1)
	s_cmp_eq_u32 s1, 0
	s_cbranch_scc1 .LBB20_178
; %bb.176:
	v_add_lshl_u32 v1, s0, v1, 3
.LBB20_177:                             ; =>This Inner Loop Header: Depth=1
	ds_load_b64 v[2:3], v1
	v_add_nc_u32_e32 v1, 8, v1
	s_add_i32 s1, s1, -1
	s_delay_alu instid0(SALU_CYCLE_1)
	s_cmp_lg_u32 s1, 0
	s_waitcnt lgkmcnt(0)
	v_add_f64 v[4:5], v[4:5], v[2:3]
	s_cbranch_scc1 .LBB20_177
.LBB20_178:
	v_lshlrev_b64 v[1:2], 3, v[6:7]
	v_lshlrev_b32_e32 v0, 3, v0
	s_lshl_b32 s0, s2, 3
	s_delay_alu instid0(VALU_DEP_1) | instid1(SALU_CYCLE_1)
	v_add3_u32 v0, 0x2000, s0, v0
	s_delay_alu instid0(VALU_DEP_3) | instskip(NEXT) | instid1(VALU_DEP_4)
	v_add_co_u32 v6, vcc_lo, s20, v1
	v_add_co_ci_u32_e32 v7, vcc_lo, s21, v2, vcc_lo
	ds_load_b64 v[0:1], v0
	s_mov_b32 s0, 0
	global_load_b64 v[2:3], v[6:7], off
	s_waitcnt lgkmcnt(0)
	v_add_f64 v[4:5], v[4:5], v[0:1]
.LBB20_179:                             ; =>This Inner Loop Header: Depth=1
	s_waitcnt vmcnt(0)
	s_delay_alu instid0(VALU_DEP_1)
	v_add_f64 v[0:1], v[2:3], v[4:5]
	global_atomic_cmpswap_b64 v[0:1], v[6:7], v[0:3], off glc
	s_waitcnt vmcnt(0)
	v_cmp_eq_u64_e32 vcc_lo, v[0:1], v[2:3]
	v_dual_mov_b32 v3, v1 :: v_dual_mov_b32 v2, v0
	s_or_b32 s0, vcc_lo, s0
	s_delay_alu instid0(SALU_CYCLE_1)
	s_and_not1_b32 exec_lo, exec_lo, s0
	s_cbranch_execnz .LBB20_179
.LBB20_180:
	s_endpgm
	.section	.rodata,"a",@progbits
	.p2align	6, 0x0
	.amdhsa_kernel _ZN9rocsparseL27csrmvn_symm_adaptive_kernelIllddddEEvbT_S1_PKS1_NS_24const_host_device_scalarIT4_EES3_PKT0_PKT1_PKT2_S6_PT3_21rocsparse_index_base_b
		.amdhsa_group_segment_fixed_size 8192
		.amdhsa_private_segment_fixed_size 0
		.amdhsa_kernarg_size 352
		.amdhsa_user_sgpr_count 15
		.amdhsa_user_sgpr_dispatch_ptr 0
		.amdhsa_user_sgpr_queue_ptr 0
		.amdhsa_user_sgpr_kernarg_segment_ptr 1
		.amdhsa_user_sgpr_dispatch_id 0
		.amdhsa_user_sgpr_private_segment_size 0
		.amdhsa_wavefront_size32 1
		.amdhsa_uses_dynamic_stack 0
		.amdhsa_enable_private_segment 0
		.amdhsa_system_sgpr_workgroup_id_x 1
		.amdhsa_system_sgpr_workgroup_id_y 0
		.amdhsa_system_sgpr_workgroup_id_z 0
		.amdhsa_system_sgpr_workgroup_info 0
		.amdhsa_system_vgpr_workitem_id 0
		.amdhsa_next_free_vgpr 27
		.amdhsa_next_free_sgpr 41
		.amdhsa_reserve_vcc 1
		.amdhsa_float_round_mode_32 0
		.amdhsa_float_round_mode_16_64 0
		.amdhsa_float_denorm_mode_32 3
		.amdhsa_float_denorm_mode_16_64 3
		.amdhsa_dx10_clamp 1
		.amdhsa_ieee_mode 1
		.amdhsa_fp16_overflow 0
		.amdhsa_workgroup_processor_mode 1
		.amdhsa_memory_ordered 1
		.amdhsa_forward_progress 0
		.amdhsa_shared_vgpr_count 0
		.amdhsa_exception_fp_ieee_invalid_op 0
		.amdhsa_exception_fp_denorm_src 0
		.amdhsa_exception_fp_ieee_div_zero 0
		.amdhsa_exception_fp_ieee_overflow 0
		.amdhsa_exception_fp_ieee_underflow 0
		.amdhsa_exception_fp_ieee_inexact 0
		.amdhsa_exception_int_div_zero 0
	.end_amdhsa_kernel
	.section	.text._ZN9rocsparseL27csrmvn_symm_adaptive_kernelIllddddEEvbT_S1_PKS1_NS_24const_host_device_scalarIT4_EES3_PKT0_PKT1_PKT2_S6_PT3_21rocsparse_index_base_b,"axG",@progbits,_ZN9rocsparseL27csrmvn_symm_adaptive_kernelIllddddEEvbT_S1_PKS1_NS_24const_host_device_scalarIT4_EES3_PKT0_PKT1_PKT2_S6_PT3_21rocsparse_index_base_b,comdat
.Lfunc_end20:
	.size	_ZN9rocsparseL27csrmvn_symm_adaptive_kernelIllddddEEvbT_S1_PKS1_NS_24const_host_device_scalarIT4_EES3_PKT0_PKT1_PKT2_S6_PT3_21rocsparse_index_base_b, .Lfunc_end20-_ZN9rocsparseL27csrmvn_symm_adaptive_kernelIllddddEEvbT_S1_PKS1_NS_24const_host_device_scalarIT4_EES3_PKT0_PKT1_PKT2_S6_PT3_21rocsparse_index_base_b
                                        ; -- End function
	.section	.AMDGPU.csdata,"",@progbits
; Kernel info:
; codeLenInByte = 10008
; NumSgprs: 43
; NumVgprs: 27
; ScratchSize: 0
; MemoryBound: 0
; FloatMode: 240
; IeeeMode: 1
; LDSByteSize: 8192 bytes/workgroup (compile time only)
; SGPRBlocks: 5
; VGPRBlocks: 3
; NumSGPRsForWavesPerEU: 43
; NumVGPRsForWavesPerEU: 27
; Occupancy: 16
; WaveLimiterHint : 1
; COMPUTE_PGM_RSRC2:SCRATCH_EN: 0
; COMPUTE_PGM_RSRC2:USER_SGPR: 15
; COMPUTE_PGM_RSRC2:TRAP_HANDLER: 0
; COMPUTE_PGM_RSRC2:TGID_X_EN: 1
; COMPUTE_PGM_RSRC2:TGID_Y_EN: 0
; COMPUTE_PGM_RSRC2:TGID_Z_EN: 0
; COMPUTE_PGM_RSRC2:TIDIG_COMP_CNT: 0
	.section	.text._ZL33csrmvn_symm_large_adaptive_kernelIllddddEvbT_PKS0_N9rocsparse24const_host_device_scalarIT4_EES2_PKT0_PKT1_PKT2_S6_PT3_21rocsparse_index_base_b,"axG",@progbits,_ZL33csrmvn_symm_large_adaptive_kernelIllddddEvbT_PKS0_N9rocsparse24const_host_device_scalarIT4_EES2_PKT0_PKT1_PKT2_S6_PT3_21rocsparse_index_base_b,comdat
	.globl	_ZL33csrmvn_symm_large_adaptive_kernelIllddddEvbT_PKS0_N9rocsparse24const_host_device_scalarIT4_EES2_PKT0_PKT1_PKT2_S6_PT3_21rocsparse_index_base_b ; -- Begin function _ZL33csrmvn_symm_large_adaptive_kernelIllddddEvbT_PKS0_N9rocsparse24const_host_device_scalarIT4_EES2_PKT0_PKT1_PKT2_S6_PT3_21rocsparse_index_base_b
	.p2align	8
	.type	_ZL33csrmvn_symm_large_adaptive_kernelIllddddEvbT_PKS0_N9rocsparse24const_host_device_scalarIT4_EES2_PKT0_PKT1_PKT2_S6_PT3_21rocsparse_index_base_b,@function
_ZL33csrmvn_symm_large_adaptive_kernelIllddddEvbT_PKS0_N9rocsparse24const_host_device_scalarIT4_EES2_PKT0_PKT1_PKT2_S6_PT3_21rocsparse_index_base_b: ; @_ZL33csrmvn_symm_large_adaptive_kernelIllddddEvbT_PKS0_N9rocsparse24const_host_device_scalarIT4_EES2_PKT0_PKT1_PKT2_S6_PT3_21rocsparse_index_base_b
; %bb.0:
	s_clause 0x2
	s_load_b64 s[6:7], s[0:1], 0x50
	s_load_b64 s[8:9], s[0:1], 0x18
	;; [unrolled: 1-line block ×3, first 2 shown]
	s_mov_b32 s4, s15
	s_waitcnt lgkmcnt(0)
	s_bitcmp1_b32 s7, 0
	v_dual_mov_b32 v4, s8 :: v_dual_mov_b32 v5, s9
	s_cselect_b32 s5, -1, 0
	s_delay_alu instid0(SALU_CYCLE_1)
	s_and_b32 vcc_lo, exec_lo, s5
	s_xor_b32 s5, s5, -1
	s_cbranch_vccnz .LBB21_2
; %bb.1:
	v_dual_mov_b32 v1, s8 :: v_dual_mov_b32 v2, s9
	flat_load_b64 v[4:5], v[1:2]
.LBB21_2:
	v_dual_mov_b32 v1, s2 :: v_dual_mov_b32 v2, s3
	s_and_not1_b32 vcc_lo, exec_lo, s5
	s_cbranch_vccnz .LBB21_4
; %bb.3:
	v_dual_mov_b32 v1, s2 :: v_dual_mov_b32 v2, s3
	flat_load_b64 v[1:2], v[1:2]
.LBB21_4:
	s_waitcnt vmcnt(0) lgkmcnt(0)
	v_cmp_neq_f64_e32 vcc_lo, 0, v[4:5]
	v_cmp_neq_f64_e64 s2, 1.0, v[1:2]
	s_delay_alu instid0(VALU_DEP_1) | instskip(NEXT) | instid1(SALU_CYCLE_1)
	s_or_b32 s2, vcc_lo, s2
	s_and_saveexec_b32 s3, s2
	s_cbranch_execz .LBB21_41
; %bb.5:
	s_load_b64 s[8:9], s[0:1], 0x10
	s_mov_b32 s2, 0
	s_ashr_i32 s5, s4, 31
	s_mov_b32 s3, s2
	v_dual_mov_b32 v1, s2 :: v_dual_lshlrev_b32 v10, 3, v0
	v_mov_b32_e32 v2, s3
	s_lshl_b64 s[4:5], s[4:5], 3
	ds_store_2addr_stride64_b64 v10, v[1:2], v[1:2] offset1:4
	ds_store_2addr_stride64_b64 v10, v[1:2], v[1:2] offset0:8 offset1:12
	s_waitcnt lgkmcnt(0)
	s_barrier
	buffer_gl0_inv
	s_add_u32 s4, s8, s4
	s_addc_u32 s5, s9, s5
	s_load_b128 s[16:19], s[4:5], 0x0
	s_clause 0x1
	s_load_b256 s[8:15], s[0:1], 0x20
	s_load_b64 s[20:21], s[0:1], 0x48
	v_sub_co_u32 v11, s1, v0, s6
	s_delay_alu instid0(VALU_DEP_1) | instskip(SKIP_2) | instid1(VALU_DEP_1)
	v_sub_co_ci_u32_e64 v12, null, 0, 0, s1
	s_waitcnt lgkmcnt(0)
	v_cmp_lt_i64_e64 s0, s[16:17], s[18:19]
	s_and_b32 vcc_lo, exec_lo, s0
	s_cbranch_vccnz .LBB21_7
; %bb.6:
	s_lshl_b64 s[0:1], s[16:17], 3
	s_delay_alu instid0(SALU_CYCLE_1)
	s_add_u32 s0, s8, s0
	s_addc_u32 s1, s9, s1
	s_load_b64 s[22:23], s[0:1], 0x0
	s_and_not1_b32 vcc_lo, exec_lo, s2
	s_cbranch_vccz .LBB21_8
	s_branch .LBB21_31
.LBB21_7:
                                        ; implicit-def: $sgpr22_sgpr23
.LBB21_8:
	s_lshl_b64 s[0:1], s[16:17], 3
	v_cmp_gt_u32_e64 s2, 16, v0
	s_add_u32 s0, s8, s0
	s_addc_u32 s1, s9, s1
	v_cmp_gt_u32_e64 s3, 4, v0
	s_waitcnt lgkmcnt(0)
	s_load_b64 s[22:23], s[0:1], 0x0
	v_cmp_gt_u32_e64 s0, 0x100, v0
	v_cmp_gt_u32_e64 s1, 64, v0
	v_cmp_eq_u32_e64 s4, 0, v0
	v_mov_b32_e32 v13, 0
	s_add_u32 s7, s8, 8
	s_addc_u32 s33, s9, 0
	s_mov_b64 s[24:25], s[16:17]
	s_waitcnt lgkmcnt(0)
	s_mov_b64 s[26:27], s[22:23]
	s_branch .LBB21_10
.LBB21_9:                               ;   in Loop: Header=BB21_10 Depth=1
	s_or_b32 exec_lo, exec_lo, s5
	s_add_u32 s24, s24, 1
	s_addc_u32 s25, s25, 0
	s_delay_alu instid0(SALU_CYCLE_1) | instskip(NEXT) | instid1(VALU_DEP_1)
	v_cmp_ge_i64_e64 s5, s[24:25], s[18:19]
	s_and_b32 vcc_lo, exec_lo, s5
	s_cbranch_vccnz .LBB21_31
.LBB21_10:                              ; =>This Loop Header: Depth=1
                                        ;     Child Loop BB21_12 Depth 2
                                        ;     Child Loop BB21_26 Depth 2
	;; [unrolled: 1-line block ×3, first 2 shown]
	s_lshl_b64 s[28:29], s[24:25], 3
	s_mov_b64 s[34:35], s[26:27]
	s_add_u32 s30, s7, s28
	s_addc_u32 s31, s33, s29
	v_add_co_u32 v0, vcc_lo, s34, v11
	s_load_b64 s[26:27], s[30:31], 0x0
	v_mov_b32_e32 v2, 0
	v_add_co_ci_u32_e32 v1, vcc_lo, s35, v12, vcc_lo
	v_mov_b32_e32 v3, 0
	s_mov_b32 s34, exec_lo
	s_waitcnt lgkmcnt(0)
	s_sub_u32 s30, s26, s6
	s_subb_u32 s31, s27, 0
	s_delay_alu instid0(SALU_CYCLE_1)
	v_cmpx_gt_i64_e64 s[30:31], v[0:1]
	s_cbranch_execz .LBB21_14
; %bb.11:                               ;   in Loop: Header=BB21_10 Depth=1
	v_lshlrev_b64 v[8:9], 3, v[0:1]
	v_mov_b32_e32 v2, 0
	v_mov_b32_e32 v3, 0
	s_mov_b32 s35, 0
	s_delay_alu instid0(VALU_DEP_3) | instskip(NEXT) | instid1(VALU_DEP_4)
	v_add_co_u32 v6, vcc_lo, s10, v8
	v_add_co_ci_u32_e32 v7, vcc_lo, s11, v9, vcc_lo
	v_add_co_u32 v8, vcc_lo, s12, v8
	v_add_co_ci_u32_e32 v9, vcc_lo, s13, v9, vcc_lo
	s_set_inst_prefetch_distance 0x1
	.p2align	6
.LBB21_12:                              ;   Parent Loop BB21_10 Depth=1
                                        ; =>  This Inner Loop Header: Depth=2
	global_load_b64 v[14:15], v[6:7], off
	s_waitcnt vmcnt(0)
	v_sub_co_u32 v14, vcc_lo, v14, s6
	v_subrev_co_ci_u32_e32 v15, vcc_lo, 0, v15, vcc_lo
	s_delay_alu instid0(VALU_DEP_1) | instskip(NEXT) | instid1(VALU_DEP_1)
	v_lshlrev_b64 v[14:15], 3, v[14:15]
	v_add_co_u32 v14, vcc_lo, s14, v14
	s_delay_alu instid0(VALU_DEP_2)
	v_add_co_ci_u32_e32 v15, vcc_lo, s15, v15, vcc_lo
	v_add_co_u32 v0, vcc_lo, 0x100, v0
	global_load_b64 v[16:17], v[8:9], off
	global_load_b64 v[14:15], v[14:15], off
	v_add_co_ci_u32_e32 v1, vcc_lo, 0, v1, vcc_lo
	v_add_co_u32 v6, vcc_lo, 0x800, v6
	v_add_co_ci_u32_e32 v7, vcc_lo, 0, v7, vcc_lo
	s_delay_alu instid0(VALU_DEP_3) | instskip(SKIP_1) | instid1(VALU_DEP_1)
	v_cmp_le_i64_e32 vcc_lo, s[30:31], v[0:1]
	v_add_co_u32 v8, s5, 0x800, v8
	v_add_co_ci_u32_e64 v9, s5, 0, v9, s5
	s_or_b32 s35, vcc_lo, s35
	s_waitcnt vmcnt(0)
	v_fma_f64 v[2:3], v[16:17], v[14:15], v[2:3]
	s_and_not1_b32 exec_lo, exec_lo, s35
	s_cbranch_execnz .LBB21_12
; %bb.13:                               ;   in Loop: Header=BB21_10 Depth=1
	s_set_inst_prefetch_distance 0x2
	s_or_b32 exec_lo, exec_lo, s35
.LBB21_14:                              ;   in Loop: Header=BB21_10 Depth=1
	s_delay_alu instid0(SALU_CYCLE_1)
	s_or_b32 exec_lo, exec_lo, s34
	ds_store_b64 v10, v[2:3]
	s_waitcnt lgkmcnt(0)
	s_barrier
	buffer_gl0_inv
	s_and_saveexec_b32 s5, s0
	s_cbranch_execz .LBB21_16
; %bb.15:                               ;   in Loop: Header=BB21_10 Depth=1
	ds_load_2addr_stride64_b64 v[0:3], v10 offset1:4
	ds_load_2addr_stride64_b64 v[6:9], v10 offset0:8 offset1:12
	s_waitcnt lgkmcnt(0)
	v_add_f64 v[2:3], v[2:3], v[6:7]
	s_delay_alu instid0(VALU_DEP_1) | instskip(NEXT) | instid1(VALU_DEP_1)
	v_add_f64 v[2:3], v[2:3], v[8:9]
	v_add_f64 v[0:1], v[0:1], v[2:3]
	ds_store_b64 v10, v[0:1]
.LBB21_16:                              ;   in Loop: Header=BB21_10 Depth=1
	s_or_b32 exec_lo, exec_lo, s5
	s_waitcnt lgkmcnt(0)
	s_barrier
	buffer_gl0_inv
	s_and_saveexec_b32 s5, s1
	s_cbranch_execz .LBB21_18
; %bb.17:                               ;   in Loop: Header=BB21_10 Depth=1
	ds_load_2addr_stride64_b64 v[0:3], v10 offset1:1
	ds_load_2addr_stride64_b64 v[6:9], v10 offset0:2 offset1:3
	s_waitcnt lgkmcnt(0)
	v_add_f64 v[2:3], v[2:3], v[6:7]
	s_delay_alu instid0(VALU_DEP_1) | instskip(NEXT) | instid1(VALU_DEP_1)
	v_add_f64 v[2:3], v[2:3], v[8:9]
	v_add_f64 v[0:1], v[0:1], v[2:3]
	ds_store_b64 v10, v[0:1]
.LBB21_18:                              ;   in Loop: Header=BB21_10 Depth=1
	s_or_b32 exec_lo, exec_lo, s5
	s_waitcnt lgkmcnt(0)
	s_barrier
	buffer_gl0_inv
	s_and_saveexec_b32 s5, s2
	s_cbranch_execz .LBB21_20
; %bb.19:                               ;   in Loop: Header=BB21_10 Depth=1
	ds_load_2addr_b64 v[0:3], v10 offset1:16
	ds_load_2addr_b64 v[6:9], v10 offset0:32 offset1:48
	s_waitcnt lgkmcnt(0)
	v_add_f64 v[2:3], v[2:3], v[6:7]
	s_delay_alu instid0(VALU_DEP_1) | instskip(NEXT) | instid1(VALU_DEP_1)
	v_add_f64 v[2:3], v[2:3], v[8:9]
	v_add_f64 v[0:1], v[0:1], v[2:3]
	ds_store_b64 v10, v[0:1]
.LBB21_20:                              ;   in Loop: Header=BB21_10 Depth=1
	s_or_b32 exec_lo, exec_lo, s5
	s_waitcnt lgkmcnt(0)
	s_barrier
	buffer_gl0_inv
	s_and_saveexec_b32 s5, s3
	s_cbranch_execz .LBB21_22
; %bb.21:                               ;   in Loop: Header=BB21_10 Depth=1
	ds_load_2addr_b64 v[0:3], v10 offset1:4
	ds_load_2addr_b64 v[6:9], v10 offset0:8 offset1:12
	s_waitcnt lgkmcnt(0)
	v_add_f64 v[2:3], v[2:3], v[6:7]
	s_delay_alu instid0(VALU_DEP_1) | instskip(NEXT) | instid1(VALU_DEP_1)
	v_add_f64 v[2:3], v[2:3], v[8:9]
	v_add_f64 v[0:1], v[0:1], v[2:3]
	ds_store_b64 v10, v[0:1]
.LBB21_22:                              ;   in Loop: Header=BB21_10 Depth=1
	s_or_b32 exec_lo, exec_lo, s5
	s_waitcnt lgkmcnt(0)
	s_barrier
	buffer_gl0_inv
	s_and_saveexec_b32 s5, s4
	s_cbranch_execz .LBB21_24
; %bb.23:                               ;   in Loop: Header=BB21_10 Depth=1
	ds_load_2addr_b64 v[0:3], v13 offset0:1 offset1:2
	ds_load_b64 v[6:7], v10
	s_waitcnt lgkmcnt(1)
	v_add_f64 v[0:1], v[0:1], v[2:3]
	ds_load_b64 v[2:3], v13 offset:24
	s_waitcnt lgkmcnt(0)
	v_add_f64 v[0:1], v[0:1], v[2:3]
	s_delay_alu instid0(VALU_DEP_1)
	v_add_f64 v[0:1], v[6:7], v[0:1]
	ds_store_b64 v10, v[0:1]
.LBB21_24:                              ;   in Loop: Header=BB21_10 Depth=1
	s_or_b32 exec_lo, exec_lo, s5
	s_waitcnt lgkmcnt(0)
	s_barrier
	buffer_gl0_inv
	s_and_saveexec_b32 s5, s4
	s_cbranch_execz .LBB21_9
; %bb.25:                               ;   in Loop: Header=BB21_10 Depth=1
	ds_load_b64 v[0:1], v13
	v_mov_b32_e32 v6, 0
	v_bfrev_b32_e32 v7, 1
	s_mov_b32 s30, exec_lo
	s_waitcnt lgkmcnt(0)
	v_mul_f64 v[0:1], v[4:5], v[0:1]
.LBB21_26:                              ;   Parent Loop BB21_10 Depth=1
                                        ; =>  This Inner Loop Header: Depth=2
	s_ctz_i32_b32 s31, s30
	s_delay_alu instid0(VALU_DEP_1) | instid1(SALU_CYCLE_1)
	v_readlane_b32 s35, v1, s31
	s_delay_alu instid0(VALU_DEP_2) | instskip(SKIP_1) | instid1(SALU_CYCLE_1)
	v_readlane_b32 s34, v0, s31
	s_lshl_b32 s31, 1, s31
	s_and_not1_b32 s30, s30, s31
	s_delay_alu instid0(VALU_DEP_1)
	v_add_f64 v[6:7], v[6:7], s[34:35]
	s_cmp_lg_u32 s30, 0
	s_cbranch_scc1 .LBB21_26
; %bb.27:                               ;   in Loop: Header=BB21_10 Depth=1
	v_mbcnt_lo_u32_b32 v0, exec_lo, 0
	s_mov_b32 s30, exec_lo
	s_delay_alu instid0(VALU_DEP_1)
	v_cmpx_eq_u32_e32 0, v0
	s_xor_b32 s30, exec_lo, s30
	s_cbranch_execz .LBB21_9
; %bb.28:                               ;   in Loop: Header=BB21_10 Depth=1
	s_add_u32 s28, s20, s28
	s_addc_u32 s29, s21, s29
	s_mov_b32 s30, 0
	global_load_b64 v[2:3], v13, s[28:29]
.LBB21_29:                              ;   Parent Loop BB21_10 Depth=1
                                        ; =>  This Inner Loop Header: Depth=2
	s_waitcnt vmcnt(0)
	v_add_f64 v[0:1], v[2:3], v[6:7]
	global_atomic_cmpswap_b64 v[0:1], v13, v[0:3], s[28:29] glc
	s_waitcnt vmcnt(0)
	v_cmp_eq_u64_e32 vcc_lo, v[0:1], v[2:3]
	v_dual_mov_b32 v3, v1 :: v_dual_mov_b32 v2, v0
	s_or_b32 s30, vcc_lo, s30
	s_delay_alu instid0(SALU_CYCLE_1)
	s_and_not1_b32 exec_lo, exec_lo, s30
	s_cbranch_execnz .LBB21_29
; %bb.30:                               ;   in Loop: Header=BB21_10 Depth=1
	s_or_b32 exec_lo, exec_lo, s30
	s_branch .LBB21_9
.LBB21_31:
	s_lshl_b64 s[0:1], s[18:19], 3
	s_waitcnt lgkmcnt(0)
	v_add_co_u32 v6, vcc_lo, s22, v11
	s_add_u32 s0, s8, s0
	s_addc_u32 s1, s9, s1
	v_add_co_ci_u32_e32 v7, vcc_lo, s23, v12, vcc_lo
	s_load_b64 s[0:1], s[0:1], 0x0
	s_waitcnt lgkmcnt(0)
	s_sub_u32 s2, s0, s6
	s_subb_u32 s3, s1, 0
	s_delay_alu instid0(SALU_CYCLE_1)
	v_cmp_gt_i64_e32 vcc_lo, s[2:3], v[6:7]
	s_and_b32 exec_lo, exec_lo, vcc_lo
	s_cbranch_execz .LBB21_41
; %bb.32:
	s_add_u32 s4, s18, -1
	s_addc_u32 s5, s19, -1
	s_add_u32 s0, s18, -2
	v_cmp_gt_i64_e64 s7, s[4:5], s[16:17]
	s_addc_u32 s1, s19, -1
	s_delay_alu instid0(SALU_CYCLE_1)
	s_cmp_lg_u64 s[0:1], s[16:17]
	s_cselect_b32 s0, -1, 0
	s_delay_alu instid0(VALU_DEP_1) | instid1(SALU_CYCLE_1)
	s_and_b32 s1, s7, s0
	s_mov_b32 s7, 0
	s_branch .LBB21_34
.LBB21_33:                              ;   in Loop: Header=BB21_34 Depth=1
	s_or_b32 exec_lo, exec_lo, s0
	v_add_co_u32 v6, vcc_lo, 0x100, v6
	v_add_co_ci_u32_e32 v7, vcc_lo, 0, v7, vcc_lo
	s_delay_alu instid0(VALU_DEP_1) | instskip(SKIP_1) | instid1(SALU_CYCLE_1)
	v_cmp_le_i64_e32 vcc_lo, s[2:3], v[6:7]
	s_or_b32 s7, vcc_lo, s7
	s_and_not1_b32 exec_lo, exec_lo, s7
	s_cbranch_execz .LBB21_41
.LBB21_34:                              ; =>This Loop Header: Depth=1
                                        ;     Child Loop BB21_36 Depth 2
                                        ;     Child Loop BB21_40 Depth 2
	v_dual_mov_b32 v0, s16 :: v_dual_mov_b32 v1, s17
	v_dual_mov_b32 v2, s4 :: v_dual_mov_b32 v3, s5
	s_and_not1_b32 vcc_lo, exec_lo, s1
	s_cbranch_vccnz .LBB21_38
; %bb.35:                               ;   in Loop: Header=BB21_34 Depth=1
	v_dual_mov_b32 v0, s16 :: v_dual_mov_b32 v1, s17
	v_dual_mov_b32 v2, s4 :: v_dual_mov_b32 v3, s5
	s_mov_b32 s18, 0
	s_set_inst_prefetch_distance 0x1
	.p2align	6
.LBB21_36:                              ;   Parent Loop BB21_34 Depth=1
                                        ; =>  This Inner Loop Header: Depth=2
	s_delay_alu instid0(VALU_DEP_1) | instskip(NEXT) | instid1(VALU_DEP_2)
	v_add_co_u32 v8, vcc_lo, v2, v0
	v_add_co_ci_u32_e32 v9, vcc_lo, v3, v1, vcc_lo
	s_delay_alu instid0(VALU_DEP_1) | instskip(NEXT) | instid1(VALU_DEP_1)
	v_lshrrev_b32_e32 v10, 31, v9
	v_add_co_u32 v8, vcc_lo, v8, v10
	v_add_co_ci_u32_e32 v9, vcc_lo, 0, v9, vcc_lo
	s_delay_alu instid0(VALU_DEP_1) | instskip(NEXT) | instid1(VALU_DEP_1)
	v_ashrrev_i64 v[8:9], 1, v[8:9]
	v_lshlrev_b64 v[10:11], 3, v[8:9]
	s_delay_alu instid0(VALU_DEP_1) | instskip(NEXT) | instid1(VALU_DEP_2)
	v_add_co_u32 v10, vcc_lo, s8, v10
	v_add_co_ci_u32_e32 v11, vcc_lo, s9, v11, vcc_lo
	global_load_b64 v[10:11], v[10:11], off
	s_waitcnt vmcnt(0)
	v_sub_co_u32 v10, vcc_lo, v10, s6
	v_subrev_co_ci_u32_e32 v11, vcc_lo, 0, v11, vcc_lo
	s_delay_alu instid0(VALU_DEP_1) | instskip(SKIP_2) | instid1(VALU_DEP_2)
	v_cmp_gt_i64_e32 vcc_lo, v[10:11], v[6:7]
	v_dual_cndmask_b32 v3, v3, v9 :: v_dual_cndmask_b32 v2, v2, v8
	v_dual_cndmask_b32 v1, v9, v1 :: v_dual_cndmask_b32 v0, v8, v0
	v_add_co_u32 v8, vcc_lo, v2, -1
	s_delay_alu instid0(VALU_DEP_3) | instskip(NEXT) | instid1(VALU_DEP_3)
	v_add_co_ci_u32_e32 v9, vcc_lo, -1, v3, vcc_lo
	v_cmp_ge_i64_e32 vcc_lo, v[0:1], v[2:3]
	s_delay_alu instid0(VALU_DEP_2) | instskip(NEXT) | instid1(VALU_DEP_1)
	v_cmp_eq_u64_e64 s0, v[0:1], v[8:9]
	s_or_b32 s0, vcc_lo, s0
	s_delay_alu instid0(SALU_CYCLE_1) | instskip(NEXT) | instid1(SALU_CYCLE_1)
	s_and_b32 s0, exec_lo, s0
	s_or_b32 s18, s0, s18
	s_delay_alu instid0(SALU_CYCLE_1)
	s_and_not1_b32 exec_lo, exec_lo, s18
	s_cbranch_execnz .LBB21_36
; %bb.37:                               ;   in Loop: Header=BB21_34 Depth=1
	s_set_inst_prefetch_distance 0x2
	s_or_b32 exec_lo, exec_lo, s18
.LBB21_38:                              ;   in Loop: Header=BB21_34 Depth=1
	s_delay_alu instid0(VALU_DEP_1) | instskip(SKIP_1) | instid1(VALU_DEP_1)
	v_lshlrev_b64 v[8:9], 3, v[2:3]
	s_mov_b32 s0, exec_lo
	v_add_co_u32 v8, vcc_lo, s8, v8
	s_delay_alu instid0(VALU_DEP_2) | instskip(SKIP_2) | instid1(VALU_DEP_1)
	v_add_co_ci_u32_e32 v9, vcc_lo, s9, v9, vcc_lo
	global_load_b64 v[10:11], v[8:9], off
	v_lshlrev_b64 v[8:9], 3, v[6:7]
	v_add_co_u32 v12, vcc_lo, s10, v8
	s_delay_alu instid0(VALU_DEP_2) | instskip(SKIP_4) | instid1(VALU_DEP_1)
	v_add_co_ci_u32_e32 v13, vcc_lo, s11, v9, vcc_lo
	global_load_b64 v[12:13], v[12:13], off
	s_waitcnt vmcnt(1)
	v_sub_co_u32 v10, vcc_lo, v10, s6
	v_subrev_co_ci_u32_e32 v11, vcc_lo, 0, v11, vcc_lo
	v_cmp_gt_i64_e32 vcc_lo, v[10:11], v[6:7]
	v_dual_cndmask_b32 v3, v3, v1 :: v_dual_cndmask_b32 v2, v2, v0
	s_waitcnt vmcnt(0)
	v_sub_co_u32 v0, vcc_lo, v12, s6
	v_subrev_co_ci_u32_e32 v1, vcc_lo, 0, v13, vcc_lo
	s_delay_alu instid0(VALU_DEP_1)
	v_cmpx_ne_u64_e64 v[0:1], v[2:3]
	s_cbranch_execz .LBB21_33
; %bb.39:                               ;   in Loop: Header=BB21_34 Depth=1
	v_add_co_u32 v8, vcc_lo, s12, v8
	v_add_co_ci_u32_e32 v9, vcc_lo, s13, v9, vcc_lo
	v_lshlrev_b64 v[2:3], 3, v[2:3]
	v_lshlrev_b64 v[0:1], 3, v[0:1]
	s_mov_b32 s18, 0
	global_load_b64 v[10:11], v[8:9], off
	v_add_co_u32 v2, vcc_lo, s14, v2
	v_add_co_ci_u32_e32 v3, vcc_lo, s15, v3, vcc_lo
	v_add_co_u32 v8, vcc_lo, s20, v0
	v_add_co_ci_u32_e32 v9, vcc_lo, s21, v1, vcc_lo
	global_load_b64 v[12:13], v[2:3], off
	global_load_b64 v[2:3], v[8:9], off
	s_waitcnt vmcnt(2)
	v_mul_f64 v[0:1], v[4:5], v[10:11]
	s_waitcnt vmcnt(1)
	s_delay_alu instid0(VALU_DEP_1)
	v_mul_f64 v[10:11], v[0:1], v[12:13]
.LBB21_40:                              ;   Parent Loop BB21_34 Depth=1
                                        ; =>  This Inner Loop Header: Depth=2
	s_waitcnt vmcnt(0)
	s_delay_alu instid0(VALU_DEP_1)
	v_add_f64 v[0:1], v[2:3], v[10:11]
	global_atomic_cmpswap_b64 v[0:1], v[8:9], v[0:3], off glc
	s_waitcnt vmcnt(0)
	v_cmp_eq_u64_e32 vcc_lo, v[0:1], v[2:3]
	v_dual_mov_b32 v3, v1 :: v_dual_mov_b32 v2, v0
	s_or_b32 s18, vcc_lo, s18
	s_delay_alu instid0(SALU_CYCLE_1)
	s_and_not1_b32 exec_lo, exec_lo, s18
	s_cbranch_execnz .LBB21_40
	s_branch .LBB21_33
.LBB21_41:
	s_endpgm
	.section	.rodata,"a",@progbits
	.p2align	6, 0x0
	.amdhsa_kernel _ZL33csrmvn_symm_large_adaptive_kernelIllddddEvbT_PKS0_N9rocsparse24const_host_device_scalarIT4_EES2_PKT0_PKT1_PKT2_S6_PT3_21rocsparse_index_base_b
		.amdhsa_group_segment_fixed_size 8192
		.amdhsa_private_segment_fixed_size 0
		.amdhsa_kernarg_size 88
		.amdhsa_user_sgpr_count 15
		.amdhsa_user_sgpr_dispatch_ptr 0
		.amdhsa_user_sgpr_queue_ptr 0
		.amdhsa_user_sgpr_kernarg_segment_ptr 1
		.amdhsa_user_sgpr_dispatch_id 0
		.amdhsa_user_sgpr_private_segment_size 0
		.amdhsa_wavefront_size32 1
		.amdhsa_uses_dynamic_stack 0
		.amdhsa_enable_private_segment 0
		.amdhsa_system_sgpr_workgroup_id_x 1
		.amdhsa_system_sgpr_workgroup_id_y 0
		.amdhsa_system_sgpr_workgroup_id_z 0
		.amdhsa_system_sgpr_workgroup_info 0
		.amdhsa_system_vgpr_workitem_id 0
		.amdhsa_next_free_vgpr 18
		.amdhsa_next_free_sgpr 36
		.amdhsa_reserve_vcc 1
		.amdhsa_float_round_mode_32 0
		.amdhsa_float_round_mode_16_64 0
		.amdhsa_float_denorm_mode_32 3
		.amdhsa_float_denorm_mode_16_64 3
		.amdhsa_dx10_clamp 1
		.amdhsa_ieee_mode 1
		.amdhsa_fp16_overflow 0
		.amdhsa_workgroup_processor_mode 1
		.amdhsa_memory_ordered 1
		.amdhsa_forward_progress 0
		.amdhsa_shared_vgpr_count 0
		.amdhsa_exception_fp_ieee_invalid_op 0
		.amdhsa_exception_fp_denorm_src 0
		.amdhsa_exception_fp_ieee_div_zero 0
		.amdhsa_exception_fp_ieee_overflow 0
		.amdhsa_exception_fp_ieee_underflow 0
		.amdhsa_exception_fp_ieee_inexact 0
		.amdhsa_exception_int_div_zero 0
	.end_amdhsa_kernel
	.section	.text._ZL33csrmvn_symm_large_adaptive_kernelIllddddEvbT_PKS0_N9rocsparse24const_host_device_scalarIT4_EES2_PKT0_PKT1_PKT2_S6_PT3_21rocsparse_index_base_b,"axG",@progbits,_ZL33csrmvn_symm_large_adaptive_kernelIllddddEvbT_PKS0_N9rocsparse24const_host_device_scalarIT4_EES2_PKT0_PKT1_PKT2_S6_PT3_21rocsparse_index_base_b,comdat
.Lfunc_end21:
	.size	_ZL33csrmvn_symm_large_adaptive_kernelIllddddEvbT_PKS0_N9rocsparse24const_host_device_scalarIT4_EES2_PKT0_PKT1_PKT2_S6_PT3_21rocsparse_index_base_b, .Lfunc_end21-_ZL33csrmvn_symm_large_adaptive_kernelIllddddEvbT_PKS0_N9rocsparse24const_host_device_scalarIT4_EES2_PKT0_PKT1_PKT2_S6_PT3_21rocsparse_index_base_b
                                        ; -- End function
	.section	.AMDGPU.csdata,"",@progbits
; Kernel info:
; codeLenInByte = 2108
; NumSgprs: 38
; NumVgprs: 18
; ScratchSize: 0
; MemoryBound: 0
; FloatMode: 240
; IeeeMode: 1
; LDSByteSize: 8192 bytes/workgroup (compile time only)
; SGPRBlocks: 4
; VGPRBlocks: 2
; NumSGPRsForWavesPerEU: 38
; NumVGPRsForWavesPerEU: 18
; Occupancy: 16
; WaveLimiterHint : 1
; COMPUTE_PGM_RSRC2:SCRATCH_EN: 0
; COMPUTE_PGM_RSRC2:USER_SGPR: 15
; COMPUTE_PGM_RSRC2:TRAP_HANDLER: 0
; COMPUTE_PGM_RSRC2:TGID_X_EN: 1
; COMPUTE_PGM_RSRC2:TGID_Y_EN: 0
; COMPUTE_PGM_RSRC2:TGID_Z_EN: 0
; COMPUTE_PGM_RSRC2:TIDIG_COMP_CNT: 0
	.section	.text._ZN9rocsparseL22csrmvn_adaptive_kernelIii21rocsparse_complex_numIfES2_S2_S2_EEvbT_PKS3_PjPKT0_NS_24const_host_device_scalarIT4_EES5_S9_PKT1_PKT2_SC_PT3_21rocsparse_index_base_b,"axG",@progbits,_ZN9rocsparseL22csrmvn_adaptive_kernelIii21rocsparse_complex_numIfES2_S2_S2_EEvbT_PKS3_PjPKT0_NS_24const_host_device_scalarIT4_EES5_S9_PKT1_PKT2_SC_PT3_21rocsparse_index_base_b,comdat
	.globl	_ZN9rocsparseL22csrmvn_adaptive_kernelIii21rocsparse_complex_numIfES2_S2_S2_EEvbT_PKS3_PjPKT0_NS_24const_host_device_scalarIT4_EES5_S9_PKT1_PKT2_SC_PT3_21rocsparse_index_base_b ; -- Begin function _ZN9rocsparseL22csrmvn_adaptive_kernelIii21rocsparse_complex_numIfES2_S2_S2_EEvbT_PKS3_PjPKT0_NS_24const_host_device_scalarIT4_EES5_S9_PKT1_PKT2_SC_PT3_21rocsparse_index_base_b
	.p2align	8
	.type	_ZN9rocsparseL22csrmvn_adaptive_kernelIii21rocsparse_complex_numIfES2_S2_S2_EEvbT_PKS3_PjPKT0_NS_24const_host_device_scalarIT4_EES5_S9_PKT1_PKT2_SC_PT3_21rocsparse_index_base_b,@function
_ZN9rocsparseL22csrmvn_adaptive_kernelIii21rocsparse_complex_numIfES2_S2_S2_EEvbT_PKS3_PjPKT0_NS_24const_host_device_scalarIT4_EES5_S9_PKT1_PKT2_SC_PT3_21rocsparse_index_base_b: ; @_ZN9rocsparseL22csrmvn_adaptive_kernelIii21rocsparse_complex_numIfES2_S2_S2_EEvbT_PKS3_PjPKT0_NS_24const_host_device_scalarIT4_EES5_S9_PKT1_PKT2_SC_PT3_21rocsparse_index_base_b
; %bb.0:
	s_clause 0x2
	s_load_b64 s[28:29], s[0:1], 0x58
	s_load_b64 s[4:5], s[0:1], 0x20
	;; [unrolled: 1-line block ×3, first 2 shown]
	s_mov_b32 s34, s15
	s_waitcnt lgkmcnt(0)
	s_bitcmp1_b32 s29, 0
	v_mov_b32_e32 v10, s4
	s_cselect_b32 s6, -1, 0
	s_delay_alu instid0(SALU_CYCLE_1)
	s_and_b32 vcc_lo, exec_lo, s6
	s_xor_b32 s6, s6, -1
	s_cbranch_vccz .LBB22_37
; %bb.1:
	v_cndmask_b32_e64 v1, 0, 1, s6
	v_mov_b32_e32 v11, s5
	s_and_not1_b32 vcc_lo, exec_lo, s6
	s_cbranch_vccz .LBB22_38
.LBB22_2:
	s_delay_alu instid0(VALU_DEP_2)
	v_cmp_ne_u32_e32 vcc_lo, 1, v1
	v_mov_b32_e32 v8, s2
	s_cbranch_vccz .LBB22_39
.LBB22_3:
	v_cmp_ne_u32_e32 vcc_lo, 1, v1
	v_mov_b32_e32 v9, s3
	s_cbranch_vccnz .LBB22_5
.LBB22_4:
	v_dual_mov_b32 v1, s2 :: v_dual_mov_b32 v2, s3
	flat_load_b32 v9, v[1:2] offset:4
.LBB22_5:
	s_waitcnt vmcnt(0) lgkmcnt(0)
	v_cmp_eq_f32_e32 vcc_lo, 0, v10
	v_cmp_eq_f32_e64 s2, 0, v11
	s_delay_alu instid0(VALU_DEP_1)
	s_and_b32 s4, vcc_lo, s2
	s_mov_b32 s2, -1
	s_and_saveexec_b32 s3, s4
; %bb.6:
	v_cmp_neq_f32_e32 vcc_lo, 1.0, v8
	v_cmp_neq_f32_e64 s2, 0, v9
	s_delay_alu instid0(VALU_DEP_1) | instskip(NEXT) | instid1(SALU_CYCLE_1)
	s_or_b32 s2, vcc_lo, s2
	s_or_not1_b32 s2, s2, exec_lo
; %bb.7:
	s_or_b32 exec_lo, exec_lo, s3
	s_and_saveexec_b32 s3, s2
	s_cbranch_execz .LBB22_125
; %bb.8:
	s_clause 0x1
	s_load_b128 s[20:23], s[0:1], 0x0
	s_load_b64 s[4:5], s[0:1], 0x18
	s_waitcnt lgkmcnt(0)
	s_bitcmp1_b32 s20, 0
	s_cselect_b32 s29, -1, 0
	s_ashr_i32 s35, s34, 31
	s_delay_alu instid0(SALU_CYCLE_1) | instskip(NEXT) | instid1(SALU_CYCLE_1)
	s_lshl_b64 s[36:37], s[34:35], 2
	s_add_u32 s2, s22, s36
	s_addc_u32 s3, s23, s37
	s_load_b64 s[24:25], s[2:3], 0x0
	s_clause 0x1
	s_load_b256 s[12:19], s[0:1], 0x28
	s_load_b64 s[22:23], s[0:1], 0x50
	s_mov_b32 s3, -1
	s_waitcnt lgkmcnt(0)
	s_sub_i32 s2, s25, s24
	s_add_u32 s4, s4, s36
	s_addc_u32 s5, s5, s37
	s_ashr_i32 s31, s24, 31
	s_mov_b32 s30, s24
	s_delay_alu instid0(SALU_CYCLE_1) | instskip(NEXT) | instid1(SALU_CYCLE_1)
	s_lshl_b64 s[6:7], s[30:31], 2
	s_add_u32 s26, s12, s6
	s_addc_u32 s27, s13, s7
	s_load_b32 s11, s[4:5], 0x0
	s_load_b32 s20, s[26:27], 0x0
	s_cmp_lt_i32 s2, 2
	s_cbranch_scc0 .LBB22_81
; %bb.9:
	s_cmp_lg_u32 s2, 1
	s_cselect_b32 s2, -1, 0
	s_waitcnt lgkmcnt(0)
	s_cmp_lg_u32 s11, 0
	s_cselect_b32 s3, -1, 0
	s_delay_alu instid0(SALU_CYCLE_1) | instskip(NEXT) | instid1(SALU_CYCLE_1)
	s_or_b32 s2, s2, s3
	s_and_b32 vcc_lo, exec_lo, s2
	s_mov_b32 s2, -1
	s_cbranch_vccnz .LBB22_41
; %bb.10:
	s_cmp_le_i32 s25, s24
	s_cbranch_scc1 .LBB22_40
; %bb.11:
	v_cmp_neq_f32_e64 s9, 0, v8
	v_cmp_neq_f32_e64 s10, 0, v9
	v_subrev_nc_u32_e32 v12, s28, v0
	v_dual_mov_b32 v14, 0 :: v_dual_lshlrev_b32 v13, 3, v0
	v_cmp_gt_u32_e32 vcc_lo, 0x80, v0
	s_delay_alu instid0(VALU_DEP_4)
	s_or_b32 s33, s9, s10
	v_cmp_gt_u32_e64 s2, 64, v0
	v_cmp_gt_u32_e64 s3, 32, v0
	;; [unrolled: 1-line block ×6, first 2 shown]
	v_cmp_eq_u32_e64 s8, 0, v0
	s_add_u32 s35, s12, 4
	s_addc_u32 s40, s13, 0
	s_add_u32 s41, s16, 4
	s_addc_u32 s42, s17, 0
	s_mov_b32 s43, s20
	s_mov_b32 s38, s24
	s_branch .LBB22_14
.LBB22_12:                              ;   in Loop: Header=BB22_14 Depth=1
	s_or_b32 exec_lo, exec_lo, s10
	s_lshl_b64 s[44:45], s[38:39], 3
	s_delay_alu instid0(SALU_CYCLE_1)
	s_add_u32 s44, s22, s44
	s_addc_u32 s45, s23, s45
	s_waitcnt lgkmcnt(0)
	global_store_b64 v14, v[1:2], s[44:45]
.LBB22_13:                              ;   in Loop: Header=BB22_14 Depth=1
	s_or_b32 exec_lo, exec_lo, s9
	s_add_i32 s38, s38, 1
	s_delay_alu instid0(SALU_CYCLE_1)
	s_cmp_ge_i32 s38, s25
	s_cbranch_scc1 .LBB22_40
.LBB22_14:                              ; =>This Loop Header: Depth=1
                                        ;     Child Loop BB22_16 Depth 2
	s_ashr_i32 s39, s38, 31
	s_mov_b32 s9, s43
	s_lshl_b64 s[44:45], s[38:39], 2
	v_dual_mov_b32 v2, 0 :: v_dual_add_nc_u32 v1, s9, v12
	s_add_u32 s44, s35, s44
	s_addc_u32 s45, s40, s45
	v_mov_b32_e32 v3, 0
	s_load_b32 s43, s[44:45], 0x0
	s_mov_b32 s44, exec_lo
	s_waitcnt lgkmcnt(0)
	s_sub_i32 s45, s43, s28
	s_delay_alu instid0(SALU_CYCLE_1)
	v_cmpx_gt_i32_e64 s45, v1
	s_cbranch_execz .LBB22_18
; %bb.15:                               ;   in Loop: Header=BB22_14 Depth=1
	v_ashrrev_i32_e32 v2, 31, v1
	v_mov_b32_e32 v3, 0
	s_mov_b32 s46, 0
	s_delay_alu instid0(VALU_DEP_2) | instskip(SKIP_1) | instid1(VALU_DEP_3)
	v_lshlrev_b64 v[4:5], 3, v[1:2]
	v_lshlrev_b64 v[6:7], 2, v[1:2]
	v_mov_b32_e32 v2, v3
	s_delay_alu instid0(VALU_DEP_3) | instskip(NEXT) | instid1(VALU_DEP_1)
	v_add_co_u32 v4, s9, s41, v4
	v_add_co_ci_u32_e64 v5, s9, s42, v5, s9
	s_delay_alu instid0(VALU_DEP_4) | instskip(NEXT) | instid1(VALU_DEP_1)
	v_add_co_u32 v6, s9, s14, v6
	v_add_co_ci_u32_e64 v7, s9, s15, v7, s9
	s_set_inst_prefetch_distance 0x1
	.p2align	6
.LBB22_16:                              ;   Parent Loop BB22_14 Depth=1
                                        ; =>  This Inner Loop Header: Depth=2
	global_load_b32 v15, v[6:7], off
	global_load_b64 v[17:18], v[4:5], off offset:-4
	s_waitcnt vmcnt(1)
	v_subrev_nc_u32_e32 v15, s28, v15
	s_waitcnt vmcnt(0)
	v_cndmask_b32_e64 v18, v18, -v18, s29
	v_add_nc_u32_e32 v1, 0x100, v1
	s_delay_alu instid0(VALU_DEP_3) | instskip(NEXT) | instid1(VALU_DEP_3)
	v_ashrrev_i32_e32 v16, 31, v15
	v_mul_f32_e64 v19, v18, -v11
	v_mul_f32_e32 v18, v18, v10
	s_delay_alu instid0(VALU_DEP_4) | instskip(NEXT) | instid1(VALU_DEP_4)
	v_cmp_le_i32_e64 s10, s45, v1
	v_lshlrev_b64 v[15:16], 3, v[15:16]
	s_delay_alu instid0(VALU_DEP_4) | instskip(NEXT) | instid1(VALU_DEP_4)
	v_fmac_f32_e32 v19, v10, v17
	v_fmac_f32_e32 v18, v11, v17
	s_delay_alu instid0(VALU_DEP_4) | instskip(NEXT) | instid1(VALU_DEP_3)
	s_or_b32 s46, s10, s46
	v_add_co_u32 v15, s9, s18, v15
	s_delay_alu instid0(VALU_DEP_1) | instskip(SKIP_1) | instid1(VALU_DEP_1)
	v_add_co_ci_u32_e64 v16, s9, s19, v16, s9
	v_add_co_u32 v4, s9, 0x800, v4
	v_add_co_ci_u32_e64 v5, s9, 0, v5, s9
	global_load_b64 v[15:16], v[15:16], off
	v_add_co_u32 v6, s9, 0x400, v6
	s_delay_alu instid0(VALU_DEP_1) | instskip(SKIP_3) | instid1(VALU_DEP_2)
	v_add_co_ci_u32_e64 v7, s9, 0, v7, s9
	s_waitcnt vmcnt(0)
	v_fmac_f32_e32 v2, v19, v15
	v_fmac_f32_e32 v3, v18, v15
	v_fma_f32 v2, -v18, v16, v2
	s_delay_alu instid0(VALU_DEP_2)
	v_fmac_f32_e32 v3, v19, v16
	s_and_not1_b32 exec_lo, exec_lo, s46
	s_cbranch_execnz .LBB22_16
; %bb.17:                               ;   in Loop: Header=BB22_14 Depth=1
	s_set_inst_prefetch_distance 0x2
	s_or_b32 exec_lo, exec_lo, s46
.LBB22_18:                              ;   in Loop: Header=BB22_14 Depth=1
	s_delay_alu instid0(SALU_CYCLE_1)
	s_or_b32 exec_lo, exec_lo, s44
	ds_store_b64 v13, v[2:3]
	s_waitcnt lgkmcnt(0)
	s_waitcnt_vscnt null, 0x0
	s_barrier
	buffer_gl0_inv
	s_and_saveexec_b32 s9, vcc_lo
	s_cbranch_execz .LBB22_20
; %bb.19:                               ;   in Loop: Header=BB22_14 Depth=1
	ds_load_2addr_stride64_b64 v[1:4], v13 offset1:2
	s_waitcnt lgkmcnt(0)
	v_dual_add_f32 v1, v3, v1 :: v_dual_add_f32 v2, v4, v2
	ds_store_b64 v13, v[1:2]
.LBB22_20:                              ;   in Loop: Header=BB22_14 Depth=1
	s_or_b32 exec_lo, exec_lo, s9
	s_waitcnt lgkmcnt(0)
	s_barrier
	buffer_gl0_inv
	s_and_saveexec_b32 s9, s2
	s_cbranch_execz .LBB22_22
; %bb.21:                               ;   in Loop: Header=BB22_14 Depth=1
	ds_load_2addr_stride64_b64 v[1:4], v13 offset1:1
	s_waitcnt lgkmcnt(0)
	v_dual_add_f32 v1, v3, v1 :: v_dual_add_f32 v2, v4, v2
	ds_store_b64 v13, v[1:2]
.LBB22_22:                              ;   in Loop: Header=BB22_14 Depth=1
	s_or_b32 exec_lo, exec_lo, s9
	s_waitcnt lgkmcnt(0)
	s_barrier
	buffer_gl0_inv
	s_and_saveexec_b32 s9, s3
	s_cbranch_execz .LBB22_24
; %bb.23:                               ;   in Loop: Header=BB22_14 Depth=1
	ds_load_2addr_b64 v[1:4], v13 offset1:32
	s_waitcnt lgkmcnt(0)
	v_dual_add_f32 v1, v3, v1 :: v_dual_add_f32 v2, v4, v2
	ds_store_b64 v13, v[1:2]
.LBB22_24:                              ;   in Loop: Header=BB22_14 Depth=1
	s_or_b32 exec_lo, exec_lo, s9
	s_waitcnt lgkmcnt(0)
	s_barrier
	buffer_gl0_inv
	s_and_saveexec_b32 s9, s4
	s_cbranch_execz .LBB22_26
; %bb.25:                               ;   in Loop: Header=BB22_14 Depth=1
	ds_load_2addr_b64 v[1:4], v13 offset1:16
	s_waitcnt lgkmcnt(0)
	v_dual_add_f32 v1, v3, v1 :: v_dual_add_f32 v2, v4, v2
	ds_store_b64 v13, v[1:2]
.LBB22_26:                              ;   in Loop: Header=BB22_14 Depth=1
	;; [unrolled: 12-line block ×6, first 2 shown]
	s_or_b32 exec_lo, exec_lo, s9
	s_waitcnt lgkmcnt(0)
	s_barrier
	buffer_gl0_inv
	s_and_saveexec_b32 s9, s8
	s_cbranch_execz .LBB22_13
; %bb.35:                               ;   in Loop: Header=BB22_14 Depth=1
	ds_load_b64 v[1:2], v14
	s_and_saveexec_b32 s10, s33
	s_cbranch_execz .LBB22_12
; %bb.36:                               ;   in Loop: Header=BB22_14 Depth=1
	s_lshl_b64 s[44:45], s[38:39], 3
	s_delay_alu instid0(SALU_CYCLE_1)
	s_add_u32 s44, s22, s44
	s_addc_u32 s45, s23, s45
	global_load_b64 v[3:4], v14, s[44:45]
	s_waitcnt vmcnt(0) lgkmcnt(0)
	v_fma_f32 v1, v8, v3, v1
	v_fmac_f32_e32 v2, v9, v3
	s_delay_alu instid0(VALU_DEP_2) | instskip(NEXT) | instid1(VALU_DEP_2)
	v_fma_f32 v1, -v9, v4, v1
	v_fmac_f32_e32 v2, v8, v4
	s_branch .LBB22_12
.LBB22_37:
	v_dual_mov_b32 v1, s4 :: v_dual_mov_b32 v2, s5
	flat_load_b32 v10, v[1:2]
	v_cndmask_b32_e64 v1, 0, 1, s6
	v_mov_b32_e32 v11, s5
	s_and_not1_b32 vcc_lo, exec_lo, s6
	s_cbranch_vccnz .LBB22_2
.LBB22_38:
	v_dual_mov_b32 v2, s4 :: v_dual_mov_b32 v3, s5
	flat_load_b32 v11, v[2:3] offset:4
	v_cmp_ne_u32_e32 vcc_lo, 1, v1
	v_mov_b32_e32 v8, s2
	s_cbranch_vccnz .LBB22_3
.LBB22_39:
	v_dual_mov_b32 v2, s2 :: v_dual_mov_b32 v3, s3
	flat_load_b32 v8, v[2:3]
	v_cmp_ne_u32_e32 vcc_lo, 1, v1
	v_mov_b32_e32 v9, s3
	s_cbranch_vccz .LBB22_4
	s_branch .LBB22_5
.LBB22_40:
	s_mov_b32 s2, 0
.LBB22_41:
	s_delay_alu instid0(SALU_CYCLE_1)
	s_and_not1_b32 vcc_lo, exec_lo, s2
	s_cbranch_vccnz .LBB22_80
; %bb.42:
	s_load_b64 s[4:5], s[0:1], 0x10
	s_sub_i32 s6, s34, s11
	v_or_b32_e32 v1, s11, v0
	v_mov_b32_e32 v2, 0
	s_delay_alu instid0(VALU_DEP_2)
	v_cmp_eq_u32_e32 vcc_lo, 0, v1
	v_mov_b32_e32 v1, 0
	s_waitcnt lgkmcnt(0)
	s_add_u32 s2, s4, s36
	s_addc_u32 s3, s5, s37
	s_load_b32 s8, s[2:3], 0x0
	s_and_saveexec_b32 s0, vcc_lo
	s_cbranch_execz .LBB22_46
; %bb.43:
	s_lshl_b64 s[34:35], s[30:31], 3
	v_dual_mov_b32 v5, 0 :: v_dual_add_f32 v6, -1.0, v8
	s_add_u32 s34, s22, s34
	s_addc_u32 s35, s23, s35
	s_mov_b32 s1, exec_lo
	global_load_b64 v[3:4], v5, s[34:35]
	v_mbcnt_lo_u32_b32 v7, s1, 0
	s_mov_b32 s9, exec_lo
	s_waitcnt vmcnt(0) expcnt(0) lgkmcnt(0)
	s_waitcnt_vscnt null, 0x0
	v_mul_f32_e64 v1, v4, -v9
	v_mul_f32_e32 v2, v6, v4
	v_cmpx_eq_u32_e32 0, v7
	s_cbranch_execz .LBB22_45
; %bb.44:
	s_ashr_i32 s7, s6, 31
	s_delay_alu instid0(SALU_CYCLE_1) | instskip(NEXT) | instid1(SALU_CYCLE_1)
	s_lshl_b64 s[34:35], s[6:7], 2
	s_add_u32 s34, s4, s34
	s_addc_u32 s35, s5, s35
	s_bcnt1_i32_b32 s1, s1
	s_delay_alu instid0(SALU_CYCLE_1) | instskip(NEXT) | instid1(SALU_CYCLE_1)
	s_and_b32 s1, s1, 1
	v_mov_b32_e32 v4, s1
	global_atomic_xor_b32 v5, v4, s[34:35]
.LBB22_45:
	s_or_b32 exec_lo, exec_lo, s9
	v_fmac_f32_e32 v1, v6, v3
	v_fmac_f32_e32 v2, v9, v3
.LBB22_46:
	s_or_b32 exec_lo, exec_lo, s0
	s_load_b32 s0, s[26:27], 0x4
	s_mul_i32 s1, s11, 0xc00
	s_sub_i32 s7, s20, s28
	s_delay_alu instid0(SALU_CYCLE_1)
	s_add_i32 s7, s7, s1
	s_mov_b32 s1, exec_lo
	v_add_nc_u32_e32 v3, s7, v0
	s_waitcnt lgkmcnt(0)
	s_sub_i32 s0, s0, s28
	s_delay_alu instid0(VALU_DEP_1) | instid1(SALU_CYCLE_1)
	v_cmpx_gt_i32_e64 s0, v3
	s_cbranch_execz .LBB22_50
; %bb.47:
	v_ashrrev_i32_e32 v4, 31, v3
	s_addk_i32 s7, 0xc00
	s_mov_b32 s9, 0
	s_min_i32 s7, s7, s0
	s_delay_alu instid0(VALU_DEP_1) | instskip(NEXT) | instid1(VALU_DEP_1)
	v_lshlrev_b64 v[5:6], 3, v[3:4]
	v_add_co_u32 v5, vcc_lo, v5, s16
	s_delay_alu instid0(VALU_DEP_2) | instskip(SKIP_1) | instid1(VALU_DEP_3)
	v_add_co_ci_u32_e32 v12, vcc_lo, s17, v6, vcc_lo
	v_lshlrev_b64 v[6:7], 2, v[3:4]
	v_add_co_u32 v4, vcc_lo, v5, 4
	s_delay_alu instid0(VALU_DEP_3) | instskip(NEXT) | instid1(VALU_DEP_3)
	v_add_co_ci_u32_e32 v5, vcc_lo, 0, v12, vcc_lo
	v_add_co_u32 v6, vcc_lo, s14, v6
	s_delay_alu instid0(VALU_DEP_4)
	v_add_co_ci_u32_e32 v7, vcc_lo, s15, v7, vcc_lo
	s_set_inst_prefetch_distance 0x1
	.p2align	6
.LBB22_48:                              ; =>This Inner Loop Header: Depth=1
	global_load_b32 v12, v[6:7], off
	global_load_b64 v[14:15], v[4:5], off offset:-4
	s_waitcnt vmcnt(1)
	v_subrev_nc_u32_e32 v12, s28, v12
	s_waitcnt vmcnt(0)
	v_cndmask_b32_e64 v15, v15, -v15, s29
	s_delay_alu instid0(VALU_DEP_2) | instskip(NEXT) | instid1(VALU_DEP_2)
	v_ashrrev_i32_e32 v13, 31, v12
	v_mul_f32_e64 v16, v15, -v11
	v_add_nc_u32_e32 v3, 0x100, v3
	s_delay_alu instid0(VALU_DEP_3) | instskip(NEXT) | instid1(VALU_DEP_3)
	v_lshlrev_b64 v[12:13], 3, v[12:13]
	v_fmac_f32_e32 v16, v10, v14
	s_delay_alu instid0(VALU_DEP_3) | instskip(NEXT) | instid1(VALU_DEP_3)
	v_cmp_le_i32_e64 s0, s7, v3
	v_add_co_u32 v12, vcc_lo, s18, v12
	s_delay_alu instid0(VALU_DEP_4)
	v_add_co_ci_u32_e32 v13, vcc_lo, s19, v13, vcc_lo
	v_add_co_u32 v4, vcc_lo, 0x800, v4
	v_add_co_ci_u32_e32 v5, vcc_lo, 0, v5, vcc_lo
	global_load_b64 v[12:13], v[12:13], off
	v_mul_f32_e32 v15, v15, v10
	v_add_co_u32 v6, vcc_lo, 0x400, v6
	v_add_co_ci_u32_e32 v7, vcc_lo, 0, v7, vcc_lo
	s_delay_alu instid0(VALU_DEP_3) | instskip(SKIP_3) | instid1(VALU_DEP_2)
	v_fmac_f32_e32 v15, v11, v14
	s_or_b32 s9, s0, s9
	s_waitcnt vmcnt(0)
	v_fmac_f32_e32 v1, v16, v12
	v_fmac_f32_e32 v2, v15, v12
	s_delay_alu instid0(VALU_DEP_2) | instskip(NEXT) | instid1(VALU_DEP_2)
	v_fma_f32 v1, -v15, v13, v1
	v_fmac_f32_e32 v2, v16, v13
	s_and_not1_b32 exec_lo, exec_lo, s9
	s_cbranch_execnz .LBB22_48
; %bb.49:
	s_set_inst_prefetch_distance 0x2
	s_or_b32 exec_lo, exec_lo, s9
.LBB22_50:
	s_delay_alu instid0(SALU_CYCLE_1)
	s_or_b32 exec_lo, exec_lo, s1
	v_lshlrev_b32_e32 v3, 3, v0
	s_mov_b32 s0, exec_lo
	ds_store_b64 v3, v[1:2]
	s_waitcnt lgkmcnt(0)
	s_waitcnt_vscnt null, 0x0
	s_barrier
	buffer_gl0_inv
	v_cmpx_gt_u32_e32 0x80, v0
	s_cbranch_execz .LBB22_52
; %bb.51:
	ds_load_2addr_stride64_b64 v[4:7], v3 offset1:2
	s_waitcnt lgkmcnt(0)
	v_dual_add_f32 v1, v6, v4 :: v_dual_add_f32 v2, v7, v5
	ds_store_b64 v3, v[1:2]
.LBB22_52:
	s_or_b32 exec_lo, exec_lo, s0
	s_delay_alu instid0(SALU_CYCLE_1)
	s_mov_b32 s0, exec_lo
	s_waitcnt lgkmcnt(0)
	s_barrier
	buffer_gl0_inv
	v_cmpx_gt_u32_e32 64, v0
	s_cbranch_execz .LBB22_54
; %bb.53:
	ds_load_2addr_stride64_b64 v[4:7], v3 offset1:1
	s_waitcnt lgkmcnt(0)
	v_dual_add_f32 v1, v6, v4 :: v_dual_add_f32 v2, v7, v5
	ds_store_b64 v3, v[1:2]
.LBB22_54:
	s_or_b32 exec_lo, exec_lo, s0
	s_delay_alu instid0(SALU_CYCLE_1)
	s_mov_b32 s0, exec_lo
	s_waitcnt lgkmcnt(0)
	s_barrier
	buffer_gl0_inv
	v_cmpx_gt_u32_e32 32, v0
	s_cbranch_execz .LBB22_56
; %bb.55:
	ds_load_2addr_b64 v[4:7], v3 offset1:32
	s_waitcnt lgkmcnt(0)
	v_dual_add_f32 v1, v6, v4 :: v_dual_add_f32 v2, v7, v5
	ds_store_b64 v3, v[1:2]
.LBB22_56:
	s_or_b32 exec_lo, exec_lo, s0
	s_delay_alu instid0(SALU_CYCLE_1)
	s_mov_b32 s0, exec_lo
	s_waitcnt lgkmcnt(0)
	s_barrier
	buffer_gl0_inv
	v_cmpx_gt_u32_e32 16, v0
	s_cbranch_execz .LBB22_58
; %bb.57:
	ds_load_2addr_b64 v[4:7], v3 offset1:16
	s_waitcnt lgkmcnt(0)
	v_dual_add_f32 v1, v6, v4 :: v_dual_add_f32 v2, v7, v5
	ds_store_b64 v3, v[1:2]
.LBB22_58:
	;; [unrolled: 14-line block ×5, first 2 shown]
	s_or_b32 exec_lo, exec_lo, s0
	v_cmp_eq_u32_e32 vcc_lo, 0, v0
	s_waitcnt lgkmcnt(0)
	s_barrier
	buffer_gl0_inv
	s_and_saveexec_b32 s0, vcc_lo
	s_cbranch_execz .LBB22_66
; %bb.65:
	v_mov_b32_e32 v5, 0
	ds_load_2addr_b64 v[1:4], v5 offset1:1
	s_waitcnt lgkmcnt(0)
	v_dual_add_f32 v2, v4, v2 :: v_dual_add_f32 v1, v3, v1
	ds_store_b64 v5, v[1:2]
.LBB22_66:
	s_or_b32 exec_lo, exec_lo, s0
	s_waitcnt lgkmcnt(0)
	s_barrier
	buffer_gl0_inv
	s_and_saveexec_b32 s9, vcc_lo
	s_cbranch_execz .LBB22_79
; %bb.67:
	s_cmp_eq_u32 s11, 0
	s_cbranch_scc1 .LBB22_73
; %bb.68:
	s_ashr_i32 s7, s6, 31
	v_mov_b32_e32 v1, 0
	s_lshl_b64 s[0:1], s[6:7], 2
	s_delay_alu instid0(SALU_CYCLE_1)
	s_add_u32 s0, s4, s0
	s_addc_u32 s1, s5, s1
	s_branch .LBB22_70
.LBB22_69:                              ;   in Loop: Header=BB22_70 Depth=1
	s_or_b32 exec_lo, exec_lo, s4
	s_waitcnt vmcnt(0)
	v_readfirstlane_b32 s4, v2
	s_delay_alu instid0(VALU_DEP_1)
	s_cmp_eq_u32 s4, s8
	s_cbranch_scc0 .LBB22_72
.LBB22_70:                              ; =>This Inner Loop Header: Depth=1
	v_mbcnt_lo_u32_b32 v2, exec_lo, 0
	s_delay_alu instid0(VALU_DEP_1)
	v_cmp_eq_u32_e32 vcc_lo, 0, v2
                                        ; implicit-def: $vgpr2
	s_and_saveexec_b32 s4, vcc_lo
	s_cbranch_execz .LBB22_69
; %bb.71:                               ;   in Loop: Header=BB22_70 Depth=1
	global_load_b32 v2, v1, s[0:1] glc
	s_branch .LBB22_69
.LBB22_72:
	v_mov_b32_e32 v1, 0
	global_load_b32 v2, v1, s[2:3]
	s_waitcnt vmcnt(0)
	v_xor_b32_e32 v2, 1, v2
	global_store_b32 v1, v2, s[2:3]
.LBB22_73:
	v_mov_b32_e32 v5, 0
	s_mov_b32 s3, exec_lo
	s_lshl_b64 s[0:1], s[30:31], 3
	v_mbcnt_lo_u32_b32 v3, s3, 0
	s_add_u32 s0, s22, s0
	ds_load_b64 v[1:2], v5
	s_addc_u32 s1, s23, s1
	s_mov_b32 s2, exec_lo
	v_cmpx_eq_u32_e32 0, v3
	s_cbranch_execz .LBB22_76
; %bb.74:
	global_load_b32 v4, v5, s[0:1]
	s_bcnt1_i32_b32 s3, s3
	s_delay_alu instid0(SALU_CYCLE_1) | instskip(SKIP_2) | instid1(VALU_DEP_1)
	v_cvt_f32_ubyte0_e32 v3, s3
	s_mov_b32 s3, 0
	s_waitcnt lgkmcnt(0)
	v_mul_f32_e32 v1, v1, v3
.LBB22_75:                              ; =>This Inner Loop Header: Depth=1
	s_waitcnt vmcnt(0)
	s_delay_alu instid0(VALU_DEP_1)
	v_add_f32_e32 v3, v4, v1
	global_atomic_cmpswap_b32 v3, v5, v[3:4], s[0:1] glc
	s_waitcnt vmcnt(0)
	v_cmp_eq_u32_e32 vcc_lo, v3, v4
	v_mov_b32_e32 v4, v3
	s_or_b32 s3, vcc_lo, s3
	s_delay_alu instid0(SALU_CYCLE_1)
	s_and_not1_b32 exec_lo, exec_lo, s3
	s_cbranch_execnz .LBB22_75
.LBB22_76:
	s_or_b32 exec_lo, exec_lo, s2
	s_delay_alu instid0(SALU_CYCLE_1) | instskip(SKIP_3) | instid1(VALU_DEP_1)
	s_mov_b32 s3, exec_lo
	s_mov_b32 s2, 0
	s_waitcnt lgkmcnt(0)
	v_mbcnt_lo_u32_b32 v1, s3, 0
	v_cmp_eq_u32_e32 vcc_lo, 0, v1
	s_and_b32 s4, exec_lo, vcc_lo
	s_delay_alu instid0(SALU_CYCLE_1)
	s_mov_b32 exec_lo, s4
	s_cbranch_execz .LBB22_79
; %bb.77:
	s_bcnt1_i32_b32 s3, s3
	s_delay_alu instid0(SALU_CYCLE_1) | instskip(NEXT) | instid1(VALU_DEP_1)
	v_cvt_f32_ubyte0_e32 v4, s3
	v_dual_mov_b32 v1, 0 :: v_dual_mul_f32 v4, v2, v4
	global_load_b32 v3, v1, s[0:1] offset:4
.LBB22_78:                              ; =>This Inner Loop Header: Depth=1
	s_waitcnt vmcnt(0)
	v_add_f32_e32 v2, v3, v4
	global_atomic_cmpswap_b32 v2, v1, v[2:3], s[0:1] offset:4 glc
	s_waitcnt vmcnt(0)
	v_cmp_eq_u32_e32 vcc_lo, v2, v3
	v_mov_b32_e32 v3, v2
	s_or_b32 s2, vcc_lo, s2
	s_delay_alu instid0(SALU_CYCLE_1)
	s_and_not1_b32 exec_lo, exec_lo, s2
	s_cbranch_execnz .LBB22_78
.LBB22_79:
	s_or_b32 exec_lo, exec_lo, s9
.LBB22_80:
	s_mov_b32 s3, 0
.LBB22_81:
	s_delay_alu instid0(SALU_CYCLE_1)
	s_and_not1_b32 vcc_lo, exec_lo, s3
	s_cbranch_vccnz .LBB22_125
; %bb.82:
	v_subrev_nc_u32_e32 v1, s28, v0
	s_mov_b32 s0, exec_lo
	s_waitcnt lgkmcnt(0)
	s_delay_alu instid0(VALU_DEP_1) | instskip(NEXT) | instid1(VALU_DEP_1)
	v_add_nc_u32_e32 v1, s20, v1
	v_add_nc_u32_e32 v2, 0x300, v1
	s_delay_alu instid0(VALU_DEP_1)
	v_cmpx_le_i32_e64 s21, v2
	s_xor_b32 s0, exec_lo, s0
	s_cbranch_execz .LBB22_87
; %bb.83:
	s_ashr_i32 s3, s25, 31
	s_mov_b32 s2, s25
	s_delay_alu instid0(SALU_CYCLE_1) | instskip(NEXT) | instid1(SALU_CYCLE_1)
	s_lshl_b64 s[2:3], s[2:3], 2
	s_add_u32 s2, s12, s2
	s_addc_u32 s3, s13, s3
	s_load_b32 s1, s[2:3], 0x0
	s_mov_b32 s2, exec_lo
	s_waitcnt lgkmcnt(0)
	s_sub_i32 s1, s1, s28
	s_delay_alu instid0(SALU_CYCLE_1)
	v_cmpx_gt_i32_e64 s1, v1
	s_cbranch_execz .LBB22_86
; %bb.84:
	v_lshlrev_b32_e32 v3, 3, v0
	s_mov_b32 s3, 0
	s_set_inst_prefetch_distance 0x1
	.p2align	6
.LBB22_85:                              ; =>This Inner Loop Header: Depth=1
	v_ashrrev_i32_e32 v2, 31, v1
	s_delay_alu instid0(VALU_DEP_1) | instskip(NEXT) | instid1(VALU_DEP_1)
	v_lshlrev_b64 v[4:5], 2, v[1:2]
	v_add_co_u32 v4, vcc_lo, s14, v4
	s_delay_alu instid0(VALU_DEP_2) | instskip(SKIP_3) | instid1(VALU_DEP_2)
	v_add_co_ci_u32_e32 v5, vcc_lo, s15, v5, vcc_lo
	global_load_b32 v6, v[4:5], off
	v_lshlrev_b64 v[4:5], 3, v[1:2]
	v_add_nc_u32_e32 v1, 0x100, v1
	v_add_co_u32 v4, vcc_lo, s16, v4
	s_delay_alu instid0(VALU_DEP_3) | instskip(SKIP_3) | instid1(VALU_DEP_1)
	v_add_co_ci_u32_e32 v5, vcc_lo, s17, v5, vcc_lo
	global_load_b64 v[4:5], v[4:5], off
	s_waitcnt vmcnt(1)
	v_subrev_nc_u32_e32 v6, s28, v6
	v_ashrrev_i32_e32 v7, 31, v6
	s_delay_alu instid0(VALU_DEP_1) | instskip(SKIP_2) | instid1(VALU_DEP_2)
	v_lshlrev_b64 v[6:7], 3, v[6:7]
	s_waitcnt vmcnt(0)
	v_cndmask_b32_e64 v2, v5, -v5, s29
	v_add_co_u32 v6, vcc_lo, s18, v6
	s_delay_alu instid0(VALU_DEP_3) | instskip(NEXT) | instid1(VALU_DEP_3)
	v_add_co_ci_u32_e32 v7, vcc_lo, s19, v7, vcc_lo
	v_mul_f32_e32 v12, v2, v10
	v_mul_f32_e64 v2, v2, -v11
	v_cmp_le_i32_e32 vcc_lo, s1, v1
	global_load_b64 v[6:7], v[6:7], off
	v_fmac_f32_e32 v12, v11, v4
	v_fmac_f32_e32 v2, v10, v4
	s_or_b32 s3, vcc_lo, s3
	s_waitcnt vmcnt(0)
	s_delay_alu instid0(VALU_DEP_2) | instskip(NEXT) | instid1(VALU_DEP_2)
	v_mul_f32_e64 v4, v7, -v12
	v_mul_f32_e32 v5, v7, v2
	s_delay_alu instid0(VALU_DEP_1) | instskip(NEXT) | instid1(VALU_DEP_3)
	v_fmac_f32_e32 v5, v12, v6
	v_fmac_f32_e32 v4, v2, v6
	ds_store_b64 v3, v[4:5]
	v_add_nc_u32_e32 v3, 0x800, v3
	s_and_not1_b32 exec_lo, exec_lo, s3
	s_cbranch_execnz .LBB22_85
.LBB22_86:
	s_set_inst_prefetch_distance 0x2
	s_or_b32 exec_lo, exec_lo, s2
                                        ; implicit-def: $vgpr1
                                        ; implicit-def: $vgpr11
                                        ; implicit-def: $vgpr10
.LBB22_87:
	s_or_saveexec_b32 s0, s0
	v_lshlrev_b32_e32 v7, 3, v0
	s_xor_b32 exec_lo, exec_lo, s0
	s_cbranch_execz .LBB22_89
; %bb.88:
	v_ashrrev_i32_e32 v2, 31, v1
	s_delay_alu instid0(VALU_DEP_1) | instskip(SKIP_1) | instid1(VALU_DEP_2)
	v_lshlrev_b64 v[3:4], 2, v[1:2]
	v_lshlrev_b64 v[1:2], 3, v[1:2]
	v_add_co_u32 v3, vcc_lo, s14, v3
	s_delay_alu instid0(VALU_DEP_3) | instskip(NEXT) | instid1(VALU_DEP_3)
	v_add_co_ci_u32_e32 v4, vcc_lo, s15, v4, vcc_lo
	v_add_co_u32 v1, vcc_lo, s16, v1
	s_delay_alu instid0(VALU_DEP_4)
	v_add_co_ci_u32_e32 v2, vcc_lo, s17, v2, vcc_lo
	s_clause 0x3
	global_load_b32 v5, v[3:4], off
	global_load_b32 v14, v[3:4], off offset:1024
	global_load_b32 v15, v[3:4], off offset:2048
	;; [unrolled: 1-line block ×3, first 2 shown]
	s_waitcnt vmcnt(3)
	v_subrev_nc_u32_e32 v3, s28, v5
	s_waitcnt vmcnt(2)
	v_subrev_nc_u32_e32 v14, s28, v14
	s_clause 0x1
	global_load_b64 v[5:6], v[1:2], off
	global_load_b64 v[12:13], v[1:2], off offset:2048
	v_add_co_u32 v1, vcc_lo, 0x1000, v1
	s_waitcnt vmcnt(2)
	v_subrev_nc_u32_e32 v18, s28, v4
	v_ashrrev_i32_e32 v4, 31, v3
	v_subrev_nc_u32_e32 v16, s28, v15
	v_add_co_ci_u32_e32 v2, vcc_lo, 0, v2, vcc_lo
	v_ashrrev_i32_e32 v15, 31, v14
	s_delay_alu instid0(VALU_DEP_4) | instskip(NEXT) | instid1(VALU_DEP_4)
	v_lshlrev_b64 v[3:4], 3, v[3:4]
	v_ashrrev_i32_e32 v17, 31, v16
	s_clause 0x1
	global_load_b64 v[20:21], v[1:2], off
	global_load_b64 v[1:2], v[1:2], off offset:2048
	v_ashrrev_i32_e32 v19, 31, v18
	v_lshlrev_b64 v[14:15], 3, v[14:15]
	v_lshlrev_b64 v[16:17], 3, v[16:17]
	v_add_co_u32 v3, vcc_lo, s18, v3
	v_add_co_ci_u32_e32 v4, vcc_lo, s19, v4, vcc_lo
	v_lshlrev_b64 v[18:19], 3, v[18:19]
	v_add_co_u32 v14, vcc_lo, s18, v14
	v_add_co_ci_u32_e32 v15, vcc_lo, s19, v15, vcc_lo
	v_add_co_u32 v16, vcc_lo, s18, v16
	v_add_co_ci_u32_e32 v17, vcc_lo, s19, v17, vcc_lo
	global_load_b64 v[3:4], v[3:4], off
	v_add_co_u32 v18, vcc_lo, s18, v18
	v_add_co_ci_u32_e32 v19, vcc_lo, s19, v19, vcc_lo
	s_clause 0x2
	global_load_b64 v[14:15], v[14:15], off
	global_load_b64 v[16:17], v[16:17], off
	;; [unrolled: 1-line block ×3, first 2 shown]
	s_waitcnt vmcnt(7)
	v_cndmask_b32_e64 v6, v6, -v6, s29
	s_waitcnt vmcnt(6)
	v_cndmask_b32_e64 v13, v13, -v13, s29
	s_delay_alu instid0(VALU_DEP_2) | instskip(NEXT) | instid1(VALU_DEP_2)
	v_mul_f32_e64 v22, v6, -v11
	v_mul_f32_e64 v23, v13, -v11
	s_delay_alu instid0(VALU_DEP_1) | instskip(SKIP_4) | instid1(VALU_DEP_2)
	v_dual_mul_f32 v24, v13, v10 :: v_dual_fmac_f32 v23, v10, v12
	s_waitcnt vmcnt(5)
	v_cndmask_b32_e64 v13, v21, -v21, s29
	s_waitcnt vmcnt(4)
	v_cndmask_b32_e64 v2, v2, -v2, s29
	v_dual_fmac_f32 v22, v10, v5 :: v_dual_mul_f32 v25, v13, v10
	v_mul_f32_e32 v6, v6, v10
	v_mul_f32_e64 v21, v13, -v11
	s_delay_alu instid0(VALU_DEP_4) | instskip(SKIP_2) | instid1(VALU_DEP_4)
	v_mul_f32_e64 v26, v2, -v11
	v_mul_f32_e32 v27, v2, v10
	v_fmac_f32_e32 v25, v11, v20
	v_dual_fmac_f32 v6, v11, v5 :: v_dual_fmac_f32 v21, v10, v20
	s_delay_alu instid0(VALU_DEP_4)
	v_fmac_f32_e32 v26, v10, v1
	s_waitcnt vmcnt(3)
	v_mul_f32_e32 v2, v4, v22
	v_fmac_f32_e32 v24, v11, v12
	v_fmac_f32_e32 v27, v11, v1
	v_mul_f32_e64 v1, v4, -v6
	s_waitcnt vmcnt(2)
	v_mul_f32_e32 v5, v15, v23
	s_waitcnt vmcnt(1)
	v_dual_fmac_f32 v2, v6, v3 :: v_dual_mul_f32 v11, v17, v21
	v_mul_f32_e64 v4, v15, -v24
	v_mul_f32_e64 v10, v17, -v25
	s_waitcnt vmcnt(0)
	v_mul_f32_e64 v12, v19, -v27
	v_mul_f32_e32 v13, v19, v26
	v_dual_fmac_f32 v1, v22, v3 :: v_dual_fmac_f32 v4, v23, v14
	v_dual_fmac_f32 v5, v24, v14 :: v_dual_fmac_f32 v10, v21, v16
	s_delay_alu instid0(VALU_DEP_4) | instskip(NEXT) | instid1(VALU_DEP_4)
	v_dual_fmac_f32 v11, v25, v16 :: v_dual_fmac_f32 v12, v26, v18
	v_fmac_f32_e32 v13, v27, v18
	ds_store_2addr_stride64_b64 v7, v[1:2], v[4:5] offset1:4
	ds_store_2addr_stride64_b64 v7, v[10:11], v[12:13] offset0:8 offset1:12
.LBB22_89:
	s_or_b32 exec_lo, exec_lo, s0
	s_cmp_lt_i32 s11, 2
	s_mov_b32 s0, -1
	s_waitcnt lgkmcnt(0)
	s_waitcnt_vscnt null, 0x0
	s_barrier
	buffer_gl0_inv
	s_cbranch_scc0 .LBB22_100
; %bb.90:
	v_add_nc_u32_e32 v1, s24, v0
	s_mov_b32 s1, exec_lo
	s_delay_alu instid0(VALU_DEP_1)
	v_cmpx_gt_i32_e64 s25, v1
	s_cbranch_execz .LBB22_99
; %bb.91:
	v_cmp_neq_f32_e32 vcc_lo, 0, v8
	v_cmp_neq_f32_e64 s0, 0, v9
	s_lshl_b32 s4, s20, 3
	s_mov_b32 s2, 0
	s_sub_i32 s4, 0, s4
	s_delay_alu instid0(VALU_DEP_1)
	s_or_b32 s3, vcc_lo, s0
	s_branch .LBB22_93
.LBB22_92:                              ;   in Loop: Header=BB22_93 Depth=1
	s_or_b32 exec_lo, exec_lo, s0
	v_add_nc_u32_e32 v1, 0x100, v1
	s_delay_alu instid0(VALU_DEP_2) | instskip(NEXT) | instid1(VALU_DEP_1)
	v_add_co_u32 v5, s0, s22, v5
	v_add_co_ci_u32_e64 v6, s0, s23, v6, s0
	s_delay_alu instid0(VALU_DEP_3) | instskip(SKIP_2) | instid1(SALU_CYCLE_1)
	v_cmp_le_i32_e32 vcc_lo, s25, v1
	global_store_b64 v[5:6], v[3:4], off
	s_or_b32 s2, vcc_lo, s2
	s_and_not1_b32 exec_lo, exec_lo, s2
	s_cbranch_execz .LBB22_99
.LBB22_93:                              ; =>This Loop Header: Depth=1
                                        ;     Child Loop BB22_95 Depth 2
	v_ashrrev_i32_e32 v2, 31, v1
	s_mov_b32 s0, exec_lo
	s_delay_alu instid0(VALU_DEP_1) | instskip(NEXT) | instid1(VALU_DEP_1)
	v_lshlrev_b64 v[3:4], 2, v[1:2]
	v_add_co_u32 v3, vcc_lo, s12, v3
	s_delay_alu instid0(VALU_DEP_2)
	v_add_co_ci_u32_e32 v4, vcc_lo, s13, v4, vcc_lo
	global_load_b64 v[5:6], v[3:4], off
	v_dual_mov_b32 v4, 0 :: v_dual_mov_b32 v3, 0
	s_waitcnt vmcnt(0)
	v_cmpx_lt_i32_e64 v5, v6
	s_cbranch_execz .LBB22_97
; %bb.94:                               ;   in Loop: Header=BB22_93 Depth=1
	v_mov_b32_e32 v4, 0
	v_subrev_nc_u32_e32 v6, s20, v6
	v_subrev_nc_u32_e32 v10, s20, v5
	v_lshl_add_u32 v5, v5, 3, s4
	s_mov_b32 s5, 0
	v_mov_b32_e32 v3, v4
.LBB22_95:                              ;   Parent Loop BB22_93 Depth=1
                                        ; =>  This Inner Loop Header: Depth=2
	ds_load_b64 v[11:12], v5
	v_add_nc_u32_e32 v10, 1, v10
	s_waitcnt lgkmcnt(0)
	v_dual_add_f32 v4, v4, v12 :: v_dual_add_nc_u32 v5, 8, v5
	v_add_f32_e32 v3, v3, v11
	s_delay_alu instid0(VALU_DEP_3) | instskip(SKIP_1) | instid1(SALU_CYCLE_1)
	v_cmp_ge_i32_e32 vcc_lo, v10, v6
	s_or_b32 s5, vcc_lo, s5
	s_and_not1_b32 exec_lo, exec_lo, s5
	s_cbranch_execnz .LBB22_95
; %bb.96:                               ;   in Loop: Header=BB22_93 Depth=1
	s_or_b32 exec_lo, exec_lo, s5
.LBB22_97:                              ;   in Loop: Header=BB22_93 Depth=1
	s_delay_alu instid0(SALU_CYCLE_1)
	s_or_b32 exec_lo, exec_lo, s0
	v_lshlrev_b64 v[5:6], 3, v[1:2]
	s_and_saveexec_b32 s0, s3
	s_cbranch_execz .LBB22_92
; %bb.98:                               ;   in Loop: Header=BB22_93 Depth=1
	s_delay_alu instid0(VALU_DEP_1) | instskip(NEXT) | instid1(VALU_DEP_2)
	v_add_co_u32 v10, vcc_lo, s22, v5
	v_add_co_ci_u32_e32 v11, vcc_lo, s23, v6, vcc_lo
	global_load_b64 v[10:11], v[10:11], off
	s_waitcnt vmcnt(0)
	v_fmac_f32_e32 v3, v8, v10
	v_fmac_f32_e32 v4, v9, v10
	s_delay_alu instid0(VALU_DEP_2) | instskip(NEXT) | instid1(VALU_DEP_2)
	v_fma_f32 v3, -v9, v11, v3
	v_fmac_f32_e32 v4, v8, v11
	s_branch .LBB22_92
.LBB22_99:
	s_or_b32 exec_lo, exec_lo, s1
	s_mov_b32 s0, 0
.LBB22_100:
	s_delay_alu instid0(SALU_CYCLE_1)
	s_and_not1_b32 vcc_lo, exec_lo, s0
	s_cbranch_vccnz .LBB22_125
; %bb.101:
	s_clz_i32_u32 s0, s11
	s_mov_b32 s1, exec_lo
	s_xor_b32 s0, s0, 31
	v_mov_b32_e32 v2, 0
	v_lshrrev_b32_e32 v4, s0, v0
	s_add_i32 s0, s11, -1
	s_delay_alu instid0(VALU_DEP_2) | instid1(SALU_CYCLE_1)
	v_dual_mov_b32 v3, v2 :: v_dual_and_b32 v0, s0, v0
	s_delay_alu instid0(VALU_DEP_2) | instskip(NEXT) | instid1(VALU_DEP_1)
	v_add_nc_u32_e32 v1, s24, v4
	v_cmp_le_i32_e32 vcc_lo, s25, v1
	v_cmpx_gt_i32_e64 s25, v1
	s_cbranch_execz .LBB22_107
; %bb.102:
	v_lshlrev_b32_e32 v2, 2, v4
	v_subrev_nc_u32_e32 v5, s20, v0
	s_mov_b32 s2, exec_lo
	global_load_b64 v[2:3], v2, s[26:27]
	s_waitcnt vmcnt(0)
	v_subrev_nc_u32_e32 v4, s20, v3
	v_mov_b32_e32 v3, 0
	v_dual_mov_b32 v2, 0 :: v_dual_add_nc_u32 v5, v2, v5
	s_delay_alu instid0(VALU_DEP_1)
	v_cmpx_lt_i32_e64 v5, v4
	s_cbranch_execz .LBB22_106
; %bb.103:
	v_dual_mov_b32 v3, 0 :: v_dual_lshlrev_b32 v6, 3, v5
	s_lshl_b32 s4, s11, 3
	s_mov_b32 s3, 0
	s_delay_alu instid0(VALU_DEP_1)
	v_mov_b32_e32 v2, v3
.LBB22_104:                             ; =>This Inner Loop Header: Depth=1
	ds_load_b64 v[10:11], v6
	v_add_nc_u32_e32 v5, s11, v5
	s_waitcnt lgkmcnt(0)
	v_dual_add_f32 v3, v3, v11 :: v_dual_add_nc_u32 v6, s4, v6
	v_add_f32_e32 v2, v2, v10
	s_delay_alu instid0(VALU_DEP_3) | instskip(NEXT) | instid1(VALU_DEP_1)
	v_cmp_ge_i32_e64 s0, v5, v4
	s_or_b32 s3, s0, s3
	s_delay_alu instid0(SALU_CYCLE_1)
	s_and_not1_b32 exec_lo, exec_lo, s3
	s_cbranch_execnz .LBB22_104
; %bb.105:
	s_or_b32 exec_lo, exec_lo, s3
.LBB22_106:
	s_delay_alu instid0(SALU_CYCLE_1)
	s_or_b32 exec_lo, exec_lo, s2
.LBB22_107:
	s_delay_alu instid0(SALU_CYCLE_1)
	s_or_b32 exec_lo, exec_lo, s1
	s_cmpk_lt_i32 s11, 0x81
	s_waitcnt_vscnt null, 0x0
	s_barrier
	buffer_gl0_inv
	ds_store_b64 v7, v[2:3]
	s_waitcnt lgkmcnt(0)
	s_barrier
	buffer_gl0_inv
	s_cbranch_scc1 .LBB22_109
; %bb.108:
	ds_load_b64 v[4:5], v7 offset:1024
	s_waitcnt lgkmcnt(0)
	s_barrier
	buffer_gl0_inv
	v_dual_add_f32 v2, v2, v4 :: v_dual_add_f32 v3, v3, v5
	ds_store_b64 v7, v[2:3]
.LBB22_109:
	s_cmpk_lt_i32 s11, 0x41
	s_waitcnt lgkmcnt(0)
	s_barrier
	buffer_gl0_inv
	s_cbranch_scc1 .LBB22_111
; %bb.110:
	ds_load_b64 v[4:5], v7 offset:512
	s_waitcnt lgkmcnt(0)
	s_barrier
	buffer_gl0_inv
	v_dual_add_f32 v2, v2, v4 :: v_dual_add_f32 v3, v3, v5
	ds_store_b64 v7, v[2:3]
.LBB22_111:
	s_cmp_lt_i32 s11, 33
	s_waitcnt lgkmcnt(0)
	s_barrier
	buffer_gl0_inv
	s_cbranch_scc1 .LBB22_113
; %bb.112:
	ds_load_b64 v[4:5], v7 offset:256
	s_waitcnt lgkmcnt(0)
	s_barrier
	buffer_gl0_inv
	v_dual_add_f32 v2, v2, v4 :: v_dual_add_f32 v3, v3, v5
	ds_store_b64 v7, v[2:3]
.LBB22_113:
	s_cmp_lt_i32 s11, 17
	;; [unrolled: 13-line block ×4, first 2 shown]
	s_waitcnt lgkmcnt(0)
	s_barrier
	buffer_gl0_inv
	s_cbranch_scc1 .LBB22_119
; %bb.118:
	ds_load_b64 v[4:5], v7 offset:32
	s_waitcnt lgkmcnt(0)
	s_barrier
	buffer_gl0_inv
	v_dual_add_f32 v2, v2, v4 :: v_dual_add_f32 v3, v3, v5
	ds_store_b64 v7, v[2:3]
.LBB22_119:
	s_cmp_eq_u32 s11, 2
	s_waitcnt lgkmcnt(0)
	s_barrier
	buffer_gl0_inv
	s_cbranch_scc1 .LBB22_121
; %bb.120:
	ds_load_b64 v[4:5], v7 offset:16
	s_waitcnt lgkmcnt(0)
	s_barrier
	buffer_gl0_inv
	v_dual_add_f32 v2, v2, v4 :: v_dual_add_f32 v3, v3, v5
	ds_store_b64 v7, v[2:3]
.LBB22_121:
	s_waitcnt lgkmcnt(0)
	s_barrier
	buffer_gl0_inv
	ds_load_b64 v[4:5], v7 offset:8
	v_cmp_eq_u32_e64 s0, 0, v0
	s_xor_b32 s1, vcc_lo, -1
	s_waitcnt lgkmcnt(0)
	s_barrier
	buffer_gl0_inv
	s_and_b32 s0, s0, s1
	v_dual_add_f32 v4, v2, v4 :: v_dual_add_f32 v5, v3, v5
	ds_store_b64 v7, v[4:5]
	s_and_b32 exec_lo, exec_lo, s0
	s_cbranch_execz .LBB22_125
; %bb.122:
	v_ashrrev_i32_e32 v2, 31, v1
	v_cmp_neq_f32_e32 vcc_lo, 0, v8
	v_cmp_neq_f32_e64 s0, 0, v9
	s_delay_alu instid0(VALU_DEP_3) | instskip(NEXT) | instid1(VALU_DEP_2)
	v_lshlrev_b64 v[0:1], 3, v[1:2]
	s_or_b32 s1, vcc_lo, s0
	s_delay_alu instid0(SALU_CYCLE_1)
	s_and_saveexec_b32 s0, s1
	s_cbranch_execz .LBB22_124
; %bb.123:
	s_delay_alu instid0(VALU_DEP_1) | instskip(NEXT) | instid1(VALU_DEP_2)
	v_add_co_u32 v2, vcc_lo, s22, v0
	v_add_co_ci_u32_e32 v3, vcc_lo, s23, v1, vcc_lo
	global_load_b64 v[2:3], v[2:3], off
	s_waitcnt vmcnt(0)
	v_fmac_f32_e32 v4, v8, v2
	v_fmac_f32_e32 v5, v9, v2
	s_delay_alu instid0(VALU_DEP_2) | instskip(NEXT) | instid1(VALU_DEP_2)
	v_fma_f32 v4, -v9, v3, v4
	v_fmac_f32_e32 v5, v8, v3
.LBB22_124:
	s_or_b32 exec_lo, exec_lo, s0
	s_delay_alu instid0(VALU_DEP_1)
	v_add_co_u32 v0, vcc_lo, s22, v0
	v_add_co_ci_u32_e32 v1, vcc_lo, s23, v1, vcc_lo
	global_store_b64 v[0:1], v[4:5], off
.LBB22_125:
	s_nop 0
	s_sendmsg sendmsg(MSG_DEALLOC_VGPRS)
	s_endpgm
	.section	.rodata,"a",@progbits
	.p2align	6, 0x0
	.amdhsa_kernel _ZN9rocsparseL22csrmvn_adaptive_kernelIii21rocsparse_complex_numIfES2_S2_S2_EEvbT_PKS3_PjPKT0_NS_24const_host_device_scalarIT4_EES5_S9_PKT1_PKT2_SC_PT3_21rocsparse_index_base_b
		.amdhsa_group_segment_fixed_size 8192
		.amdhsa_private_segment_fixed_size 0
		.amdhsa_kernarg_size 96
		.amdhsa_user_sgpr_count 15
		.amdhsa_user_sgpr_dispatch_ptr 0
		.amdhsa_user_sgpr_queue_ptr 0
		.amdhsa_user_sgpr_kernarg_segment_ptr 1
		.amdhsa_user_sgpr_dispatch_id 0
		.amdhsa_user_sgpr_private_segment_size 0
		.amdhsa_wavefront_size32 1
		.amdhsa_uses_dynamic_stack 0
		.amdhsa_enable_private_segment 0
		.amdhsa_system_sgpr_workgroup_id_x 1
		.amdhsa_system_sgpr_workgroup_id_y 0
		.amdhsa_system_sgpr_workgroup_id_z 0
		.amdhsa_system_sgpr_workgroup_info 0
		.amdhsa_system_vgpr_workitem_id 0
		.amdhsa_next_free_vgpr 28
		.amdhsa_next_free_sgpr 47
		.amdhsa_reserve_vcc 1
		.amdhsa_float_round_mode_32 0
		.amdhsa_float_round_mode_16_64 0
		.amdhsa_float_denorm_mode_32 3
		.amdhsa_float_denorm_mode_16_64 3
		.amdhsa_dx10_clamp 1
		.amdhsa_ieee_mode 1
		.amdhsa_fp16_overflow 0
		.amdhsa_workgroup_processor_mode 1
		.amdhsa_memory_ordered 1
		.amdhsa_forward_progress 0
		.amdhsa_shared_vgpr_count 0
		.amdhsa_exception_fp_ieee_invalid_op 0
		.amdhsa_exception_fp_denorm_src 0
		.amdhsa_exception_fp_ieee_div_zero 0
		.amdhsa_exception_fp_ieee_overflow 0
		.amdhsa_exception_fp_ieee_underflow 0
		.amdhsa_exception_fp_ieee_inexact 0
		.amdhsa_exception_int_div_zero 0
	.end_amdhsa_kernel
	.section	.text._ZN9rocsparseL22csrmvn_adaptive_kernelIii21rocsparse_complex_numIfES2_S2_S2_EEvbT_PKS3_PjPKT0_NS_24const_host_device_scalarIT4_EES5_S9_PKT1_PKT2_SC_PT3_21rocsparse_index_base_b,"axG",@progbits,_ZN9rocsparseL22csrmvn_adaptive_kernelIii21rocsparse_complex_numIfES2_S2_S2_EEvbT_PKS3_PjPKT0_NS_24const_host_device_scalarIT4_EES5_S9_PKT1_PKT2_SC_PT3_21rocsparse_index_base_b,comdat
.Lfunc_end22:
	.size	_ZN9rocsparseL22csrmvn_adaptive_kernelIii21rocsparse_complex_numIfES2_S2_S2_EEvbT_PKS3_PjPKT0_NS_24const_host_device_scalarIT4_EES5_S9_PKT1_PKT2_SC_PT3_21rocsparse_index_base_b, .Lfunc_end22-_ZN9rocsparseL22csrmvn_adaptive_kernelIii21rocsparse_complex_numIfES2_S2_S2_EEvbT_PKS3_PjPKT0_NS_24const_host_device_scalarIT4_EES5_S9_PKT1_PKT2_SC_PT3_21rocsparse_index_base_b
                                        ; -- End function
	.section	.AMDGPU.csdata,"",@progbits
; Kernel info:
; codeLenInByte = 5364
; NumSgprs: 49
; NumVgprs: 28
; ScratchSize: 0
; MemoryBound: 0
; FloatMode: 240
; IeeeMode: 1
; LDSByteSize: 8192 bytes/workgroup (compile time only)
; SGPRBlocks: 6
; VGPRBlocks: 3
; NumSGPRsForWavesPerEU: 49
; NumVGPRsForWavesPerEU: 28
; Occupancy: 16
; WaveLimiterHint : 1
; COMPUTE_PGM_RSRC2:SCRATCH_EN: 0
; COMPUTE_PGM_RSRC2:USER_SGPR: 15
; COMPUTE_PGM_RSRC2:TRAP_HANDLER: 0
; COMPUTE_PGM_RSRC2:TGID_X_EN: 1
; COMPUTE_PGM_RSRC2:TGID_Y_EN: 0
; COMPUTE_PGM_RSRC2:TGID_Z_EN: 0
; COMPUTE_PGM_RSRC2:TIDIG_COMP_CNT: 0
	.section	.text._ZN9rocsparseL22partial_scale_y_kernelIi21rocsparse_complex_numIfES2_EEvT_S3_S3_NS_24const_host_device_scalarIT1_EEPT0_b,"axG",@progbits,_ZN9rocsparseL22partial_scale_y_kernelIi21rocsparse_complex_numIfES2_EEvT_S3_S3_NS_24const_host_device_scalarIT1_EEPT0_b,comdat
	.globl	_ZN9rocsparseL22partial_scale_y_kernelIi21rocsparse_complex_numIfES2_EEvT_S3_S3_NS_24const_host_device_scalarIT1_EEPT0_b ; -- Begin function _ZN9rocsparseL22partial_scale_y_kernelIi21rocsparse_complex_numIfES2_EEvT_S3_S3_NS_24const_host_device_scalarIT1_EEPT0_b
	.p2align	8
	.type	_ZN9rocsparseL22partial_scale_y_kernelIi21rocsparse_complex_numIfES2_EEvT_S3_S3_NS_24const_host_device_scalarIT1_EEPT0_b,@function
_ZN9rocsparseL22partial_scale_y_kernelIi21rocsparse_complex_numIfES2_EEvT_S3_S3_NS_24const_host_device_scalarIT1_EEPT0_b: ; @_ZN9rocsparseL22partial_scale_y_kernelIi21rocsparse_complex_numIfES2_EEvT_S3_S3_NS_24const_host_device_scalarIT1_EEPT0_b
; %bb.0:
	s_clause 0x1
	s_load_b32 s4, s[0:1], 0x20
	s_load_b64 s[2:3], s[0:1], 0x10
	s_waitcnt lgkmcnt(0)
	s_bitcmp1_b32 s4, 0
	v_mov_b32_e32 v2, s2
	s_cselect_b32 s4, -1, 0
	s_delay_alu instid0(SALU_CYCLE_1)
	s_and_b32 vcc_lo, exec_lo, s4
	s_xor_b32 s4, s4, -1
	s_cbranch_vccnz .LBB23_2
; %bb.1:
	v_dual_mov_b32 v1, s2 :: v_dual_mov_b32 v2, s3
	flat_load_b32 v2, v[1:2]
.LBB23_2:
	v_mov_b32_e32 v3, s3
	s_and_not1_b32 vcc_lo, exec_lo, s4
	s_cbranch_vccnz .LBB23_4
; %bb.3:
	v_dual_mov_b32 v4, s3 :: v_dual_mov_b32 v3, s2
	flat_load_b32 v3, v[3:4] offset:4
.LBB23_4:
	s_waitcnt vmcnt(0) lgkmcnt(0)
	v_cmp_neq_f32_e32 vcc_lo, 1.0, v2
	v_cmp_neq_f32_e64 s2, 0, v3
	s_delay_alu instid0(VALU_DEP_1) | instskip(NEXT) | instid1(SALU_CYCLE_1)
	s_or_b32 s2, vcc_lo, s2
	s_and_saveexec_b32 s3, s2
	s_cbranch_execz .LBB23_17
; %bb.5:
	s_load_b128 s[4:7], s[0:1], 0x0
	v_lshl_or_b32 v0, s15, 8, v0
	s_waitcnt lgkmcnt(0)
	s_add_i32 s2, s5, s4
	s_delay_alu instid0(SALU_CYCLE_1)
	s_sub_i32 s2, s2, s6
	s_delay_alu instid0(VALU_DEP_1) | instid1(SALU_CYCLE_1)
	v_cmp_gt_i32_e32 vcc_lo, s2, v0
	s_and_b32 exec_lo, exec_lo, vcc_lo
	s_cbranch_execz .LBB23_17
; %bb.6:
	s_load_b64 s[2:3], s[0:1], 0x18
	v_cmp_neq_f32_e32 vcc_lo, 0, v2
	v_cmp_neq_f32_e64 s0, 0, v3
	v_cmp_le_i32_e64 s1, s5, v0
	s_delay_alu instid0(VALU_DEP_2) | instskip(NEXT) | instid1(VALU_DEP_1)
	s_or_b32 s0, vcc_lo, s0
	s_and_saveexec_b32 s4, s1
	s_delay_alu instid0(SALU_CYCLE_1)
	s_xor_b32 s1, exec_lo, s4
	s_cbranch_execz .LBB23_12
; %bb.7:
	v_subrev_nc_u32_e32 v0, s5, v0
	s_delay_alu instid0(VALU_DEP_1) | instskip(NEXT) | instid1(VALU_DEP_1)
	v_add_nc_u32_e32 v0, s6, v0
	v_ashrrev_i32_e32 v1, 31, v0
	s_delay_alu instid0(VALU_DEP_1) | instskip(SKIP_1) | instid1(VALU_DEP_1)
	v_lshlrev_b64 v[0:1], 3, v[0:1]
	s_waitcnt lgkmcnt(0)
	v_add_co_u32 v0, vcc_lo, s2, v0
	s_delay_alu instid0(VALU_DEP_2) | instskip(SKIP_1) | instid1(SALU_CYCLE_1)
	v_add_co_ci_u32_e32 v1, vcc_lo, s3, v1, vcc_lo
	s_and_saveexec_b32 s4, s0
	s_xor_b32 s4, exec_lo, s4
	s_cbranch_execz .LBB23_9
; %bb.8:
	global_load_b64 v[4:5], v[0:1], off
	s_waitcnt vmcnt(0)
	v_mul_f32_e64 v6, v3, -v5
	s_delay_alu instid0(VALU_DEP_1) | instskip(NEXT) | instid1(VALU_DEP_1)
	v_dual_mul_f32 v7, v3, v4 :: v_dual_fmac_f32 v6, v4, v2
	v_fmac_f32_e32 v7, v5, v2
	global_store_b64 v[0:1], v[6:7], off
                                        ; implicit-def: $vgpr0_vgpr1
.LBB23_9:
	s_and_not1_saveexec_b32 s4, s4
	s_cbranch_execz .LBB23_11
; %bb.10:
	v_mov_b32_e32 v2, 0
	s_delay_alu instid0(VALU_DEP_1)
	v_mov_b32_e32 v3, v2
	global_store_b64 v[0:1], v[2:3], off
.LBB23_11:
	s_or_b32 exec_lo, exec_lo, s4
                                        ; implicit-def: $vgpr0
                                        ; implicit-def: $vgpr3
                                        ; implicit-def: $vgpr2
.LBB23_12:
	s_and_not1_saveexec_b32 s1, s1
	s_cbranch_execz .LBB23_17
; %bb.13:
	v_ashrrev_i32_e32 v1, 31, v0
	s_delay_alu instid0(VALU_DEP_1) | instskip(SKIP_1) | instid1(VALU_DEP_1)
	v_lshlrev_b64 v[0:1], 3, v[0:1]
	s_waitcnt lgkmcnt(0)
	v_add_co_u32 v0, vcc_lo, s2, v0
	s_delay_alu instid0(VALU_DEP_2) | instskip(SKIP_1) | instid1(SALU_CYCLE_1)
	v_add_co_ci_u32_e32 v1, vcc_lo, s3, v1, vcc_lo
	s_and_saveexec_b32 s1, s0
	s_xor_b32 s0, exec_lo, s1
	s_cbranch_execz .LBB23_15
; %bb.14:
	global_load_b64 v[4:5], v[0:1], off
	s_waitcnt vmcnt(0)
	v_mul_f32_e64 v6, v3, -v5
	s_delay_alu instid0(VALU_DEP_1) | instskip(NEXT) | instid1(VALU_DEP_1)
	v_dual_mul_f32 v7, v3, v4 :: v_dual_fmac_f32 v6, v4, v2
	v_fmac_f32_e32 v7, v5, v2
	global_store_b64 v[0:1], v[6:7], off
                                        ; implicit-def: $vgpr0_vgpr1
.LBB23_15:
	s_and_not1_saveexec_b32 s0, s0
	s_cbranch_execz .LBB23_17
; %bb.16:
	v_mov_b32_e32 v2, 0
	s_delay_alu instid0(VALU_DEP_1)
	v_mov_b32_e32 v3, v2
	global_store_b64 v[0:1], v[2:3], off
.LBB23_17:
	s_nop 0
	s_sendmsg sendmsg(MSG_DEALLOC_VGPRS)
	s_endpgm
	.section	.rodata,"a",@progbits
	.p2align	6, 0x0
	.amdhsa_kernel _ZN9rocsparseL22partial_scale_y_kernelIi21rocsparse_complex_numIfES2_EEvT_S3_S3_NS_24const_host_device_scalarIT1_EEPT0_b
		.amdhsa_group_segment_fixed_size 0
		.amdhsa_private_segment_fixed_size 0
		.amdhsa_kernarg_size 36
		.amdhsa_user_sgpr_count 15
		.amdhsa_user_sgpr_dispatch_ptr 0
		.amdhsa_user_sgpr_queue_ptr 0
		.amdhsa_user_sgpr_kernarg_segment_ptr 1
		.amdhsa_user_sgpr_dispatch_id 0
		.amdhsa_user_sgpr_private_segment_size 0
		.amdhsa_wavefront_size32 1
		.amdhsa_uses_dynamic_stack 0
		.amdhsa_enable_private_segment 0
		.amdhsa_system_sgpr_workgroup_id_x 1
		.amdhsa_system_sgpr_workgroup_id_y 0
		.amdhsa_system_sgpr_workgroup_id_z 0
		.amdhsa_system_sgpr_workgroup_info 0
		.amdhsa_system_vgpr_workitem_id 0
		.amdhsa_next_free_vgpr 8
		.amdhsa_next_free_sgpr 16
		.amdhsa_reserve_vcc 1
		.amdhsa_float_round_mode_32 0
		.amdhsa_float_round_mode_16_64 0
		.amdhsa_float_denorm_mode_32 3
		.amdhsa_float_denorm_mode_16_64 3
		.amdhsa_dx10_clamp 1
		.amdhsa_ieee_mode 1
		.amdhsa_fp16_overflow 0
		.amdhsa_workgroup_processor_mode 1
		.amdhsa_memory_ordered 1
		.amdhsa_forward_progress 0
		.amdhsa_shared_vgpr_count 0
		.amdhsa_exception_fp_ieee_invalid_op 0
		.amdhsa_exception_fp_denorm_src 0
		.amdhsa_exception_fp_ieee_div_zero 0
		.amdhsa_exception_fp_ieee_overflow 0
		.amdhsa_exception_fp_ieee_underflow 0
		.amdhsa_exception_fp_ieee_inexact 0
		.amdhsa_exception_int_div_zero 0
	.end_amdhsa_kernel
	.section	.text._ZN9rocsparseL22partial_scale_y_kernelIi21rocsparse_complex_numIfES2_EEvT_S3_S3_NS_24const_host_device_scalarIT1_EEPT0_b,"axG",@progbits,_ZN9rocsparseL22partial_scale_y_kernelIi21rocsparse_complex_numIfES2_EEvT_S3_S3_NS_24const_host_device_scalarIT1_EEPT0_b,comdat
.Lfunc_end23:
	.size	_ZN9rocsparseL22partial_scale_y_kernelIi21rocsparse_complex_numIfES2_EEvT_S3_S3_NS_24const_host_device_scalarIT1_EEPT0_b, .Lfunc_end23-_ZN9rocsparseL22partial_scale_y_kernelIi21rocsparse_complex_numIfES2_EEvT_S3_S3_NS_24const_host_device_scalarIT1_EEPT0_b
                                        ; -- End function
	.section	.AMDGPU.csdata,"",@progbits
; Kernel info:
; codeLenInByte = 504
; NumSgprs: 18
; NumVgprs: 8
; ScratchSize: 0
; MemoryBound: 0
; FloatMode: 240
; IeeeMode: 1
; LDSByteSize: 0 bytes/workgroup (compile time only)
; SGPRBlocks: 2
; VGPRBlocks: 0
; NumSGPRsForWavesPerEU: 18
; NumVGPRsForWavesPerEU: 8
; Occupancy: 16
; WaveLimiterHint : 0
; COMPUTE_PGM_RSRC2:SCRATCH_EN: 0
; COMPUTE_PGM_RSRC2:USER_SGPR: 15
; COMPUTE_PGM_RSRC2:TRAP_HANDLER: 0
; COMPUTE_PGM_RSRC2:TGID_X_EN: 1
; COMPUTE_PGM_RSRC2:TGID_Y_EN: 0
; COMPUTE_PGM_RSRC2:TGID_Z_EN: 0
; COMPUTE_PGM_RSRC2:TIDIG_COMP_CNT: 0
	.section	.text._ZN9rocsparseL27csrmvn_symm_adaptive_kernelIii21rocsparse_complex_numIfES2_S2_S2_EEvbT_S3_PKS3_NS_24const_host_device_scalarIT4_EES5_PKT0_PKT1_PKT2_S8_PT3_21rocsparse_index_base_b,"axG",@progbits,_ZN9rocsparseL27csrmvn_symm_adaptive_kernelIii21rocsparse_complex_numIfES2_S2_S2_EEvbT_S3_PKS3_NS_24const_host_device_scalarIT4_EES5_PKT0_PKT1_PKT2_S8_PT3_21rocsparse_index_base_b,comdat
	.globl	_ZN9rocsparseL27csrmvn_symm_adaptive_kernelIii21rocsparse_complex_numIfES2_S2_S2_EEvbT_S3_PKS3_NS_24const_host_device_scalarIT4_EES5_PKT0_PKT1_PKT2_S8_PT3_21rocsparse_index_base_b ; -- Begin function _ZN9rocsparseL27csrmvn_symm_adaptive_kernelIii21rocsparse_complex_numIfES2_S2_S2_EEvbT_S3_PKS3_NS_24const_host_device_scalarIT4_EES5_PKT0_PKT1_PKT2_S8_PT3_21rocsparse_index_base_b
	.p2align	8
	.type	_ZN9rocsparseL27csrmvn_symm_adaptive_kernelIii21rocsparse_complex_numIfES2_S2_S2_EEvbT_S3_PKS3_NS_24const_host_device_scalarIT4_EES5_PKT0_PKT1_PKT2_S8_PT3_21rocsparse_index_base_b,@function
_ZN9rocsparseL27csrmvn_symm_adaptive_kernelIii21rocsparse_complex_numIfES2_S2_S2_EEvbT_S3_PKS3_NS_24const_host_device_scalarIT4_EES5_PKT0_PKT1_PKT2_S8_PT3_21rocsparse_index_base_b: ; @_ZN9rocsparseL27csrmvn_symm_adaptive_kernelIii21rocsparse_complex_numIfES2_S2_S2_EEvbT_S3_PKS3_NS_24const_host_device_scalarIT4_EES5_PKT0_PKT1_PKT2_S8_PT3_21rocsparse_index_base_b
; %bb.0:
	s_clause 0x2
	s_load_b64 s[24:25], s[0:1], 0x50
	s_load_b64 s[6:7], s[0:1], 0x18
	;; [unrolled: 1-line block ×3, first 2 shown]
	s_mov_b32 s4, s15
	s_waitcnt lgkmcnt(0)
	s_bitcmp1_b32 s25, 0
	v_mov_b32_e32 v8, s6
	s_cselect_b32 s5, -1, 0
	s_delay_alu instid0(SALU_CYCLE_1)
	s_and_b32 vcc_lo, exec_lo, s5
	s_xor_b32 s5, s5, -1
	s_cbranch_vccz .LBB24_11
; %bb.1:
	v_cndmask_b32_e64 v2, 0, 1, s5
	v_mov_b32_e32 v11, s7
	s_and_not1_b32 vcc_lo, exec_lo, s5
	s_cbranch_vccz .LBB24_12
.LBB24_2:
	s_delay_alu instid0(VALU_DEP_2)
	v_cmp_ne_u32_e32 vcc_lo, 1, v2
	v_mov_b32_e32 v1, s2
	s_cbranch_vccz .LBB24_13
.LBB24_3:
	v_cmp_ne_u32_e32 vcc_lo, 1, v2
	v_mov_b32_e32 v2, s3
	s_cbranch_vccnz .LBB24_5
.LBB24_4:
	v_dual_mov_b32 v2, s2 :: v_dual_mov_b32 v3, s3
	flat_load_b32 v2, v[2:3] offset:4
.LBB24_5:
	s_waitcnt vmcnt(0) lgkmcnt(0)
	v_cmp_eq_f32_e32 vcc_lo, 0, v8
	v_cmp_eq_f32_e64 s2, 0, v11
	s_delay_alu instid0(VALU_DEP_1)
	s_and_b32 s5, vcc_lo, s2
	s_mov_b32 s2, -1
	s_and_saveexec_b32 s3, s5
; %bb.6:
	v_and_b32_e32 v2, 0x7fffffff, v2
	v_cmp_neq_f32_e32 vcc_lo, 1.0, v1
	s_delay_alu instid0(VALU_DEP_2) | instskip(NEXT) | instid1(VALU_DEP_1)
	v_cmp_ne_u32_e64 s2, 0, v2
	s_or_b32 s2, vcc_lo, s2
	s_delay_alu instid0(SALU_CYCLE_1)
	s_or_not1_b32 s2, s2, exec_lo
; %bb.7:
	s_or_b32 exec_lo, exec_lo, s3
	s_and_saveexec_b32 s3, s2
	s_cbranch_execz .LBB24_194
; %bb.8:
	s_clause 0x1
	s_load_b128 s[16:19], s[0:1], 0x0
	s_load_b64 s[2:3], s[0:1], 0x10
	s_mov_b32 s6, 0
	v_subrev_nc_u32_e32 v9, s24, v0
	s_mov_b32 s7, s6
	v_dual_mov_b32 v1, s6 :: v_dual_lshlrev_b32 v10, 3, v0
	v_mov_b32_e32 v2, s7
	ds_store_2addr_stride64_b64 v10, v[1:2], v[1:2] offset1:4
	ds_store_2addr_stride64_b64 v10, v[1:2], v[1:2] offset0:8 offset1:12
	s_waitcnt lgkmcnt(0)
	s_barrier
	buffer_gl0_inv
	s_bitcmp1_b32 s16, 0
	s_cselect_b32 s19, -1, 0
	s_ashr_i32 s5, s4, 31
	s_delay_alu instid0(SALU_CYCLE_1) | instskip(NEXT) | instid1(SALU_CYCLE_1)
	s_lshl_b64 s[4:5], s[4:5], 2
	s_add_u32 s2, s2, s4
	s_addc_u32 s3, s3, s5
	s_load_b64 s[22:23], s[2:3], 0x0
	s_clause 0x1
	s_load_b256 s[8:15], s[0:1], 0x20
	s_load_b64 s[20:21], s[0:1], 0x48
	s_mov_b32 s2, -1
	s_waitcnt lgkmcnt(0)
	s_sub_i32 s16, s23, s22
	s_delay_alu instid0(SALU_CYCLE_1)
	s_cmp_gt_i32 s16, 2
	s_cbranch_scc1 .LBB24_57
; %bb.9:
	s_cmp_gt_i32 s23, s22
	s_cbranch_scc1 .LBB24_14
; %bb.10:
	s_ashr_i32 s3, s22, 31
	s_mov_b32 s2, s22
	s_delay_alu instid0(SALU_CYCLE_1) | instskip(NEXT) | instid1(SALU_CYCLE_1)
	s_lshl_b64 s[2:3], s[2:3], 2
	s_add_u32 s2, s8, s2
	s_addc_u32 s3, s9, s3
	s_load_b32 s25, s[2:3], 0x0
	s_cbranch_execz .LBB24_15
	s_branch .LBB24_44
.LBB24_11:
	v_dual_mov_b32 v1, s6 :: v_dual_mov_b32 v2, s7
	flat_load_b32 v8, v[1:2]
	v_cndmask_b32_e64 v2, 0, 1, s5
	v_mov_b32_e32 v11, s7
	s_and_not1_b32 vcc_lo, exec_lo, s5
	s_cbranch_vccnz .LBB24_2
.LBB24_12:
	v_dual_mov_b32 v3, s6 :: v_dual_mov_b32 v4, s7
	flat_load_b32 v11, v[3:4] offset:4
	v_cmp_ne_u32_e32 vcc_lo, 1, v2
	v_mov_b32_e32 v1, s2
	s_cbranch_vccnz .LBB24_3
.LBB24_13:
	v_dual_mov_b32 v4, s3 :: v_dual_mov_b32 v3, s2
	flat_load_b32 v1, v[3:4]
	v_cmp_ne_u32_e32 vcc_lo, 1, v2
	v_mov_b32_e32 v2, s3
	s_cbranch_vccz .LBB24_4
	s_branch .LBB24_5
.LBB24_14:
                                        ; implicit-def: $sgpr25
	s_and_not1_b32 vcc_lo, exec_lo, s2
	s_cbranch_vccnz .LBB24_44
.LBB24_15:
	s_ashr_i32 s3, s22, 31
	s_mov_b32 s2, s22
	v_cmp_gt_u32_e32 vcc_lo, 0x100, v0
	s_lshl_b64 s[2:3], s[2:3], 2
	v_cmp_gt_u32_e64 s4, 4, v0
	s_add_u32 s2, s8, s2
	s_addc_u32 s3, s9, s3
	v_cmp_eq_u32_e64 s5, 0, v0
	s_waitcnt lgkmcnt(0)
	s_load_b32 s25, s[2:3], 0x0
	v_cmp_gt_u32_e64 s2, 64, v0
	v_cmp_gt_u32_e64 s3, 16, v0
	v_mov_b32_e32 v12, 0
	s_add_u32 s30, s8, 4
	s_addc_u32 s31, s9, 0
	s_add_u32 s33, s12, 4
	s_addc_u32 s34, s13, 0
	s_mov_b32 s26, s22
	s_waitcnt lgkmcnt(0)
	s_mov_b32 s35, s25
	s_branch .LBB24_17
.LBB24_16:                              ;   in Loop: Header=BB24_17 Depth=1
	s_or_b32 exec_lo, exec_lo, s7
	s_add_i32 s26, s26, 1
	s_delay_alu instid0(SALU_CYCLE_1)
	s_cmp_ge_i32 s26, s23
	s_cbranch_scc1 .LBB24_44
.LBB24_17:                              ; =>This Loop Header: Depth=1
                                        ;     Child Loop BB24_19 Depth 2
                                        ;     Child Loop BB24_33 Depth 2
	;; [unrolled: 1-line block ×5, first 2 shown]
	s_ashr_i32 s27, s26, 31
	s_mov_b32 s28, s35
	s_lshl_b64 s[6:7], s[26:27], 2
	v_dual_mov_b32 v2, 0 :: v_dual_add_nc_u32 v1, s28, v9
	s_add_u32 s6, s30, s6
	s_addc_u32 s7, s31, s7
	v_mov_b32_e32 v3, 0
	s_load_b32 s35, s[6:7], 0x0
	s_mov_b32 s28, exec_lo
	s_waitcnt lgkmcnt(0)
	s_sub_i32 s29, s35, s24
	s_delay_alu instid0(SALU_CYCLE_1)
	v_cmpx_gt_i32_e64 s29, v1
	s_cbranch_execz .LBB24_21
; %bb.18:                               ;   in Loop: Header=BB24_17 Depth=1
	v_ashrrev_i32_e32 v2, 31, v1
	v_mov_b32_e32 v3, 0
	s_mov_b32 s36, 0
	s_delay_alu instid0(VALU_DEP_2) | instskip(SKIP_1) | instid1(VALU_DEP_3)
	v_lshlrev_b64 v[4:5], 2, v[1:2]
	v_lshlrev_b64 v[6:7], 3, v[1:2]
	v_mov_b32_e32 v2, v3
	s_delay_alu instid0(VALU_DEP_3) | instskip(NEXT) | instid1(VALU_DEP_1)
	v_add_co_u32 v4, s6, s10, v4
	v_add_co_ci_u32_e64 v5, s6, s11, v5, s6
	s_delay_alu instid0(VALU_DEP_4) | instskip(NEXT) | instid1(VALU_DEP_1)
	v_add_co_u32 v6, s6, s33, v6
	v_add_co_ci_u32_e64 v7, s6, s34, v7, s6
	s_set_inst_prefetch_distance 0x1
	.p2align	6
.LBB24_19:                              ;   Parent Loop BB24_17 Depth=1
                                        ; =>  This Inner Loop Header: Depth=2
	global_load_b32 v13, v[4:5], off
	global_load_b64 v[15:16], v[6:7], off offset:-4
	v_add_nc_u32_e32 v1, 0x100, v1
	s_delay_alu instid0(VALU_DEP_1) | instskip(NEXT) | instid1(VALU_DEP_1)
	v_cmp_le_i32_e64 s7, s29, v1
	s_or_b32 s36, s7, s36
	s_waitcnt vmcnt(1)
	v_subrev_nc_u32_e32 v13, s24, v13
	s_waitcnt vmcnt(0)
	v_cndmask_b32_e64 v16, v16, -v16, s19
	s_delay_alu instid0(VALU_DEP_2) | instskip(NEXT) | instid1(VALU_DEP_1)
	v_ashrrev_i32_e32 v14, 31, v13
	v_lshlrev_b64 v[13:14], 3, v[13:14]
	s_delay_alu instid0(VALU_DEP_1) | instskip(NEXT) | instid1(VALU_DEP_1)
	v_add_co_u32 v13, s6, s14, v13
	v_add_co_ci_u32_e64 v14, s6, s15, v14, s6
	v_add_co_u32 v4, s6, 0x400, v4
	s_delay_alu instid0(VALU_DEP_1) | instskip(SKIP_2) | instid1(VALU_DEP_1)
	v_add_co_ci_u32_e64 v5, s6, 0, v5, s6
	global_load_b64 v[13:14], v[13:14], off
	v_add_co_u32 v6, s6, 0x800, v6
	v_add_co_ci_u32_e64 v7, s6, 0, v7, s6
	s_waitcnt vmcnt(0)
	v_fmac_f32_e32 v2, v15, v13
	v_fmac_f32_e32 v3, v16, v13
	s_delay_alu instid0(VALU_DEP_2) | instskip(NEXT) | instid1(VALU_DEP_2)
	v_fma_f32 v2, -v16, v14, v2
	v_fmac_f32_e32 v3, v15, v14
	s_and_not1_b32 exec_lo, exec_lo, s36
	s_cbranch_execnz .LBB24_19
; %bb.20:                               ;   in Loop: Header=BB24_17 Depth=1
	s_set_inst_prefetch_distance 0x2
	s_or_b32 exec_lo, exec_lo, s36
.LBB24_21:                              ;   in Loop: Header=BB24_17 Depth=1
	s_delay_alu instid0(SALU_CYCLE_1)
	s_or_b32 exec_lo, exec_lo, s28
	ds_store_b64 v10, v[2:3]
	s_waitcnt lgkmcnt(0)
	s_barrier
	buffer_gl0_inv
	s_and_saveexec_b32 s6, vcc_lo
	s_cbranch_execz .LBB24_23
; %bb.22:                               ;   in Loop: Header=BB24_17 Depth=1
	ds_load_2addr_stride64_b64 v[1:4], v10 offset1:4
	ds_load_2addr_stride64_b64 v[13:16], v10 offset0:8 offset1:12
	s_waitcnt lgkmcnt(0)
	v_dual_add_f32 v3, v13, v3 :: v_dual_add_f32 v4, v14, v4
	s_delay_alu instid0(VALU_DEP_1) | instskip(NEXT) | instid1(VALU_DEP_1)
	v_dual_add_f32 v3, v3, v15 :: v_dual_add_f32 v4, v4, v16
	v_dual_add_f32 v1, v3, v1 :: v_dual_add_f32 v2, v4, v2
	ds_store_b64 v10, v[1:2]
.LBB24_23:                              ;   in Loop: Header=BB24_17 Depth=1
	s_or_b32 exec_lo, exec_lo, s6
	s_waitcnt lgkmcnt(0)
	s_barrier
	buffer_gl0_inv
	s_and_saveexec_b32 s6, s2
	s_cbranch_execz .LBB24_25
; %bb.24:                               ;   in Loop: Header=BB24_17 Depth=1
	ds_load_2addr_stride64_b64 v[1:4], v10 offset1:1
	ds_load_2addr_stride64_b64 v[13:16], v10 offset0:2 offset1:3
	s_waitcnt lgkmcnt(0)
	v_dual_add_f32 v3, v13, v3 :: v_dual_add_f32 v4, v14, v4
	s_delay_alu instid0(VALU_DEP_1) | instskip(NEXT) | instid1(VALU_DEP_1)
	v_dual_add_f32 v3, v3, v15 :: v_dual_add_f32 v4, v4, v16
	v_dual_add_f32 v1, v3, v1 :: v_dual_add_f32 v2, v4, v2
	ds_store_b64 v10, v[1:2]
.LBB24_25:                              ;   in Loop: Header=BB24_17 Depth=1
	s_or_b32 exec_lo, exec_lo, s6
	s_waitcnt lgkmcnt(0)
	s_barrier
	buffer_gl0_inv
	s_and_saveexec_b32 s6, s3
	s_cbranch_execz .LBB24_27
; %bb.26:                               ;   in Loop: Header=BB24_17 Depth=1
	ds_load_2addr_b64 v[1:4], v10 offset1:16
	ds_load_2addr_b64 v[13:16], v10 offset0:32 offset1:48
	s_waitcnt lgkmcnt(0)
	v_dual_add_f32 v3, v13, v3 :: v_dual_add_f32 v4, v14, v4
	s_delay_alu instid0(VALU_DEP_1) | instskip(NEXT) | instid1(VALU_DEP_1)
	v_dual_add_f32 v3, v3, v15 :: v_dual_add_f32 v4, v4, v16
	v_dual_add_f32 v1, v3, v1 :: v_dual_add_f32 v2, v4, v2
	ds_store_b64 v10, v[1:2]
.LBB24_27:                              ;   in Loop: Header=BB24_17 Depth=1
	s_or_b32 exec_lo, exec_lo, s6
	s_waitcnt lgkmcnt(0)
	s_barrier
	buffer_gl0_inv
	s_and_saveexec_b32 s6, s4
	s_cbranch_execz .LBB24_29
; %bb.28:                               ;   in Loop: Header=BB24_17 Depth=1
	ds_load_2addr_b64 v[1:4], v10 offset1:4
	ds_load_2addr_b64 v[13:16], v10 offset0:8 offset1:12
	s_waitcnt lgkmcnt(0)
	v_dual_add_f32 v3, v13, v3 :: v_dual_add_f32 v4, v14, v4
	s_delay_alu instid0(VALU_DEP_1) | instskip(NEXT) | instid1(VALU_DEP_1)
	v_dual_add_f32 v3, v3, v15 :: v_dual_add_f32 v4, v4, v16
	v_dual_add_f32 v1, v3, v1 :: v_dual_add_f32 v2, v4, v2
	ds_store_b64 v10, v[1:2]
.LBB24_29:                              ;   in Loop: Header=BB24_17 Depth=1
	s_or_b32 exec_lo, exec_lo, s6
	s_waitcnt lgkmcnt(0)
	s_barrier
	buffer_gl0_inv
	s_and_saveexec_b32 s6, s5
	s_cbranch_execz .LBB24_31
; %bb.30:                               ;   in Loop: Header=BB24_17 Depth=1
	ds_load_b128 v[1:4], v12 offset:16
	ds_load_b64 v[5:6], v12 offset:8
	ds_load_b64 v[13:14], v10
	s_waitcnt lgkmcnt(1)
	v_dual_add_f32 v1, v1, v5 :: v_dual_add_f32 v2, v2, v6
	s_delay_alu instid0(VALU_DEP_1) | instskip(SKIP_1) | instid1(VALU_DEP_1)
	v_dual_add_f32 v1, v1, v3 :: v_dual_add_f32 v2, v2, v4
	s_waitcnt lgkmcnt(0)
	v_dual_add_f32 v1, v1, v13 :: v_dual_add_f32 v2, v2, v14
	ds_store_b64 v10, v[1:2]
.LBB24_31:                              ;   in Loop: Header=BB24_17 Depth=1
	s_or_b32 exec_lo, exec_lo, s6
	s_waitcnt lgkmcnt(0)
	s_barrier
	buffer_gl0_inv
	s_and_saveexec_b32 s7, s5
	s_cbranch_execz .LBB24_16
; %bb.32:                               ;   in Loop: Header=BB24_17 Depth=1
	ds_load_b64 v[1:2], v12
	v_bfrev_b32_e32 v5, 1
	s_mov_b32 s6, exec_lo
	s_waitcnt lgkmcnt(0)
	v_mul_f32_e64 v3, v2, -v11
	s_delay_alu instid0(VALU_DEP_1)
	v_fmac_f32_e32 v3, v8, v1
.LBB24_33:                              ;   Parent Loop BB24_17 Depth=1
                                        ; =>  This Inner Loop Header: Depth=2
	s_ctz_i32_b32 s28, s6
	s_delay_alu instid0(VALU_DEP_1) | instid1(SALU_CYCLE_1)
	v_readlane_b32 s29, v3, s28
	s_lshl_b32 s28, 1, s28
	s_delay_alu instid0(SALU_CYCLE_1) | instskip(NEXT) | instid1(SALU_CYCLE_1)
	s_and_not1_b32 s6, s6, s28
	s_cmp_lg_u32 s6, 0
	s_delay_alu instid0(VALU_DEP_1)
	v_add_f32_e32 v5, s29, v5
	s_cbranch_scc1 .LBB24_33
; %bb.34:                               ;   in Loop: Header=BB24_17 Depth=1
	v_mbcnt_lo_u32_b32 v3, exec_lo, 0
	s_lshl_b64 s[28:29], s[26:27], 3
	s_mov_b32 s27, exec_lo
	s_add_u32 s28, s20, s28
	s_addc_u32 s29, s21, s29
	v_cmpx_eq_u32_e32 0, v3
	s_xor_b32 s27, exec_lo, s27
	s_cbranch_execz .LBB24_38
; %bb.35:                               ;   in Loop: Header=BB24_17 Depth=1
	global_load_b32 v4, v12, s[28:29]
	s_mov_b32 s36, 0
.LBB24_36:                              ;   Parent Loop BB24_17 Depth=1
                                        ; =>  This Inner Loop Header: Depth=2
	s_waitcnt vmcnt(0)
	v_add_f32_e32 v3, v4, v5
	global_atomic_cmpswap_b32 v3, v12, v[3:4], s[28:29] glc
	s_waitcnt vmcnt(0)
	v_cmp_eq_u32_e64 s6, v3, v4
	v_mov_b32_e32 v4, v3
	s_delay_alu instid0(VALU_DEP_2) | instskip(NEXT) | instid1(SALU_CYCLE_1)
	s_or_b32 s36, s6, s36
	s_and_not1_b32 exec_lo, exec_lo, s36
	s_cbranch_execnz .LBB24_36
; %bb.37:                               ;   in Loop: Header=BB24_17 Depth=1
	s_or_b32 exec_lo, exec_lo, s36
.LBB24_38:                              ;   in Loop: Header=BB24_17 Depth=1
	s_delay_alu instid0(SALU_CYCLE_1) | instskip(SKIP_3) | instid1(VALU_DEP_2)
	s_or_b32 exec_lo, exec_lo, s27
	v_mul_f32_e32 v2, v2, v8
	v_bfrev_b32_e32 v3, 1
	s_mov_b32 s6, exec_lo
	v_fmac_f32_e32 v2, v11, v1
.LBB24_39:                              ;   Parent Loop BB24_17 Depth=1
                                        ; =>  This Inner Loop Header: Depth=2
	s_ctz_i32_b32 s27, s6
	s_delay_alu instid0(VALU_DEP_1) | instid1(SALU_CYCLE_1)
	v_readlane_b32 s36, v2, s27
	s_lshl_b32 s27, 1, s27
	s_delay_alu instid0(SALU_CYCLE_1) | instskip(NEXT) | instid1(SALU_CYCLE_1)
	s_and_not1_b32 s6, s6, s27
	s_cmp_lg_u32 s6, 0
	s_delay_alu instid0(VALU_DEP_1)
	v_add_f32_e32 v3, s36, v3
	s_cbranch_scc1 .LBB24_39
; %bb.40:                               ;   in Loop: Header=BB24_17 Depth=1
	v_mbcnt_lo_u32_b32 v1, exec_lo, 0
	s_mov_b32 s27, exec_lo
	s_delay_alu instid0(VALU_DEP_1)
	v_cmpx_eq_u32_e32 0, v1
	s_xor_b32 s27, exec_lo, s27
	s_cbranch_execz .LBB24_16
; %bb.41:                               ;   in Loop: Header=BB24_17 Depth=1
	global_load_b32 v2, v12, s[28:29] offset:4
	s_mov_b32 s27, 0
.LBB24_42:                              ;   Parent Loop BB24_17 Depth=1
                                        ; =>  This Inner Loop Header: Depth=2
	s_waitcnt vmcnt(0)
	v_add_f32_e32 v1, v2, v3
	global_atomic_cmpswap_b32 v1, v12, v[1:2], s[28:29] offset:4 glc
	s_waitcnt vmcnt(0)
	v_cmp_eq_u32_e64 s6, v1, v2
	v_mov_b32_e32 v2, v1
	s_delay_alu instid0(VALU_DEP_2) | instskip(NEXT) | instid1(SALU_CYCLE_1)
	s_or_b32 s27, s6, s27
	s_and_not1_b32 exec_lo, exec_lo, s27
	s_cbranch_execnz .LBB24_42
; %bb.43:                               ;   in Loop: Header=BB24_17 Depth=1
	s_or_b32 exec_lo, exec_lo, s27
	s_branch .LBB24_16
.LBB24_44:
	s_ashr_i32 s3, s23, 31
	s_mov_b32 s2, s23
	s_waitcnt lgkmcnt(0)
	v_add_nc_u32_e32 v1, s25, v9
	s_lshl_b64 s[2:3], s[2:3], 2
	s_mov_b32 s4, exec_lo
	s_add_u32 s2, s8, s2
	s_addc_u32 s3, s9, s3
	s_load_b32 s2, s[2:3], 0x0
	s_waitcnt lgkmcnt(0)
	s_sub_i32 s3, s2, s24
	s_delay_alu instid0(SALU_CYCLE_1)
	v_cmpx_gt_i32_e64 s3, v1
	s_cbranch_execz .LBB24_56
; %bb.45:
	s_add_i32 s5, s23, -1
	s_mov_b32 s7, 0
	s_cmp_gt_i32 s5, s22
	s_cselect_b32 s2, -1, 0
	s_add_i32 s6, s23, -2
	s_delay_alu instid0(SALU_CYCLE_1) | instskip(SKIP_1) | instid1(SALU_CYCLE_1)
	s_cmp_lg_u32 s6, s22
	s_cselect_b32 s6, -1, 0
	s_and_b32 s6, s2, s6
	s_branch .LBB24_47
.LBB24_46:                              ;   in Loop: Header=BB24_47 Depth=1
	s_or_b32 exec_lo, exec_lo, s2
	v_add_nc_u32_e32 v1, 0x100, v1
	s_delay_alu instid0(VALU_DEP_1) | instskip(SKIP_1) | instid1(SALU_CYCLE_1)
	v_cmp_le_i32_e32 vcc_lo, s3, v1
	s_or_b32 s7, vcc_lo, s7
	s_and_not1_b32 exec_lo, exec_lo, s7
	s_cbranch_execz .LBB24_56
.LBB24_47:                              ; =>This Loop Header: Depth=1
                                        ;     Child Loop BB24_49 Depth 2
                                        ;     Child Loop BB24_53 Depth 2
	;; [unrolled: 1-line block ×3, first 2 shown]
	v_mov_b32_e32 v5, s22
	v_mov_b32_e32 v3, s5
	s_and_not1_b32 vcc_lo, exec_lo, s6
	s_cbranch_vccnz .LBB24_51
; %bb.48:                               ;   in Loop: Header=BB24_47 Depth=1
	v_mov_b32_e32 v5, s22
	v_mov_b32_e32 v3, s5
	s_mov_b32 s25, 0
	.p2align	6
.LBB24_49:                              ;   Parent Loop BB24_47 Depth=1
                                        ; =>  This Inner Loop Header: Depth=2
	s_delay_alu instid0(VALU_DEP_1) | instskip(NEXT) | instid1(VALU_DEP_1)
	v_add_nc_u32_e32 v2, v3, v5
	v_lshrrev_b32_e32 v4, 31, v2
	s_delay_alu instid0(VALU_DEP_1) | instskip(NEXT) | instid1(VALU_DEP_1)
	v_add_nc_u32_e32 v2, v2, v4
	v_ashrrev_i32_e32 v6, 1, v2
	s_delay_alu instid0(VALU_DEP_1) | instskip(NEXT) | instid1(VALU_DEP_1)
	v_ashrrev_i32_e32 v7, 31, v6
	v_lshlrev_b64 v[12:13], 2, v[6:7]
	s_delay_alu instid0(VALU_DEP_1) | instskip(NEXT) | instid1(VALU_DEP_2)
	v_add_co_u32 v12, vcc_lo, s8, v12
	v_add_co_ci_u32_e32 v13, vcc_lo, s9, v13, vcc_lo
	global_load_b32 v2, v[12:13], off
	s_waitcnt vmcnt(0)
	v_subrev_nc_u32_e32 v2, s24, v2
	s_delay_alu instid0(VALU_DEP_1) | instskip(SKIP_1) | instid1(VALU_DEP_1)
	v_cmp_gt_i32_e32 vcc_lo, v2, v1
	v_cndmask_b32_e32 v3, v3, v6, vcc_lo
	v_dual_cndmask_b32 v5, v6, v5 :: v_dual_add_nc_u32 v2, -1, v3
	s_delay_alu instid0(VALU_DEP_1) | instskip(NEXT) | instid1(VALU_DEP_2)
	v_cmp_ge_i32_e32 vcc_lo, v5, v3
	v_cmp_eq_u32_e64 s2, v5, v2
	s_delay_alu instid0(VALU_DEP_1) | instskip(NEXT) | instid1(SALU_CYCLE_1)
	s_or_b32 s2, vcc_lo, s2
	s_and_b32 s2, exec_lo, s2
	s_delay_alu instid0(SALU_CYCLE_1) | instskip(NEXT) | instid1(SALU_CYCLE_1)
	s_or_b32 s25, s2, s25
	s_and_not1_b32 exec_lo, exec_lo, s25
	s_cbranch_execnz .LBB24_49
; %bb.50:                               ;   in Loop: Header=BB24_47 Depth=1
	s_or_b32 exec_lo, exec_lo, s25
.LBB24_51:                              ;   in Loop: Header=BB24_47 Depth=1
	s_delay_alu instid0(VALU_DEP_1) | instskip(SKIP_2) | instid1(VALU_DEP_2)
	v_ashrrev_i32_e32 v4, 31, v3
	v_ashrrev_i32_e32 v2, 31, v1
	s_mov_b32 s2, exec_lo
	v_lshlrev_b64 v[6:7], 2, v[3:4]
	s_delay_alu instid0(VALU_DEP_2) | instskip(NEXT) | instid1(VALU_DEP_2)
	v_lshlrev_b64 v[12:13], 2, v[1:2]
	v_add_co_u32 v6, vcc_lo, s8, v6
	s_delay_alu instid0(VALU_DEP_3)
	v_add_co_ci_u32_e32 v7, vcc_lo, s9, v7, vcc_lo
	global_load_b32 v4, v[6:7], off
	v_add_co_u32 v6, vcc_lo, s10, v12
	v_add_co_ci_u32_e32 v7, vcc_lo, s11, v13, vcc_lo
	global_load_b32 v6, v[6:7], off
	s_waitcnt vmcnt(1)
	v_subrev_nc_u32_e32 v4, s24, v4
	s_delay_alu instid0(VALU_DEP_1) | instskip(SKIP_3) | instid1(VALU_DEP_1)
	v_cmp_gt_i32_e32 vcc_lo, v4, v1
	v_cndmask_b32_e32 v4, v3, v5, vcc_lo
	s_waitcnt vmcnt(0)
	v_subrev_nc_u32_e32 v3, s24, v6
	v_cmpx_ne_u32_e64 v3, v4
	s_cbranch_execz .LBB24_46
; %bb.52:                               ;   in Loop: Header=BB24_47 Depth=1
	v_lshlrev_b64 v[5:6], 3, v[1:2]
	s_mov_b32 s25, 0
	s_delay_alu instid0(VALU_DEP_1) | instskip(NEXT) | instid1(VALU_DEP_2)
	v_add_co_u32 v12, vcc_lo, s12, v5
	v_add_co_ci_u32_e32 v13, vcc_lo, s13, v6, vcc_lo
	v_ashrrev_i32_e32 v5, 31, v4
	global_load_b64 v[14:15], v[12:13], off
	v_lshlrev_b64 v[5:6], 3, v[4:5]
	v_ashrrev_i32_e32 v4, 31, v3
	s_delay_alu instid0(VALU_DEP_2) | instskip(NEXT) | instid1(VALU_DEP_3)
	v_add_co_u32 v5, vcc_lo, s14, v5
	v_add_co_ci_u32_e32 v6, vcc_lo, s15, v6, vcc_lo
	s_delay_alu instid0(VALU_DEP_3)
	v_lshlrev_b64 v[2:3], 3, v[3:4]
	global_load_b64 v[4:5], v[5:6], off
	v_add_co_u32 v2, vcc_lo, s20, v2
	v_add_co_ci_u32_e32 v3, vcc_lo, s21, v3, vcc_lo
	global_load_b32 v7, v[2:3], off
	s_waitcnt vmcnt(2)
	v_cndmask_b32_e64 v6, v15, -v15, s19
	s_delay_alu instid0(VALU_DEP_1) | instskip(NEXT) | instid1(VALU_DEP_1)
	v_mul_f32_e64 v13, v6, -v11
	v_dual_mul_f32 v12, v6, v8 :: v_dual_fmac_f32 v13, v8, v14
	s_delay_alu instid0(VALU_DEP_1) | instskip(SKIP_1) | instid1(VALU_DEP_1)
	v_fmac_f32_e32 v12, v11, v14
	s_waitcnt vmcnt(1)
	v_mul_f32_e64 v14, v5, -v12
	s_delay_alu instid0(VALU_DEP_1)
	v_fmac_f32_e32 v14, v13, v4
.LBB24_53:                              ;   Parent Loop BB24_47 Depth=1
                                        ; =>  This Inner Loop Header: Depth=2
	s_waitcnt vmcnt(0)
	s_delay_alu instid0(VALU_DEP_1)
	v_add_f32_e32 v6, v7, v14
	global_atomic_cmpswap_b32 v6, v[2:3], v[6:7], off glc
	s_waitcnt vmcnt(0)
	v_cmp_eq_u32_e32 vcc_lo, v6, v7
	v_mov_b32_e32 v7, v6
	s_or_b32 s25, vcc_lo, s25
	s_delay_alu instid0(SALU_CYCLE_1)
	s_and_not1_b32 exec_lo, exec_lo, s25
	s_cbranch_execnz .LBB24_53
; %bb.54:                               ;   in Loop: Header=BB24_47 Depth=1
	s_or_b32 exec_lo, exec_lo, s25
	global_load_b32 v6, v[2:3], off offset:4
	v_mul_f32_e32 v7, v5, v13
	s_mov_b32 s25, 0
	s_delay_alu instid0(VALU_DEP_1)
	v_fmac_f32_e32 v7, v12, v4
.LBB24_55:                              ;   Parent Loop BB24_47 Depth=1
                                        ; =>  This Inner Loop Header: Depth=2
	s_waitcnt vmcnt(0)
	s_delay_alu instid0(VALU_DEP_1)
	v_add_f32_e32 v5, v6, v7
	global_atomic_cmpswap_b32 v4, v[2:3], v[5:6], off offset:4 glc
	s_waitcnt vmcnt(0)
	v_cmp_eq_u32_e32 vcc_lo, v4, v6
	v_mov_b32_e32 v6, v4
	s_or_b32 s25, vcc_lo, s25
	s_delay_alu instid0(SALU_CYCLE_1)
	s_and_not1_b32 exec_lo, exec_lo, s25
	s_cbranch_execnz .LBB24_55
	s_branch .LBB24_46
.LBB24_56:
	s_or_b32 exec_lo, exec_lo, s4
	s_mov_b32 s2, 0
.LBB24_57:
	s_delay_alu instid0(SALU_CYCLE_1)
	s_and_b32 vcc_lo, exec_lo, s2
	s_cbranch_vccz .LBB24_194
; %bb.58:
	s_ashr_i32 s3, s22, 31
	s_mov_b32 s2, s22
	s_sub_i32 s5, 0, s16
	s_lshl_b64 s[2:3], s[2:3], 2
	v_cvt_f32_u32_e32 v1, s16
	s_add_u32 s2, s8, s2
	s_addc_u32 s3, s9, s3
	s_load_b32 s1, s[0:1], 0x64
	s_load_b32 s6, s[2:3], 0x0
	v_rcp_iflag_f32_e32 v1, v1
	s_waitcnt_depctr 0xfff
	v_mul_f32_e32 v2, 0x4f7ffffe, v1
	s_delay_alu instid0(VALU_DEP_1) | instskip(SKIP_2) | instid1(VALU_DEP_2)
	v_cvt_u32_f32_e32 v2, v2
	s_waitcnt lgkmcnt(0)
	v_add_nc_u32_e32 v1, s6, v9
	v_readfirstlane_b32 s4, v2
	s_delay_alu instid0(VALU_DEP_2) | instskip(NEXT) | instid1(VALU_DEP_2)
	v_add_nc_u32_e32 v9, 0x300, v1
	s_mul_i32 s5, s5, s4
	s_delay_alu instid0(SALU_CYCLE_1) | instskip(NEXT) | instid1(VALU_DEP_1)
	s_mul_hi_u32 s5, s4, s5
	v_cmp_le_i32_e32 vcc_lo, s17, v9
	s_and_saveexec_b32 s0, vcc_lo
	s_delay_alu instid0(SALU_CYCLE_1)
	s_xor_b32 s7, exec_lo, s0
	s_cbranch_execz .LBB24_63
; %bb.59:
	s_ashr_i32 s27, s23, 31
	s_mov_b32 s26, s23
	s_mov_b32 s25, exec_lo
	s_lshl_b64 s[26:27], s[26:27], 2
	s_delay_alu instid0(SALU_CYCLE_1) | instskip(SKIP_4) | instid1(SALU_CYCLE_1)
	s_add_u32 s26, s8, s26
	s_addc_u32 s27, s9, s27
	s_load_b32 s0, s[26:27], 0x0
	s_waitcnt lgkmcnt(0)
	s_sub_i32 s17, s0, s6
	v_cmpx_gt_i32_e64 s17, v0
	s_cbranch_execz .LBB24_62
; %bb.60:
	v_dual_mov_b32 v2, v0 :: v_dual_mov_b32 v3, v10
	s_sub_i32 s26, s6, s24
	s_mov_b32 s27, 0
	.p2align	6
.LBB24_61:                              ; =>This Inner Loop Header: Depth=1
	s_delay_alu instid0(VALU_DEP_1) | instskip(NEXT) | instid1(VALU_DEP_1)
	v_add_nc_u32_e32 v4, s26, v2
	v_ashrrev_i32_e32 v5, 31, v4
	s_delay_alu instid0(VALU_DEP_1) | instskip(NEXT) | instid1(VALU_DEP_1)
	v_lshlrev_b64 v[4:5], 3, v[4:5]
	v_add_co_u32 v4, s0, s12, v4
	s_delay_alu instid0(VALU_DEP_1) | instskip(SKIP_3) | instid1(VALU_DEP_1)
	v_add_co_ci_u32_e64 v5, s0, s13, v5, s0
	global_load_b64 v[4:5], v[4:5], off
	s_waitcnt vmcnt(0)
	v_cndmask_b32_e64 v6, v5, -v5, s19
	v_mul_f32_e64 v5, v6, -v11
	v_mul_f32_e32 v6, v6, v8
	s_delay_alu instid0(VALU_DEP_2) | instskip(NEXT) | instid1(VALU_DEP_2)
	v_dual_fmac_f32 v5, v8, v4 :: v_dual_add_nc_u32 v2, 0x100, v2
	v_fmac_f32_e32 v6, v11, v4
	s_delay_alu instid0(VALU_DEP_2) | instskip(SKIP_3) | instid1(SALU_CYCLE_1)
	v_cmp_le_i32_e64 s0, s17, v2
	ds_store_b64 v3, v[5:6]
	v_add_nc_u32_e32 v3, 0x800, v3
	s_or_b32 s27, s0, s27
	s_and_not1_b32 exec_lo, exec_lo, s27
	s_cbranch_execnz .LBB24_61
.LBB24_62:
	s_or_b32 exec_lo, exec_lo, s25
                                        ; implicit-def: $vgpr11
                                        ; implicit-def: $vgpr8
.LBB24_63:
	s_or_saveexec_b32 s7, s7
	v_ashrrev_i32_e32 v2, 31, v1
	s_and_b32 s1, s1, 0xffff
	s_add_i32 s4, s4, s5
	s_xor_b32 exec_lo, exec_lo, s7
	s_cbranch_execz .LBB24_65
; %bb.64:
	v_lshlrev_b64 v[3:4], 3, v[1:2]
	s_delay_alu instid0(VALU_DEP_1) | instskip(NEXT) | instid1(VALU_DEP_1)
	v_add_co_u32 v3, s0, s12, v3
	v_add_co_ci_u32_e64 v4, s0, s13, v4, s0
	s_clause 0x1
	global_load_b64 v[5:6], v[3:4], off
	global_load_b64 v[12:13], v[3:4], off offset:2048
	v_add_co_u32 v3, s0, 0x1000, v3
	s_delay_alu instid0(VALU_DEP_1)
	v_add_co_ci_u32_e64 v4, s0, 0, v4, s0
	s_clause 0x1
	global_load_b64 v[14:15], v[3:4], off
	global_load_b64 v[3:4], v[3:4], off offset:2048
	s_waitcnt vmcnt(3)
	v_cndmask_b32_e64 v7, v6, -v6, s19
	s_waitcnt vmcnt(2)
	v_cndmask_b32_e64 v13, v13, -v13, s19
	s_delay_alu instid0(VALU_DEP_2) | instskip(NEXT) | instid1(VALU_DEP_2)
	v_mul_f32_e64 v6, v7, -v11
	v_mul_f32_e64 v16, v13, -v11
	v_mul_f32_e32 v17, v13, v8
	s_waitcnt vmcnt(1)
	v_cndmask_b32_e64 v13, v15, -v15, s19
	v_dual_mul_f32 v7, v7, v8 :: v_dual_fmac_f32 v6, v8, v5
	s_waitcnt vmcnt(0)
	v_cndmask_b32_e64 v15, v4, -v4, s19
	v_fmac_f32_e32 v16, v8, v12
	v_mul_f32_e64 v4, v13, -v11
	v_fmac_f32_e32 v7, v11, v5
	s_delay_alu instid0(VALU_DEP_4) | instskip(SKIP_1) | instid1(VALU_DEP_4)
	v_mul_f32_e64 v18, v15, -v11
	v_mul_f32_e32 v5, v13, v8
	v_dual_mul_f32 v19, v15, v8 :: v_dual_fmac_f32 v4, v8, v14
	s_delay_alu instid0(VALU_DEP_3) | instskip(NEXT) | instid1(VALU_DEP_3)
	v_dual_fmac_f32 v17, v11, v12 :: v_dual_fmac_f32 v18, v8, v3
	v_fmac_f32_e32 v5, v11, v14
	s_delay_alu instid0(VALU_DEP_3)
	v_fmac_f32_e32 v19, v11, v3
	ds_store_2addr_stride64_b64 v10, v[6:7], v[16:17] offset1:4
	ds_store_2addr_stride64_b64 v10, v[4:5], v[18:19] offset0:8 offset1:12
.LBB24_65:
	s_or_b32 exec_lo, exec_lo, s7
	s_mul_hi_u32 s7, s1, s4
	s_mov_b32 s4, exec_lo
	v_cmpx_gt_i32_e64 s18, v0
	s_cbranch_execz .LBB24_68
; %bb.66:
	v_lshl_add_u32 v3, v0, 3, 0x2000
	v_dual_mov_b32 v4, 0 :: v_dual_mov_b32 v5, v0
	s_mov_b32 s5, 0
.LBB24_67:                              ; =>This Inner Loop Header: Depth=1
	s_delay_alu instid0(VALU_DEP_1) | instskip(SKIP_3) | instid1(VALU_DEP_1)
	v_add_nc_u32_e32 v5, 0x100, v5
	ds_store_2addr_b32 v3, v4, v4 offset1:1
	v_add_nc_u32_e32 v3, 0x800, v3
	v_cmp_le_i32_e64 s0, s18, v5
	s_or_b32 s5, s0, s5
	s_delay_alu instid0(SALU_CYCLE_1)
	s_and_not1_b32 exec_lo, exec_lo, s5
	s_cbranch_execnz .LBB24_67
.LBB24_68:
	s_or_b32 exec_lo, exec_lo, s4
	s_sub_i32 s0, s23, s18
	s_cmp_ge_i32 s23, s18
	s_waitcnt lgkmcnt(0)
	s_cselect_b32 s12, s0, 0
	s_barrier
	buffer_gl0_inv
	s_and_saveexec_b32 s0, vcc_lo
	s_delay_alu instid0(SALU_CYCLE_1)
	s_xor_b32 s4, exec_lo, s0
	s_cbranch_execz .LBB24_89
; %bb.69:
	s_ashr_i32 s27, s23, 31
	s_mov_b32 s26, s23
	s_mov_b32 s13, exec_lo
	s_lshl_b64 s[26:27], s[26:27], 2
	s_delay_alu instid0(SALU_CYCLE_1) | instskip(SKIP_4) | instid1(SALU_CYCLE_1)
	s_add_u32 s26, s8, s26
	s_addc_u32 s27, s9, s27
	s_load_b32 s0, s[26:27], 0x0
	s_waitcnt lgkmcnt(0)
	s_sub_i32 s5, s0, s6
	v_cmpx_gt_i32_e64 s5, v0
	s_cbranch_execz .LBB24_88
; %bb.70:
	s_add_i32 s17, s23, -1
	s_mov_b32 s26, 0
	s_cmp_gt_i32 s17, s22
	s_mov_b32 s27, 0
	s_cselect_b32 s19, -1, 0
	s_add_i32 s25, s23, -2
	s_delay_alu instid0(SALU_CYCLE_1) | instskip(SKIP_1) | instid1(SALU_CYCLE_1)
	s_cmp_lg_u32 s25, s22
	s_cselect_b32 s25, -1, 0
	s_and_b32 s19, s19, s25
	s_sub_i32 s25, s0, s24
	s_branch .LBB24_73
.LBB24_71:                              ;   in Loop: Header=BB24_73 Depth=1
	s_or_b32 exec_lo, exec_lo, s0
.LBB24_72:                              ;   in Loop: Header=BB24_73 Depth=1
	s_delay_alu instid0(SALU_CYCLE_1) | instskip(SKIP_2) | instid1(VALU_DEP_1)
	s_or_b32 exec_lo, exec_lo, s28
	v_ashrrev_i32_e32 v3, 31, v2
	s_addk_i32 s27, 0x100
	v_lshlrev_b64 v[2:3], 3, v[2:3]
	s_delay_alu instid0(VALU_DEP_1) | instskip(NEXT) | instid1(VALU_DEP_2)
	v_add_co_u32 v2, vcc_lo, s14, v2
	v_add_co_ci_u32_e32 v3, vcc_lo, s15, v3, vcc_lo
	global_load_b64 v[2:3], v[2:3], off
	s_waitcnt vmcnt(0)
	v_mul_f32_e32 v6, v3, v12
	s_delay_alu instid0(VALU_DEP_1) | instskip(NEXT) | instid1(VALU_DEP_1)
	v_dual_mul_f32 v7, v3, v4 :: v_dual_fmac_f32 v6, v4, v2
	v_dual_fmac_f32 v7, v5, v2 :: v_dual_add_nc_u32 v8, s27, v0
	s_delay_alu instid0(VALU_DEP_1) | instskip(SKIP_2) | instid1(SALU_CYCLE_1)
	v_cmp_le_i32_e32 vcc_lo, s5, v8
	ds_store_b64 v11, v[6:7]
	s_or_b32 s26, vcc_lo, s26
	s_and_not1_b32 exec_lo, exec_lo, s26
	s_cbranch_execz .LBB24_88
.LBB24_73:                              ; =>This Loop Header: Depth=1
                                        ;     Child Loop BB24_75 Depth 2
                                        ;     Child Loop BB24_82 Depth 2
	;; [unrolled: 1-line block ×3, first 2 shown]
	v_add_nc_u32_e32 v3, s27, v1
	v_mov_b32_e32 v7, s22
	v_mov_b32_e32 v5, s17
	s_and_not1_b32 vcc_lo, exec_lo, s19
	s_cbranch_vccnz .LBB24_77
; %bb.74:                               ;   in Loop: Header=BB24_73 Depth=1
	v_mov_b32_e32 v7, s22
	v_mov_b32_e32 v5, s17
	s_mov_b32 s28, 0
	.p2align	6
.LBB24_75:                              ;   Parent Loop BB24_73 Depth=1
                                        ; =>  This Inner Loop Header: Depth=2
	s_delay_alu instid0(VALU_DEP_1) | instskip(NEXT) | instid1(VALU_DEP_1)
	v_add_nc_u32_e32 v2, v5, v7
	v_lshrrev_b32_e32 v4, 31, v2
	s_delay_alu instid0(VALU_DEP_1) | instskip(NEXT) | instid1(VALU_DEP_1)
	v_add_nc_u32_e32 v2, v2, v4
	v_ashrrev_i32_e32 v8, 1, v2
	s_delay_alu instid0(VALU_DEP_1) | instskip(NEXT) | instid1(VALU_DEP_1)
	v_ashrrev_i32_e32 v9, 31, v8
	v_lshlrev_b64 v[11:12], 2, v[8:9]
	s_delay_alu instid0(VALU_DEP_1) | instskip(NEXT) | instid1(VALU_DEP_2)
	v_add_co_u32 v11, vcc_lo, s8, v11
	v_add_co_ci_u32_e32 v12, vcc_lo, s9, v12, vcc_lo
	global_load_b32 v2, v[11:12], off
	s_waitcnt vmcnt(0)
	v_subrev_nc_u32_e32 v2, s24, v2
	s_delay_alu instid0(VALU_DEP_1) | instskip(SKIP_2) | instid1(VALU_DEP_1)
	v_cmp_gt_i32_e32 vcc_lo, v2, v3
	v_cndmask_b32_e32 v7, v8, v7, vcc_lo
	v_cndmask_b32_e32 v5, v5, v8, vcc_lo
	v_add_nc_u32_e32 v2, -1, v5
	s_delay_alu instid0(VALU_DEP_3) | instskip(NEXT) | instid1(VALU_DEP_2)
	v_cmp_ge_i32_e32 vcc_lo, v7, v5
	v_cmp_eq_u32_e64 s0, v7, v2
	s_delay_alu instid0(VALU_DEP_1) | instskip(NEXT) | instid1(SALU_CYCLE_1)
	s_or_b32 s0, vcc_lo, s0
	s_and_b32 s0, exec_lo, s0
	s_delay_alu instid0(SALU_CYCLE_1) | instskip(NEXT) | instid1(SALU_CYCLE_1)
	s_or_b32 s28, s0, s28
	s_and_not1_b32 exec_lo, exec_lo, s28
	s_cbranch_execnz .LBB24_75
; %bb.76:                               ;   in Loop: Header=BB24_73 Depth=1
	s_or_b32 exec_lo, exec_lo, s28
.LBB24_77:                              ;   in Loop: Header=BB24_73 Depth=1
	s_delay_alu instid0(VALU_DEP_1) | instskip(SKIP_2) | instid1(VALU_DEP_3)
	v_ashrrev_i32_e32 v6, 31, v5
	v_ashrrev_i32_e32 v4, 31, v3
	v_cmp_le_i32_e64 s0, s25, v3
	v_lshlrev_b64 v[8:9], 2, v[5:6]
	s_delay_alu instid0(VALU_DEP_3) | instskip(NEXT) | instid1(VALU_DEP_2)
	v_lshlrev_b64 v[11:12], 2, v[3:4]
	v_add_co_u32 v8, vcc_lo, s8, v8
	s_delay_alu instid0(VALU_DEP_3) | instskip(NEXT) | instid1(VALU_DEP_3)
	v_add_co_ci_u32_e32 v9, vcc_lo, s9, v9, vcc_lo
	v_add_co_u32 v11, vcc_lo, s10, v11
	s_delay_alu instid0(VALU_DEP_4)
	v_add_co_ci_u32_e32 v12, vcc_lo, s11, v12, vcc_lo
	global_load_b32 v2, v[8:9], off
	global_load_b32 v4, v[11:12], off
	v_lshl_add_u32 v11, s27, 3, v10
                                        ; implicit-def: $vgpr12
	s_waitcnt vmcnt(1)
	v_subrev_nc_u32_e32 v6, s24, v2
	s_waitcnt vmcnt(0)
	v_subrev_nc_u32_e32 v2, s24, v4
                                        ; implicit-def: $vgpr4
	s_delay_alu instid0(VALU_DEP_2) | instskip(SKIP_1) | instid1(VALU_DEP_1)
	v_cmp_gt_i32_e32 vcc_lo, v6, v3
	v_cndmask_b32_e32 v6, v5, v7, vcc_lo
	v_cmp_eq_u32_e32 vcc_lo, v2, v6
	s_or_b32 s0, vcc_lo, s0
	s_delay_alu instid0(SALU_CYCLE_1) | instskip(NEXT) | instid1(SALU_CYCLE_1)
	s_and_saveexec_b32 s28, s0
	s_xor_b32 s0, exec_lo, s28
	s_cbranch_execz .LBB24_79
; %bb.78:                               ;   in Loop: Header=BB24_73 Depth=1
	ds_load_b64 v[4:5], v11
                                        ; implicit-def: $vgpr6
	s_waitcnt lgkmcnt(0)
	v_xor_b32_e32 v12, 0x80000000, v5
.LBB24_79:                              ;   in Loop: Header=BB24_73 Depth=1
	s_and_not1_saveexec_b32 s28, s0
	s_cbranch_execz .LBB24_72
; %bb.80:                               ;   in Loop: Header=BB24_73 Depth=1
	v_ashrrev_i32_e32 v7, 31, v6
	v_cmp_le_i32_e64 s0, s23, v2
	s_delay_alu instid0(VALU_DEP_2) | instskip(NEXT) | instid1(VALU_DEP_1)
	v_lshlrev_b64 v[3:4], 3, v[6:7]
	v_add_co_u32 v3, vcc_lo, s14, v3
	s_delay_alu instid0(VALU_DEP_2)
	v_add_co_ci_u32_e32 v4, vcc_lo, s15, v4, vcc_lo
	v_cmp_gt_i32_e32 vcc_lo, s12, v2
	global_load_b64 v[6:7], v[3:4], off
	ds_load_b64 v[4:5], v11
	s_or_b32 s0, vcc_lo, s0
	s_waitcnt lgkmcnt(0)
	v_xor_b32_e32 v12, 0x80000000, v5
	s_waitcnt vmcnt(0)
	v_mul_f32_e64 v14, v7, -v5
	s_delay_alu instid0(VALU_DEP_1) | instskip(NEXT) | instid1(VALU_DEP_1)
	v_dual_mul_f32 v13, v7, v4 :: v_dual_fmac_f32 v14, v4, v6
	v_fmac_f32_e32 v13, v5, v6
	s_and_saveexec_b32 s29, s0
	s_delay_alu instid0(SALU_CYCLE_1)
	s_xor_b32 s0, exec_lo, s29
	s_cbranch_execz .LBB24_86
; %bb.81:                               ;   in Loop: Header=BB24_73 Depth=1
	v_ashrrev_i32_e32 v3, 31, v2
	s_mov_b32 s29, 0
	s_delay_alu instid0(VALU_DEP_1) | instskip(NEXT) | instid1(VALU_DEP_1)
	v_lshlrev_b64 v[6:7], 3, v[2:3]
	v_add_co_u32 v6, vcc_lo, s20, v6
	s_delay_alu instid0(VALU_DEP_2)
	v_add_co_ci_u32_e32 v7, vcc_lo, s21, v7, vcc_lo
	global_load_b32 v9, v[6:7], off
.LBB24_82:                              ;   Parent Loop BB24_73 Depth=1
                                        ; =>  This Inner Loop Header: Depth=2
	s_waitcnt vmcnt(0)
	v_add_f32_e32 v8, v9, v14
	global_atomic_cmpswap_b32 v3, v[6:7], v[8:9], off glc
	s_waitcnt vmcnt(0)
	v_cmp_eq_u32_e32 vcc_lo, v3, v9
	v_mov_b32_e32 v9, v3
	s_or_b32 s29, vcc_lo, s29
	s_delay_alu instid0(SALU_CYCLE_1)
	s_and_not1_b32 exec_lo, exec_lo, s29
	s_cbranch_execnz .LBB24_82
; %bb.83:                               ;   in Loop: Header=BB24_73 Depth=1
	s_or_b32 exec_lo, exec_lo, s29
	global_load_b32 v9, v[6:7], off offset:4
	s_mov_b32 s29, 0
.LBB24_84:                              ;   Parent Loop BB24_73 Depth=1
                                        ; =>  This Inner Loop Header: Depth=2
	s_waitcnt vmcnt(0)
	v_add_f32_e32 v8, v9, v13
	global_atomic_cmpswap_b32 v3, v[6:7], v[8:9], off offset:4 glc
	s_waitcnt vmcnt(0)
	v_cmp_eq_u32_e32 vcc_lo, v3, v9
	v_mov_b32_e32 v9, v3
	s_or_b32 s29, vcc_lo, s29
	s_delay_alu instid0(SALU_CYCLE_1)
	s_and_not1_b32 exec_lo, exec_lo, s29
	s_cbranch_execnz .LBB24_84
; %bb.85:                               ;   in Loop: Header=BB24_73 Depth=1
	s_or_b32 exec_lo, exec_lo, s29
                                        ; implicit-def: $vgpr14
                                        ; implicit-def: $vgpr13
.LBB24_86:                              ;   in Loop: Header=BB24_73 Depth=1
	s_and_not1_saveexec_b32 s0, s0
	s_cbranch_execz .LBB24_71
; %bb.87:                               ;   in Loop: Header=BB24_73 Depth=1
	v_subrev_nc_u32_e32 v3, s12, v2
	s_delay_alu instid0(VALU_DEP_1)
	v_lshl_add_u32 v3, v3, 3, 0x2000
	ds_add_f32 v3, v14
	ds_add_f32 v3, v13 offset:4
	s_branch .LBB24_71
.LBB24_88:
	s_or_b32 exec_lo, exec_lo, s13
                                        ; implicit-def: $vgpr9
                                        ; implicit-def: $vgpr1
.LBB24_89:
	s_and_not1_saveexec_b32 s13, s4
	s_cbranch_execz .LBB24_147
; %bb.90:
	s_add_i32 s17, s23, -1
	v_mov_b32_e32 v6, s22
	s_cmp_le_i32 s17, s22
	v_mov_b32_e32 v4, s17
	s_cselect_b32 s0, -1, 0
	s_add_i32 s4, s23, -2
	s_delay_alu instid0(SALU_CYCLE_1) | instskip(SKIP_1) | instid1(SALU_CYCLE_1)
	s_cmp_eq_u32 s4, s22
	s_cselect_b32 s4, -1, 0
	s_or_b32 s4, s0, s4
	s_delay_alu instid0(SALU_CYCLE_1)
	s_and_b32 vcc_lo, exec_lo, s4
	s_cbranch_vccnz .LBB24_94
; %bb.91:
	v_mov_b32_e32 v6, s22
	v_mov_b32_e32 v4, s17
	s_mov_b32 s5, 0
	.p2align	6
.LBB24_92:                              ; =>This Inner Loop Header: Depth=1
	s_delay_alu instid0(VALU_DEP_1) | instskip(NEXT) | instid1(VALU_DEP_1)
	v_add_nc_u32_e32 v3, v4, v6
	v_lshrrev_b32_e32 v5, 31, v3
	s_delay_alu instid0(VALU_DEP_1) | instskip(NEXT) | instid1(VALU_DEP_1)
	v_add_nc_u32_e32 v3, v3, v5
	v_ashrrev_i32_e32 v7, 1, v3
	s_delay_alu instid0(VALU_DEP_1) | instskip(NEXT) | instid1(VALU_DEP_1)
	v_ashrrev_i32_e32 v8, 31, v7
	v_lshlrev_b64 v[11:12], 2, v[7:8]
	s_delay_alu instid0(VALU_DEP_1) | instskip(NEXT) | instid1(VALU_DEP_2)
	v_add_co_u32 v11, vcc_lo, s8, v11
	v_add_co_ci_u32_e32 v12, vcc_lo, s9, v12, vcc_lo
	global_load_b32 v3, v[11:12], off
	s_waitcnt vmcnt(0)
	v_subrev_nc_u32_e32 v3, s24, v3
	s_delay_alu instid0(VALU_DEP_1) | instskip(SKIP_1) | instid1(VALU_DEP_1)
	v_cmp_gt_i32_e32 vcc_lo, v3, v1
	v_cndmask_b32_e32 v4, v4, v7, vcc_lo
	v_dual_cndmask_b32 v6, v7, v6 :: v_dual_add_nc_u32 v3, -1, v4
	s_delay_alu instid0(VALU_DEP_1) | instskip(NEXT) | instid1(VALU_DEP_2)
	v_cmp_ge_i32_e32 vcc_lo, v6, v4
	v_cmp_eq_u32_e64 s0, v6, v3
	s_delay_alu instid0(VALU_DEP_1) | instskip(NEXT) | instid1(SALU_CYCLE_1)
	s_or_b32 s0, vcc_lo, s0
	s_and_b32 s0, exec_lo, s0
	s_delay_alu instid0(SALU_CYCLE_1) | instskip(NEXT) | instid1(SALU_CYCLE_1)
	s_or_b32 s5, s0, s5
	s_and_not1_b32 exec_lo, exec_lo, s5
	s_cbranch_execnz .LBB24_92
; %bb.93:
	s_or_b32 exec_lo, exec_lo, s5
.LBB24_94:
	v_ashrrev_i32_e32 v5, 31, v4
	v_lshlrev_b64 v[2:3], 2, v[1:2]
	s_xor_b32 s19, s4, -1
	s_ashr_i32 s5, s23, 31
	s_mov_b32 s4, s23
	v_lshlrev_b64 v[7:8], 2, v[4:5]
	s_lshl_b64 s[4:5], s[4:5], 2
	s_delay_alu instid0(SALU_CYCLE_1) | instskip(SKIP_1) | instid1(VALU_DEP_1)
	s_add_u32 s4, s8, s4
	s_addc_u32 s5, s9, s5
	v_add_co_u32 v7, vcc_lo, s8, v7
	s_delay_alu instid0(VALU_DEP_2)
	v_add_co_ci_u32_e32 v8, vcc_lo, s9, v8, vcc_lo
	v_add_co_u32 v2, vcc_lo, s10, v2
	v_add_co_ci_u32_e32 v3, vcc_lo, s11, v3, vcc_lo
	global_load_b32 v5, v[7:8], off
	s_mov_b32 s10, exec_lo
	global_load_b32 v7, v[2:3], off
	s_waitcnt vmcnt(1)
	v_subrev_nc_u32_e32 v5, s24, v5
	s_delay_alu instid0(VALU_DEP_1) | instskip(SKIP_3) | instid1(VALU_DEP_1)
	v_cmp_gt_i32_e32 vcc_lo, v5, v1
	v_cndmask_b32_e32 v5, v4, v6, vcc_lo
	s_waitcnt vmcnt(0)
	v_subrev_nc_u32_e32 v4, s24, v7
	v_cmpx_ne_u32_e64 v4, v5
	s_cbranch_execz .LBB24_104
; %bb.95:
	s_load_b32 s0, s[4:5], 0x0
	s_waitcnt lgkmcnt(0)
	s_sub_i32 s0, s0, s24
	s_delay_alu instid0(SALU_CYCLE_1)
	v_cmp_gt_i32_e32 vcc_lo, s0, v1
	s_and_b32 exec_lo, exec_lo, vcc_lo
	s_cbranch_execz .LBB24_104
; %bb.96:
	v_ashrrev_i32_e32 v6, 31, v5
	ds_load_b64 v[7:8], v10
	v_cmp_le_i32_e64 s0, s23, v4
	v_lshlrev_b64 v[5:6], 3, v[5:6]
	s_delay_alu instid0(VALU_DEP_1) | instskip(NEXT) | instid1(VALU_DEP_2)
	v_add_co_u32 v5, vcc_lo, s14, v5
	v_add_co_ci_u32_e32 v6, vcc_lo, s15, v6, vcc_lo
	v_cmp_gt_i32_e32 vcc_lo, s12, v4
	global_load_b64 v[5:6], v[5:6], off
	s_or_b32 s0, vcc_lo, s0
	s_waitcnt vmcnt(0) lgkmcnt(0)
	v_mul_f32_e64 v12, v6, -v8
	s_delay_alu instid0(VALU_DEP_1) | instskip(NEXT) | instid1(VALU_DEP_1)
	v_dual_mul_f32 v11, v6, v7 :: v_dual_fmac_f32 v12, v7, v5
	v_fmac_f32_e32 v11, v8, v5
	s_and_saveexec_b32 s11, s0
	s_delay_alu instid0(SALU_CYCLE_1)
	s_xor_b32 s0, exec_lo, s11
	s_cbranch_execz .LBB24_102
; %bb.97:
	v_ashrrev_i32_e32 v5, 31, v4
	s_mov_b32 s11, 0
	s_delay_alu instid0(VALU_DEP_1) | instskip(NEXT) | instid1(VALU_DEP_1)
	v_lshlrev_b64 v[5:6], 3, v[4:5]
	v_add_co_u32 v5, vcc_lo, s20, v5
	s_delay_alu instid0(VALU_DEP_2)
	v_add_co_ci_u32_e32 v6, vcc_lo, s21, v6, vcc_lo
	global_load_b32 v8, v[5:6], off
.LBB24_98:                              ; =>This Inner Loop Header: Depth=1
	s_waitcnt vmcnt(0)
	v_add_f32_e32 v7, v8, v12
	global_atomic_cmpswap_b32 v7, v[5:6], v[7:8], off glc
	s_waitcnt vmcnt(0)
	v_cmp_eq_u32_e32 vcc_lo, v7, v8
	v_mov_b32_e32 v8, v7
	s_or_b32 s11, vcc_lo, s11
	s_delay_alu instid0(SALU_CYCLE_1)
	s_and_not1_b32 exec_lo, exec_lo, s11
	s_cbranch_execnz .LBB24_98
; %bb.99:
	s_or_b32 exec_lo, exec_lo, s11
	global_load_b32 v8, v[5:6], off offset:4
	s_mov_b32 s11, 0
.LBB24_100:                             ; =>This Inner Loop Header: Depth=1
	s_waitcnt vmcnt(0)
	v_add_f32_e32 v7, v8, v11
	global_atomic_cmpswap_b32 v7, v[5:6], v[7:8], off offset:4 glc
	s_waitcnt vmcnt(0)
	v_cmp_eq_u32_e32 vcc_lo, v7, v8
	v_mov_b32_e32 v8, v7
	s_or_b32 s11, vcc_lo, s11
	s_delay_alu instid0(SALU_CYCLE_1)
	s_and_not1_b32 exec_lo, exec_lo, s11
	s_cbranch_execnz .LBB24_100
; %bb.101:
	s_or_b32 exec_lo, exec_lo, s11
                                        ; implicit-def: $vgpr12
                                        ; implicit-def: $vgpr11
.LBB24_102:
	s_and_not1_saveexec_b32 s0, s0
	s_cbranch_execz .LBB24_104
; %bb.103:
	v_subrev_nc_u32_e32 v5, s12, v4
	s_delay_alu instid0(VALU_DEP_1)
	v_lshl_add_u32 v5, v5, 3, 0x2000
	ds_add_f32 v5, v12
	ds_add_f32 v5, v11 offset:4
.LBB24_104:
	s_or_b32 exec_lo, exec_lo, s10
	v_ashrrev_i32_e32 v5, 31, v4
	ds_load_b64 v[7:8], v10
	v_cndmask_b32_e64 v11, 0, 1, s19
	v_add_nc_u32_e32 v6, 0x100, v1
	v_lshlrev_b64 v[4:5], 3, v[4:5]
	s_delay_alu instid0(VALU_DEP_1) | instskip(NEXT) | instid1(VALU_DEP_2)
	v_add_co_u32 v4, vcc_lo, s14, v4
	v_add_co_ci_u32_e32 v5, vcc_lo, s15, v5, vcc_lo
	s_and_not1_b32 vcc_lo, exec_lo, s19
	global_load_b64 v[4:5], v[4:5], off
	s_waitcnt vmcnt(0) lgkmcnt(0)
	v_mul_f32_e64 v12, v5, -v8
	s_delay_alu instid0(VALU_DEP_1) | instskip(SKIP_1) | instid1(VALU_DEP_2)
	v_dual_mul_f32 v13, v5, v7 :: v_dual_fmac_f32 v12, v7, v4
	v_mov_b32_e32 v7, s22
	v_dual_fmac_f32 v13, v8, v4 :: v_dual_mov_b32 v4, s17
	ds_store_b64 v10, v[12:13]
	s_cbranch_vccnz .LBB24_108
; %bb.105:
	v_dual_mov_b32 v7, s22 :: v_dual_mov_b32 v4, s17
	s_mov_b32 s10, 0
	.p2align	6
.LBB24_106:                             ; =>This Inner Loop Header: Depth=1
	s_delay_alu instid0(VALU_DEP_1) | instskip(NEXT) | instid1(VALU_DEP_1)
	v_add_nc_u32_e32 v5, v4, v7
	v_lshrrev_b32_e32 v8, 31, v5
	s_delay_alu instid0(VALU_DEP_1) | instskip(NEXT) | instid1(VALU_DEP_1)
	v_add_nc_u32_e32 v5, v5, v8
	v_ashrrev_i32_e32 v12, 1, v5
	s_delay_alu instid0(VALU_DEP_1) | instskip(NEXT) | instid1(VALU_DEP_1)
	v_ashrrev_i32_e32 v13, 31, v12
	v_lshlrev_b64 v[13:14], 2, v[12:13]
	s_delay_alu instid0(VALU_DEP_1) | instskip(NEXT) | instid1(VALU_DEP_2)
	v_add_co_u32 v13, vcc_lo, s8, v13
	v_add_co_ci_u32_e32 v14, vcc_lo, s9, v14, vcc_lo
	global_load_b32 v5, v[13:14], off
	s_waitcnt vmcnt(0)
	v_subrev_nc_u32_e32 v5, s24, v5
	s_delay_alu instid0(VALU_DEP_1) | instskip(SKIP_2) | instid1(VALU_DEP_2)
	v_cmp_gt_i32_e32 vcc_lo, v5, v6
	v_cndmask_b32_e32 v4, v4, v12, vcc_lo
	v_cndmask_b32_e32 v7, v12, v7, vcc_lo
	v_add_nc_u32_e32 v5, -1, v4
	s_delay_alu instid0(VALU_DEP_2) | instskip(NEXT) | instid1(VALU_DEP_2)
	v_cmp_ge_i32_e32 vcc_lo, v7, v4
	v_cmp_eq_u32_e64 s0, v7, v5
	s_delay_alu instid0(VALU_DEP_1) | instskip(NEXT) | instid1(SALU_CYCLE_1)
	s_or_b32 s0, vcc_lo, s0
	s_and_b32 s0, exec_lo, s0
	s_delay_alu instid0(SALU_CYCLE_1) | instskip(NEXT) | instid1(SALU_CYCLE_1)
	s_or_b32 s10, s0, s10
	s_and_not1_b32 exec_lo, exec_lo, s10
	s_cbranch_execnz .LBB24_106
; %bb.107:
	s_or_b32 exec_lo, exec_lo, s10
.LBB24_108:
	v_ashrrev_i32_e32 v5, 31, v4
	s_mov_b32 s10, exec_lo
	s_delay_alu instid0(VALU_DEP_1) | instskip(NEXT) | instid1(VALU_DEP_1)
	v_lshlrev_b64 v[12:13], 2, v[4:5]
	v_add_co_u32 v12, vcc_lo, s8, v12
	s_delay_alu instid0(VALU_DEP_2) | instskip(SKIP_4) | instid1(VALU_DEP_1)
	v_add_co_ci_u32_e32 v13, vcc_lo, s9, v13, vcc_lo
	global_load_b32 v5, v[12:13], off
	global_load_b32 v8, v[2:3], off offset:1024
	s_waitcnt vmcnt(1)
	v_subrev_nc_u32_e32 v5, s24, v5
	v_cmp_gt_i32_e32 vcc_lo, v5, v6
	v_cndmask_b32_e32 v5, v4, v7, vcc_lo
	s_waitcnt vmcnt(0)
	v_subrev_nc_u32_e32 v4, s24, v8
	s_delay_alu instid0(VALU_DEP_1)
	v_cmpx_ne_u32_e64 v4, v5
	s_cbranch_execz .LBB24_118
; %bb.109:
	s_load_b32 s0, s[4:5], 0x0
	s_waitcnt lgkmcnt(0)
	s_sub_i32 s0, s0, s24
	s_delay_alu instid0(SALU_CYCLE_1)
	v_cmp_gt_i32_e32 vcc_lo, s0, v6
	s_and_b32 exec_lo, exec_lo, vcc_lo
	s_cbranch_execz .LBB24_118
; %bb.110:
	v_ashrrev_i32_e32 v6, 31, v5
	ds_load_b64 v[7:8], v10 offset:2048
	v_cmp_le_i32_e64 s0, s23, v4
	v_lshlrev_b64 v[5:6], 3, v[5:6]
	s_delay_alu instid0(VALU_DEP_1) | instskip(NEXT) | instid1(VALU_DEP_2)
	v_add_co_u32 v5, vcc_lo, s14, v5
	v_add_co_ci_u32_e32 v6, vcc_lo, s15, v6, vcc_lo
	v_cmp_gt_i32_e32 vcc_lo, s12, v4
	global_load_b64 v[5:6], v[5:6], off
	s_or_b32 s0, vcc_lo, s0
	s_waitcnt vmcnt(0) lgkmcnt(0)
	v_mul_f32_e64 v13, v6, -v8
	s_delay_alu instid0(VALU_DEP_1) | instskip(NEXT) | instid1(VALU_DEP_1)
	v_dual_mul_f32 v12, v6, v7 :: v_dual_fmac_f32 v13, v7, v5
	v_fmac_f32_e32 v12, v8, v5
	s_and_saveexec_b32 s11, s0
	s_delay_alu instid0(SALU_CYCLE_1)
	s_xor_b32 s0, exec_lo, s11
	s_cbranch_execz .LBB24_116
; %bb.111:
	v_ashrrev_i32_e32 v5, 31, v4
	s_mov_b32 s11, 0
	s_delay_alu instid0(VALU_DEP_1) | instskip(NEXT) | instid1(VALU_DEP_1)
	v_lshlrev_b64 v[5:6], 3, v[4:5]
	v_add_co_u32 v5, vcc_lo, s20, v5
	s_delay_alu instid0(VALU_DEP_2)
	v_add_co_ci_u32_e32 v6, vcc_lo, s21, v6, vcc_lo
	global_load_b32 v8, v[5:6], off
.LBB24_112:                             ; =>This Inner Loop Header: Depth=1
	s_waitcnt vmcnt(0)
	v_add_f32_e32 v7, v8, v13
	global_atomic_cmpswap_b32 v7, v[5:6], v[7:8], off glc
	s_waitcnt vmcnt(0)
	v_cmp_eq_u32_e32 vcc_lo, v7, v8
	v_mov_b32_e32 v8, v7
	s_or_b32 s11, vcc_lo, s11
	s_delay_alu instid0(SALU_CYCLE_1)
	s_and_not1_b32 exec_lo, exec_lo, s11
	s_cbranch_execnz .LBB24_112
; %bb.113:
	s_or_b32 exec_lo, exec_lo, s11
	global_load_b32 v8, v[5:6], off offset:4
	s_mov_b32 s11, 0
.LBB24_114:                             ; =>This Inner Loop Header: Depth=1
	s_waitcnt vmcnt(0)
	v_add_f32_e32 v7, v8, v12
	global_atomic_cmpswap_b32 v7, v[5:6], v[7:8], off offset:4 glc
	s_waitcnt vmcnt(0)
	v_cmp_eq_u32_e32 vcc_lo, v7, v8
	v_mov_b32_e32 v8, v7
	s_or_b32 s11, vcc_lo, s11
	s_delay_alu instid0(SALU_CYCLE_1)
	s_and_not1_b32 exec_lo, exec_lo, s11
	s_cbranch_execnz .LBB24_114
; %bb.115:
	s_or_b32 exec_lo, exec_lo, s11
                                        ; implicit-def: $vgpr13
                                        ; implicit-def: $vgpr12
.LBB24_116:
	s_and_not1_saveexec_b32 s0, s0
	s_cbranch_execz .LBB24_118
; %bb.117:
	v_subrev_nc_u32_e32 v5, s12, v4
	s_delay_alu instid0(VALU_DEP_1)
	v_lshl_add_u32 v5, v5, 3, 0x2000
	ds_add_f32 v5, v13
	ds_add_f32 v5, v12 offset:4
.LBB24_118:
	s_or_b32 exec_lo, exec_lo, s10
	v_ashrrev_i32_e32 v5, 31, v4
	ds_load_b64 v[6:7], v10 offset:2048
	v_add_nc_u32_e32 v1, 0x200, v1
	v_lshlrev_b64 v[4:5], 3, v[4:5]
	s_delay_alu instid0(VALU_DEP_1) | instskip(NEXT) | instid1(VALU_DEP_2)
	v_add_co_u32 v4, vcc_lo, s14, v4
	v_add_co_ci_u32_e32 v5, vcc_lo, s15, v5, vcc_lo
	v_cmp_ne_u32_e32 vcc_lo, 1, v11
	global_load_b64 v[4:5], v[4:5], off
	s_and_b32 vcc_lo, exec_lo, vcc_lo
	s_waitcnt vmcnt(0) lgkmcnt(0)
	v_mul_f32_e64 v12, v5, -v7
	s_delay_alu instid0(VALU_DEP_1) | instskip(NEXT) | instid1(VALU_DEP_1)
	v_dual_mul_f32 v13, v5, v6 :: v_dual_fmac_f32 v12, v6, v4
	v_dual_fmac_f32 v13, v7, v4 :: v_dual_mov_b32 v4, s17
	v_mov_b32_e32 v6, s22
	ds_store_b64 v10, v[12:13] offset:2048
	s_cbranch_vccnz .LBB24_122
; %bb.119:
	v_mov_b32_e32 v6, s22
	v_mov_b32_e32 v4, s17
	s_mov_b32 s10, 0
	.p2align	6
.LBB24_120:                             ; =>This Inner Loop Header: Depth=1
	s_delay_alu instid0(VALU_DEP_1) | instskip(NEXT) | instid1(VALU_DEP_1)
	v_add_nc_u32_e32 v5, v4, v6
	v_lshrrev_b32_e32 v7, 31, v5
	s_delay_alu instid0(VALU_DEP_1) | instskip(NEXT) | instid1(VALU_DEP_1)
	v_add_nc_u32_e32 v5, v5, v7
	v_ashrrev_i32_e32 v7, 1, v5
	s_delay_alu instid0(VALU_DEP_1) | instskip(NEXT) | instid1(VALU_DEP_1)
	v_ashrrev_i32_e32 v8, 31, v7
	v_lshlrev_b64 v[12:13], 2, v[7:8]
	s_delay_alu instid0(VALU_DEP_1) | instskip(NEXT) | instid1(VALU_DEP_2)
	v_add_co_u32 v12, vcc_lo, s8, v12
	v_add_co_ci_u32_e32 v13, vcc_lo, s9, v13, vcc_lo
	global_load_b32 v5, v[12:13], off
	s_waitcnt vmcnt(0)
	v_subrev_nc_u32_e32 v5, s24, v5
	s_delay_alu instid0(VALU_DEP_1) | instskip(SKIP_2) | instid1(VALU_DEP_1)
	v_cmp_gt_i32_e32 vcc_lo, v5, v1
	v_cndmask_b32_e32 v6, v7, v6, vcc_lo
	v_cndmask_b32_e32 v4, v4, v7, vcc_lo
	v_add_nc_u32_e32 v5, -1, v4
	s_delay_alu instid0(VALU_DEP_3) | instskip(NEXT) | instid1(VALU_DEP_2)
	v_cmp_ge_i32_e32 vcc_lo, v6, v4
	v_cmp_eq_u32_e64 s0, v6, v5
	s_delay_alu instid0(VALU_DEP_1) | instskip(NEXT) | instid1(SALU_CYCLE_1)
	s_or_b32 s0, vcc_lo, s0
	s_and_b32 s0, exec_lo, s0
	s_delay_alu instid0(SALU_CYCLE_1) | instskip(NEXT) | instid1(SALU_CYCLE_1)
	s_or_b32 s10, s0, s10
	s_and_not1_b32 exec_lo, exec_lo, s10
	s_cbranch_execnz .LBB24_120
; %bb.121:
	s_or_b32 exec_lo, exec_lo, s10
.LBB24_122:
	v_ashrrev_i32_e32 v5, 31, v4
	s_mov_b32 s10, exec_lo
	s_delay_alu instid0(VALU_DEP_1) | instskip(NEXT) | instid1(VALU_DEP_1)
	v_lshlrev_b64 v[7:8], 2, v[4:5]
	v_add_co_u32 v7, vcc_lo, s8, v7
	s_delay_alu instid0(VALU_DEP_2) | instskip(SKIP_4) | instid1(VALU_DEP_1)
	v_add_co_ci_u32_e32 v8, vcc_lo, s9, v8, vcc_lo
	global_load_b32 v5, v[7:8], off
	global_load_b32 v7, v[2:3], off offset:2048
	s_waitcnt vmcnt(1)
	v_subrev_nc_u32_e32 v5, s24, v5
	v_cmp_gt_i32_e32 vcc_lo, v5, v1
	v_cndmask_b32_e32 v5, v4, v6, vcc_lo
	s_waitcnt vmcnt(0)
	v_subrev_nc_u32_e32 v4, s24, v7
	s_delay_alu instid0(VALU_DEP_1)
	v_cmpx_ne_u32_e64 v4, v5
	s_cbranch_execz .LBB24_132
; %bb.123:
	s_load_b32 s0, s[4:5], 0x0
	s_waitcnt lgkmcnt(0)
	s_sub_i32 s0, s0, s24
	s_delay_alu instid0(SALU_CYCLE_1)
	v_cmp_gt_i32_e32 vcc_lo, s0, v1
	s_and_b32 exec_lo, exec_lo, vcc_lo
	s_cbranch_execz .LBB24_132
; %bb.124:
	v_ashrrev_i32_e32 v6, 31, v5
	ds_load_b64 v[7:8], v10 offset:4096
	v_cmp_le_i32_e64 s0, s23, v4
	v_lshlrev_b64 v[5:6], 3, v[5:6]
	s_delay_alu instid0(VALU_DEP_1) | instskip(NEXT) | instid1(VALU_DEP_2)
	v_add_co_u32 v5, vcc_lo, s14, v5
	v_add_co_ci_u32_e32 v6, vcc_lo, s15, v6, vcc_lo
	v_cmp_gt_i32_e32 vcc_lo, s12, v4
	global_load_b64 v[5:6], v[5:6], off
	s_or_b32 s0, vcc_lo, s0
	s_waitcnt vmcnt(0) lgkmcnt(0)
	v_mul_f32_e64 v12, v6, -v8
	s_delay_alu instid0(VALU_DEP_1) | instskip(NEXT) | instid1(VALU_DEP_1)
	v_dual_mul_f32 v1, v6, v7 :: v_dual_fmac_f32 v12, v7, v5
	v_fmac_f32_e32 v1, v8, v5
	s_and_saveexec_b32 s11, s0
	s_delay_alu instid0(SALU_CYCLE_1)
	s_xor_b32 s0, exec_lo, s11
	s_cbranch_execz .LBB24_130
; %bb.125:
	v_ashrrev_i32_e32 v5, 31, v4
	s_mov_b32 s11, 0
	s_delay_alu instid0(VALU_DEP_1) | instskip(NEXT) | instid1(VALU_DEP_1)
	v_lshlrev_b64 v[5:6], 3, v[4:5]
	v_add_co_u32 v5, vcc_lo, s20, v5
	s_delay_alu instid0(VALU_DEP_2)
	v_add_co_ci_u32_e32 v6, vcc_lo, s21, v6, vcc_lo
	global_load_b32 v8, v[5:6], off
.LBB24_126:                             ; =>This Inner Loop Header: Depth=1
	s_waitcnt vmcnt(0)
	v_add_f32_e32 v7, v8, v12
	global_atomic_cmpswap_b32 v7, v[5:6], v[7:8], off glc
	s_waitcnt vmcnt(0)
	v_cmp_eq_u32_e32 vcc_lo, v7, v8
	v_mov_b32_e32 v8, v7
	s_or_b32 s11, vcc_lo, s11
	s_delay_alu instid0(SALU_CYCLE_1)
	s_and_not1_b32 exec_lo, exec_lo, s11
	s_cbranch_execnz .LBB24_126
; %bb.127:
	s_or_b32 exec_lo, exec_lo, s11
	global_load_b32 v8, v[5:6], off offset:4
	s_mov_b32 s11, 0
.LBB24_128:                             ; =>This Inner Loop Header: Depth=1
	s_waitcnt vmcnt(0)
	v_add_f32_e32 v7, v8, v1
	global_atomic_cmpswap_b32 v7, v[5:6], v[7:8], off offset:4 glc
	s_waitcnt vmcnt(0)
	v_cmp_eq_u32_e32 vcc_lo, v7, v8
	v_mov_b32_e32 v8, v7
	s_or_b32 s11, vcc_lo, s11
	s_delay_alu instid0(SALU_CYCLE_1)
	s_and_not1_b32 exec_lo, exec_lo, s11
	s_cbranch_execnz .LBB24_128
; %bb.129:
	s_or_b32 exec_lo, exec_lo, s11
                                        ; implicit-def: $vgpr12
                                        ; implicit-def: $vgpr1
.LBB24_130:
	s_and_not1_saveexec_b32 s0, s0
	s_cbranch_execz .LBB24_132
; %bb.131:
	v_subrev_nc_u32_e32 v5, s12, v4
	s_delay_alu instid0(VALU_DEP_1)
	v_lshl_add_u32 v5, v5, 3, 0x2000
	ds_add_f32 v5, v12
	ds_add_f32 v5, v1 offset:4
.LBB24_132:
	s_or_b32 exec_lo, exec_lo, s10
	v_ashrrev_i32_e32 v5, 31, v4
	ds_load_b64 v[6:7], v10 offset:4096
	v_mov_b32_e32 v1, s22
	v_lshlrev_b64 v[4:5], 3, v[4:5]
	s_delay_alu instid0(VALU_DEP_1) | instskip(NEXT) | instid1(VALU_DEP_2)
	v_add_co_u32 v4, vcc_lo, s14, v4
	v_add_co_ci_u32_e32 v5, vcc_lo, s15, v5, vcc_lo
	v_cmp_ne_u32_e32 vcc_lo, 1, v11
	global_load_b64 v[4:5], v[4:5], off
	s_and_b32 vcc_lo, exec_lo, vcc_lo
	s_waitcnt vmcnt(0) lgkmcnt(0)
	v_mul_f32_e64 v12, v5, -v7
	s_delay_alu instid0(VALU_DEP_1) | instskip(NEXT) | instid1(VALU_DEP_1)
	v_dual_mul_f32 v13, v5, v6 :: v_dual_fmac_f32 v12, v6, v4
	v_dual_fmac_f32 v13, v7, v4 :: v_dual_mov_b32 v4, s17
	ds_store_b64 v10, v[12:13] offset:4096
	s_cbranch_vccnz .LBB24_136
; %bb.133:
	v_dual_mov_b32 v1, s22 :: v_dual_mov_b32 v4, s17
	s_mov_b32 s10, 0
	.p2align	6
.LBB24_134:                             ; =>This Inner Loop Header: Depth=1
	s_delay_alu instid0(VALU_DEP_1) | instskip(NEXT) | instid1(VALU_DEP_1)
	v_add_nc_u32_e32 v5, v4, v1
	v_lshrrev_b32_e32 v6, 31, v5
	s_delay_alu instid0(VALU_DEP_1) | instskip(NEXT) | instid1(VALU_DEP_1)
	v_add_nc_u32_e32 v5, v5, v6
	v_ashrrev_i32_e32 v5, 1, v5
	s_delay_alu instid0(VALU_DEP_1) | instskip(NEXT) | instid1(VALU_DEP_1)
	v_ashrrev_i32_e32 v6, 31, v5
	v_lshlrev_b64 v[6:7], 2, v[5:6]
	s_delay_alu instid0(VALU_DEP_1) | instskip(NEXT) | instid1(VALU_DEP_2)
	v_add_co_u32 v6, vcc_lo, s8, v6
	v_add_co_ci_u32_e32 v7, vcc_lo, s9, v7, vcc_lo
	global_load_b32 v6, v[6:7], off
	s_waitcnt vmcnt(0)
	v_subrev_nc_u32_e32 v6, s24, v6
	s_delay_alu instid0(VALU_DEP_1) | instskip(SKIP_2) | instid1(VALU_DEP_2)
	v_cmp_gt_i32_e32 vcc_lo, v6, v9
	v_cndmask_b32_e32 v4, v4, v5, vcc_lo
	v_cndmask_b32_e32 v1, v5, v1, vcc_lo
	v_add_nc_u32_e32 v5, -1, v4
	s_delay_alu instid0(VALU_DEP_2) | instskip(NEXT) | instid1(VALU_DEP_2)
	v_cmp_ge_i32_e32 vcc_lo, v1, v4
	v_cmp_eq_u32_e64 s0, v1, v5
	s_delay_alu instid0(VALU_DEP_1) | instskip(NEXT) | instid1(SALU_CYCLE_1)
	s_or_b32 s0, vcc_lo, s0
	s_and_b32 s0, exec_lo, s0
	s_delay_alu instid0(SALU_CYCLE_1) | instskip(NEXT) | instid1(SALU_CYCLE_1)
	s_or_b32 s10, s0, s10
	s_and_not1_b32 exec_lo, exec_lo, s10
	s_cbranch_execnz .LBB24_134
; %bb.135:
	s_or_b32 exec_lo, exec_lo, s10
.LBB24_136:
	v_ashrrev_i32_e32 v5, 31, v4
	s_mov_b32 s10, exec_lo
	s_delay_alu instid0(VALU_DEP_1) | instskip(NEXT) | instid1(VALU_DEP_1)
	v_lshlrev_b64 v[5:6], 2, v[4:5]
	v_add_co_u32 v5, vcc_lo, s8, v5
	s_delay_alu instid0(VALU_DEP_2) | instskip(SKIP_4) | instid1(VALU_DEP_1)
	v_add_co_ci_u32_e32 v6, vcc_lo, s9, v6, vcc_lo
	global_load_b32 v5, v[5:6], off
	global_load_b32 v3, v[2:3], off offset:3072
	s_waitcnt vmcnt(1)
	v_subrev_nc_u32_e32 v2, s24, v5
	v_cmp_gt_i32_e32 vcc_lo, v2, v9
	v_cndmask_b32_e32 v2, v4, v1, vcc_lo
	s_waitcnt vmcnt(0)
	v_subrev_nc_u32_e32 v1, s24, v3
	s_delay_alu instid0(VALU_DEP_1)
	v_cmpx_ne_u32_e64 v1, v2
	s_cbranch_execz .LBB24_146
; %bb.137:
	s_load_b32 s0, s[4:5], 0x0
	s_waitcnt lgkmcnt(0)
	s_sub_i32 s0, s0, s24
	s_delay_alu instid0(SALU_CYCLE_1)
	v_cmp_gt_i32_e32 vcc_lo, s0, v9
	s_and_b32 exec_lo, exec_lo, vcc_lo
	s_cbranch_execz .LBB24_146
; %bb.138:
	v_ashrrev_i32_e32 v3, 31, v2
	ds_load_b64 v[4:5], v10 offset:6144
	v_cmp_le_i32_e64 s0, s23, v1
	v_lshlrev_b64 v[2:3], 3, v[2:3]
	s_delay_alu instid0(VALU_DEP_1) | instskip(NEXT) | instid1(VALU_DEP_2)
	v_add_co_u32 v2, vcc_lo, s14, v2
	v_add_co_ci_u32_e32 v3, vcc_lo, s15, v3, vcc_lo
	v_cmp_gt_i32_e32 vcc_lo, s12, v1
	global_load_b64 v[2:3], v[2:3], off
	s_or_b32 s0, vcc_lo, s0
	s_waitcnt vmcnt(0) lgkmcnt(0)
	v_mul_f32_e64 v7, v3, -v5
	s_delay_alu instid0(VALU_DEP_1) | instskip(NEXT) | instid1(VALU_DEP_1)
	v_dual_mul_f32 v6, v3, v4 :: v_dual_fmac_f32 v7, v4, v2
	v_fmac_f32_e32 v6, v5, v2
	s_and_saveexec_b32 s4, s0
	s_delay_alu instid0(SALU_CYCLE_1)
	s_xor_b32 s0, exec_lo, s4
	s_cbranch_execz .LBB24_144
; %bb.139:
	v_ashrrev_i32_e32 v2, 31, v1
	s_mov_b32 s4, 0
	s_delay_alu instid0(VALU_DEP_1) | instskip(NEXT) | instid1(VALU_DEP_1)
	v_lshlrev_b64 v[2:3], 3, v[1:2]
	v_add_co_u32 v2, vcc_lo, s20, v2
	s_delay_alu instid0(VALU_DEP_2)
	v_add_co_ci_u32_e32 v3, vcc_lo, s21, v3, vcc_lo
	global_load_b32 v5, v[2:3], off
.LBB24_140:                             ; =>This Inner Loop Header: Depth=1
	s_waitcnt vmcnt(0)
	v_add_f32_e32 v4, v5, v7
	global_atomic_cmpswap_b32 v4, v[2:3], v[4:5], off glc
	s_waitcnt vmcnt(0)
	v_cmp_eq_u32_e32 vcc_lo, v4, v5
	v_mov_b32_e32 v5, v4
	s_or_b32 s4, vcc_lo, s4
	s_delay_alu instid0(SALU_CYCLE_1)
	s_and_not1_b32 exec_lo, exec_lo, s4
	s_cbranch_execnz .LBB24_140
; %bb.141:
	s_or_b32 exec_lo, exec_lo, s4
	global_load_b32 v5, v[2:3], off offset:4
	s_mov_b32 s4, 0
.LBB24_142:                             ; =>This Inner Loop Header: Depth=1
	s_waitcnt vmcnt(0)
	v_add_f32_e32 v4, v5, v6
	global_atomic_cmpswap_b32 v4, v[2:3], v[4:5], off offset:4 glc
	s_waitcnt vmcnt(0)
	v_cmp_eq_u32_e32 vcc_lo, v4, v5
	v_mov_b32_e32 v5, v4
	s_or_b32 s4, vcc_lo, s4
	s_delay_alu instid0(SALU_CYCLE_1)
	s_and_not1_b32 exec_lo, exec_lo, s4
	s_cbranch_execnz .LBB24_142
; %bb.143:
	s_or_b32 exec_lo, exec_lo, s4
                                        ; implicit-def: $vgpr7
                                        ; implicit-def: $vgpr6
.LBB24_144:
	s_and_not1_saveexec_b32 s0, s0
	s_cbranch_execz .LBB24_146
; %bb.145:
	v_subrev_nc_u32_e32 v2, s12, v1
	s_delay_alu instid0(VALU_DEP_1)
	v_lshl_add_u32 v2, v2, 3, 0x2000
	ds_add_f32 v2, v7
	ds_add_f32 v2, v6 offset:4
.LBB24_146:
	s_or_b32 exec_lo, exec_lo, s10
	v_ashrrev_i32_e32 v2, 31, v1
	ds_load_b64 v[3:4], v10 offset:6144
	v_lshlrev_b64 v[1:2], 3, v[1:2]
	s_delay_alu instid0(VALU_DEP_1) | instskip(NEXT) | instid1(VALU_DEP_2)
	v_add_co_u32 v1, vcc_lo, s14, v1
	v_add_co_ci_u32_e32 v2, vcc_lo, s15, v2, vcc_lo
	global_load_b64 v[1:2], v[1:2], off
	s_waitcnt vmcnt(0) lgkmcnt(0)
	v_mul_f32_e64 v5, v2, -v4
	s_delay_alu instid0(VALU_DEP_1) | instskip(NEXT) | instid1(VALU_DEP_1)
	v_dual_mul_f32 v6, v2, v3 :: v_dual_fmac_f32 v5, v3, v1
	v_fmac_f32_e32 v6, v4, v1
	ds_store_b64 v10, v[5:6] offset:6144
.LBB24_147:
	s_or_b32 exec_lo, exec_lo, s13
	s_min_i32 s10, s23, s18
	s_mov_b32 s4, exec_lo
	s_sub_i32 s0, s10, s16
	s_waitcnt lgkmcnt(0)
	s_barrier
	buffer_gl0_inv
	v_cmpx_gt_i32_e64 s0, v0
	s_cbranch_execz .LBB24_154
; %bb.148:
	v_mov_b32_e32 v7, v0
	s_mov_b32 s5, 0
	s_set_inst_prefetch_distance 0x1
	.p2align	6
.LBB24_149:                             ; =>This Loop Header: Depth=1
                                        ;     Child Loop BB24_150 Depth 2
                                        ;     Child Loop BB24_152 Depth 2
	s_delay_alu instid0(VALU_DEP_1) | instskip(SKIP_2) | instid1(VALU_DEP_2)
	v_add_nc_u32_e32 v1, s12, v7
	v_lshl_add_u32 v3, v7, 3, 0x2000
	s_mov_b32 s11, 0
	v_ashrrev_i32_e32 v2, 31, v1
	ds_load_2addr_b32 v[3:4], v3 offset1:1
	v_lshlrev_b64 v[1:2], 3, v[1:2]
	s_delay_alu instid0(VALU_DEP_1) | instskip(NEXT) | instid1(VALU_DEP_2)
	v_add_co_u32 v1, vcc_lo, s20, v1
	v_add_co_ci_u32_e32 v2, vcc_lo, s21, v2, vcc_lo
	global_load_b32 v6, v[1:2], off
.LBB24_150:                             ;   Parent Loop BB24_149 Depth=1
                                        ; =>  This Inner Loop Header: Depth=2
	s_waitcnt vmcnt(0) lgkmcnt(0)
	v_add_f32_e32 v5, v6, v3
	global_atomic_cmpswap_b32 v5, v[1:2], v[5:6], off glc
	s_waitcnt vmcnt(0)
	v_cmp_eq_u32_e32 vcc_lo, v5, v6
	v_mov_b32_e32 v6, v5
	s_or_b32 s11, vcc_lo, s11
	s_delay_alu instid0(SALU_CYCLE_1)
	s_and_not1_b32 exec_lo, exec_lo, s11
	s_cbranch_execnz .LBB24_150
; %bb.151:                              ;   in Loop: Header=BB24_149 Depth=1
	s_or_b32 exec_lo, exec_lo, s11
	global_load_b32 v6, v[1:2], off offset:4
	s_mov_b32 s11, 0
.LBB24_152:                             ;   Parent Loop BB24_149 Depth=1
                                        ; =>  This Inner Loop Header: Depth=2
	s_waitcnt vmcnt(0)
	v_add_f32_e32 v5, v6, v4
	global_atomic_cmpswap_b32 v3, v[1:2], v[5:6], off offset:4 glc
	s_waitcnt vmcnt(0)
	v_cmp_eq_u32_e32 vcc_lo, v3, v6
	v_mov_b32_e32 v6, v3
	s_or_b32 s11, vcc_lo, s11
	s_delay_alu instid0(SALU_CYCLE_1)
	s_and_not1_b32 exec_lo, exec_lo, s11
	s_cbranch_execnz .LBB24_152
; %bb.153:                              ;   in Loop: Header=BB24_149 Depth=1
	s_or_b32 exec_lo, exec_lo, s11
	v_add_nc_u32_e32 v7, 0x100, v7
	s_delay_alu instid0(VALU_DEP_1) | instskip(SKIP_1) | instid1(SALU_CYCLE_1)
	v_cmp_le_i32_e32 vcc_lo, s0, v7
	s_or_b32 s5, vcc_lo, s5
	s_and_not1_b32 exec_lo, exec_lo, s5
	s_cbranch_execnz .LBB24_149
.LBB24_154:
	s_set_inst_prefetch_distance 0x2
	s_or_b32 exec_lo, exec_lo, s4
	s_mul_i32 s4, s7, s16
	s_add_i32 s5, s7, 1
	s_sub_i32 s4, s1, s4
	v_add_nc_u32_e32 v1, s22, v0
	s_sub_i32 s11, s4, s16
	s_cmp_ge_u32 s4, s16
	s_cselect_b32 s5, s5, s7
	s_cselect_b32 s4, s11, s4
	s_add_i32 s7, s5, 1
	s_cmp_ge_u32 s4, s16
	s_barrier
	s_cselect_b32 s4, s7, s5
	s_mov_b32 s7, -1
	s_add_i32 s4, s4, -1
	buffer_gl0_inv
	s_ashr_i32 s5, s4, 1
	s_delay_alu instid0(SALU_CYCLE_1) | instskip(NEXT) | instid1(SALU_CYCLE_1)
	s_or_b32 s4, s5, s4
	s_ashr_i32 s5, s4, 2
	s_delay_alu instid0(SALU_CYCLE_1) | instskip(NEXT) | instid1(SALU_CYCLE_1)
	s_or_b32 s4, s5, s4
	;; [unrolled: 3-line block ×5, first 2 shown]
	s_add_i32 s4, s4, 1
	s_delay_alu instid0(SALU_CYCLE_1) | instskip(NEXT) | instid1(SALU_CYCLE_1)
	s_ashr_i32 s5, s4, 1
	s_cmp_gt_i32 s5, 1
	s_cbranch_scc1 .LBB24_167
; %bb.155:
	s_mov_b32 s7, exec_lo
	v_cmpx_gt_i32_e64 s23, v1
	s_cbranch_execz .LBB24_166
; %bb.156:
	s_sub_i32 s10, s10, s23
	v_mov_b32_e32 v2, v1
	s_lshl_b32 s12, s6, 3
	s_lshl_b32 s10, s10, 3
	s_mov_b32 s11, 0
	s_addk_i32 s10, 0x2000
	s_sub_i32 s12, 0, s12
.LBB24_157:                             ; =>This Loop Header: Depth=1
                                        ;     Child Loop BB24_159 Depth 2
                                        ;     Child Loop BB24_162 Depth 2
	;; [unrolled: 1-line block ×3, first 2 shown]
	v_ashrrev_i32_e32 v3, 31, v2
	v_mov_b32_e32 v9, 0
	v_mov_b32_e32 v7, 0
	s_mov_b32 s13, exec_lo
	s_delay_alu instid0(VALU_DEP_3) | instskip(NEXT) | instid1(VALU_DEP_1)
	v_lshlrev_b64 v[4:5], 2, v[2:3]
	v_add_co_u32 v4, vcc_lo, s8, v4
	s_delay_alu instid0(VALU_DEP_2)
	v_add_co_ci_u32_e32 v5, vcc_lo, s9, v5, vcc_lo
	global_load_b64 v[4:5], v[4:5], off
	s_waitcnt vmcnt(0)
	v_cmpx_lt_i32_e64 v4, v5
	s_cbranch_execz .LBB24_161
; %bb.158:                              ;   in Loop: Header=BB24_157 Depth=1
	v_subrev_nc_u32_e32 v5, s6, v5
	v_subrev_nc_u32_e32 v6, s6, v4
	v_lshl_add_u32 v4, v4, 3, s12
	v_mov_b32_e32 v9, 0
	v_mov_b32_e32 v7, 0
	s_mov_b32 s14, 0
.LBB24_159:                             ;   Parent Loop BB24_157 Depth=1
                                        ; =>  This Inner Loop Header: Depth=2
	ds_load_b64 v[11:12], v4
	v_add_nc_u32_e32 v6, 1, v6
	s_waitcnt lgkmcnt(0)
	v_dual_add_f32 v7, v7, v11 :: v_dual_add_nc_u32 v4, 8, v4
	s_delay_alu instid0(VALU_DEP_2) | instskip(SKIP_2) | instid1(SALU_CYCLE_1)
	v_cmp_ge_i32_e32 vcc_lo, v6, v5
	v_add_f32_e32 v9, v9, v12
	s_or_b32 s14, vcc_lo, s14
	s_and_not1_b32 exec_lo, exec_lo, s14
	s_cbranch_execnz .LBB24_159
; %bb.160:                              ;   in Loop: Header=BB24_157 Depth=1
	s_or_b32 exec_lo, exec_lo, s14
.LBB24_161:                             ;   in Loop: Header=BB24_157 Depth=1
	s_delay_alu instid0(SALU_CYCLE_1)
	s_or_b32 exec_lo, exec_lo, s13
	v_lshlrev_b64 v[3:4], 3, v[2:3]
	v_lshl_add_u32 v5, v2, 3, s10
	s_mov_b32 s13, 0
	ds_load_2addr_b32 v[5:6], v5 offset1:1
	v_add_co_u32 v3, vcc_lo, s20, v3
	v_add_co_ci_u32_e32 v4, vcc_lo, s21, v4, vcc_lo
	global_load_b32 v8, v[3:4], off
	s_waitcnt lgkmcnt(0)
	v_add_f32_e32 v5, v7, v5
.LBB24_162:                             ;   Parent Loop BB24_157 Depth=1
                                        ; =>  This Inner Loop Header: Depth=2
	s_waitcnt vmcnt(0)
	s_delay_alu instid0(VALU_DEP_1)
	v_add_f32_e32 v7, v8, v5
	global_atomic_cmpswap_b32 v7, v[3:4], v[7:8], off glc
	s_waitcnt vmcnt(0)
	v_cmp_eq_u32_e32 vcc_lo, v7, v8
	v_mov_b32_e32 v8, v7
	s_or_b32 s13, vcc_lo, s13
	s_delay_alu instid0(SALU_CYCLE_1)
	s_and_not1_b32 exec_lo, exec_lo, s13
	s_cbranch_execnz .LBB24_162
; %bb.163:                              ;   in Loop: Header=BB24_157 Depth=1
	s_or_b32 exec_lo, exec_lo, s13
	global_load_b32 v7, v[3:4], off offset:4
	v_add_f32_e32 v5, v9, v6
	s_mov_b32 s13, 0
.LBB24_164:                             ;   Parent Loop BB24_157 Depth=1
                                        ; =>  This Inner Loop Header: Depth=2
	s_waitcnt vmcnt(0)
	s_delay_alu instid0(VALU_DEP_1)
	v_add_f32_e32 v6, v7, v5
	global_atomic_cmpswap_b32 v6, v[3:4], v[6:7], off offset:4 glc
	s_waitcnt vmcnt(0)
	v_cmp_eq_u32_e32 vcc_lo, v6, v7
	v_mov_b32_e32 v7, v6
	s_or_b32 s13, vcc_lo, s13
	s_delay_alu instid0(SALU_CYCLE_1)
	s_and_not1_b32 exec_lo, exec_lo, s13
	s_cbranch_execnz .LBB24_164
; %bb.165:                              ;   in Loop: Header=BB24_157 Depth=1
	s_or_b32 exec_lo, exec_lo, s13
	v_add_nc_u32_e32 v2, s1, v2
	s_delay_alu instid0(VALU_DEP_1) | instskip(SKIP_1) | instid1(SALU_CYCLE_1)
	v_cmp_le_i32_e32 vcc_lo, s23, v2
	s_or_b32 s11, vcc_lo, s11
	s_and_not1_b32 exec_lo, exec_lo, s11
	s_cbranch_execnz .LBB24_157
.LBB24_166:
	s_or_b32 exec_lo, exec_lo, s7
	s_mov_b32 s7, 0
.LBB24_167:
	s_delay_alu instid0(SALU_CYCLE_1)
	s_and_not1_b32 vcc_lo, exec_lo, s7
	s_cbranch_vccnz .LBB24_194
; %bb.168:
	v_cvt_f32_u32_e32 v2, s5
	s_sub_i32 s1, 0, s5
	s_delay_alu instid0(VALU_DEP_1) | instskip(SKIP_2) | instid1(VALU_DEP_1)
	v_rcp_iflag_f32_e32 v2, v2
	s_waitcnt_depctr 0xfff
	v_mul_f32_e32 v2, 0x4f7ffffe, v2
	v_cvt_u32_f32_e32 v2, v2
	s_delay_alu instid0(VALU_DEP_1) | instskip(SKIP_1) | instid1(VALU_DEP_1)
	v_mul_lo_u32 v3, s1, v2
	s_mov_b32 s1, exec_lo
	v_mul_hi_u32 v3, v2, v3
	s_delay_alu instid0(VALU_DEP_1) | instskip(NEXT) | instid1(VALU_DEP_1)
	v_add_nc_u32_e32 v2, v2, v3
	v_mul_hi_u32 v2, v0, v2
	s_delay_alu instid0(VALU_DEP_1) | instskip(SKIP_1) | instid1(VALU_DEP_2)
	v_mul_lo_u32 v3, v2, s5
	v_add_nc_u32_e32 v4, 1, v2
	v_sub_nc_u32_e32 v3, v0, v3
	s_delay_alu instid0(VALU_DEP_1) | instskip(SKIP_1) | instid1(VALU_DEP_2)
	v_subrev_nc_u32_e32 v5, s5, v3
	v_cmp_le_u32_e32 vcc_lo, s5, v3
	v_dual_cndmask_b32 v2, v2, v4 :: v_dual_cndmask_b32 v3, v3, v5
	s_delay_alu instid0(VALU_DEP_1) | instskip(NEXT) | instid1(VALU_DEP_2)
	v_add_nc_u32_e32 v4, 1, v2
	v_cmp_le_u32_e32 vcc_lo, s5, v3
	s_delay_alu instid0(VALU_DEP_2) | instskip(NEXT) | instid1(VALU_DEP_1)
	v_cndmask_b32_e32 v2, v2, v4, vcc_lo
	v_dual_mov_b32 v4, 0 :: v_dual_lshlrev_b32 v3, 2, v2
	global_load_b64 v[5:6], v3, s[2:3]
	v_mov_b32_e32 v3, 0
	v_cmpx_gt_i32_e64 s16, v2
	s_cbranch_execz .LBB24_182
; %bb.169:
	s_abs_i32 s2, s5
	s_waitcnt vmcnt(0)
	v_subrev_nc_u32_e32 v7, s6, v6
	v_cvt_f32_u32_e32 v2, s2
	s_sub_i32 s3, 0, s2
	s_delay_alu instid0(VALU_DEP_1) | instskip(SKIP_2) | instid1(VALU_DEP_1)
	v_rcp_iflag_f32_e32 v2, v2
	s_waitcnt_depctr 0xfff
	v_mul_f32_e32 v2, 0x4f7ffffe, v2
	v_cvt_u32_f32_e32 v3, v2
	v_subrev_nc_u32_e32 v2, s6, v5
	s_delay_alu instid0(VALU_DEP_2) | instskip(NEXT) | instid1(VALU_DEP_2)
	v_mul_lo_u32 v4, s3, v3
	v_sub_nc_u32_e32 v6, v7, v2
	s_ashr_i32 s3, s5, 31
	s_delay_alu instid0(VALU_DEP_1) | instskip(NEXT) | instid1(VALU_DEP_3)
	v_sub_nc_u32_e32 v8, 0, v6
	v_mul_hi_u32 v4, v3, v4
	s_delay_alu instid0(VALU_DEP_2) | instskip(SKIP_1) | instid1(VALU_DEP_3)
	v_max_i32_e32 v8, v6, v8
	v_ashrrev_i32_e32 v6, 31, v6
	v_add_nc_u32_e32 v9, v3, v4
	s_delay_alu instid0(VALU_DEP_2) | instskip(NEXT) | instid1(VALU_DEP_2)
	v_xor_b32_e32 v6, s3, v6
	v_mad_u64_u32 v[3:4], null, v8, v9, 0
	s_delay_alu instid0(VALU_DEP_1) | instskip(NEXT) | instid1(VALU_DEP_1)
	v_mul_lo_u32 v3, v4, s2
	v_sub_nc_u32_e32 v3, v8, v3
	s_delay_alu instid0(VALU_DEP_1) | instskip(SKIP_1) | instid1(VALU_DEP_2)
	v_subrev_nc_u32_e32 v9, s2, v3
	v_cmp_le_u32_e32 vcc_lo, s2, v3
	v_dual_cndmask_b32 v3, v3, v9 :: v_dual_add_nc_u32 v8, 1, v4
	s_delay_alu instid0(VALU_DEP_1) | instskip(NEXT) | instid1(VALU_DEP_2)
	v_cndmask_b32_e32 v4, v4, v8, vcc_lo
	v_cmp_le_u32_e32 vcc_lo, s2, v3
	s_delay_alu instid0(VALU_DEP_2) | instskip(SKIP_1) | instid1(VALU_DEP_1)
	v_add_nc_u32_e32 v8, 1, v4
	s_add_i32 s2, s5, -1
	v_dual_cndmask_b32 v3, v4, v8 :: v_dual_mov_b32 v4, 0
	v_and_b32_e32 v8, s2, v0
	s_mov_b32 s2, exec_lo
	s_delay_alu instid0(VALU_DEP_2) | instskip(NEXT) | instid1(VALU_DEP_1)
	v_xor_b32_e32 v3, v3, v6
	v_sub_nc_u32_e32 v9, v3, v6
	v_mov_b32_e32 v3, 0
	s_delay_alu instid0(VALU_DEP_2)
	v_cmpx_lt_i32_e32 0, v9
	s_cbranch_execz .LBB24_179
; %bb.170:
	v_dual_mov_b32 v3, 0 :: v_dual_mov_b32 v6, 0
	v_mov_b32_e32 v4, 0
	s_mov_b32 s3, exec_lo
	v_cmpx_lt_u32_e32 7, v9
	s_cbranch_execz .LBB24_174
; %bb.171:
	v_dual_mov_b32 v4, 0 :: v_dual_add_nc_u32 v3, v5, v8
	v_and_b32_e32 v6, 0x7ffffff8, v9
	s_lshl_b32 s7, s5, 6
	s_lshl_b32 s9, s5, 3
	s_delay_alu instid0(VALU_DEP_2) | instskip(SKIP_2) | instid1(VALU_DEP_1)
	v_subrev_nc_u32_e32 v3, s6, v3
	s_mov_b32 s8, 0
	s_mov_b32 s10, 0
	v_lshlrev_b32_e32 v11, 3, v3
	v_mov_b32_e32 v3, v4
	s_set_inst_prefetch_distance 0x1
	.p2align	6
.LBB24_172:                             ; =>This Inner Loop Header: Depth=1
	ds_load_b64 v[12:13], v11
	v_add_nc_u32_e32 v14, s9, v11
	s_add_i32 s10, s10, 8
	s_delay_alu instid0(SALU_CYCLE_1) | instskip(NEXT) | instid1(VALU_DEP_2)
	v_cmp_eq_u32_e32 vcc_lo, s10, v6
	v_add_nc_u32_e32 v16, s9, v14
	ds_load_b64 v[14:15], v14
	s_or_b32 s8, vcc_lo, s8
	v_add_nc_u32_e32 v18, s9, v16
	s_delay_alu instid0(VALU_DEP_1)
	v_add_nc_u32_e32 v20, s9, v18
	ds_load_b64 v[18:19], v18
	v_add_nc_u32_e32 v11, s7, v11
	s_waitcnt lgkmcnt(2)
	v_add_f32_e32 v13, v4, v13
	ds_load_b64 v[16:17], v16
	v_add_f32_e32 v3, v3, v12
	v_add_nc_u32_e32 v12, s9, v20
	ds_load_b64 v[20:21], v20
	s_waitcnt lgkmcnt(3)
	v_add_f32_e32 v14, v3, v14
	v_add_nc_u32_e32 v22, s9, v12
	ds_load_b64 v[3:4], v12
	v_add_f32_e32 v15, v13, v15
	ds_load_2addr_b32 v[12:13], v22 offset1:1
	s_waitcnt lgkmcnt(3)
	v_add_f32_e32 v14, v14, v16
	v_dual_add_f32 v17, v15, v17 :: v_dual_add_nc_u32 v16, s9, v22
	s_delay_alu instid0(VALU_DEP_2) | instskip(SKIP_4) | instid1(VALU_DEP_1)
	v_add_f32_e32 v18, v14, v18
	ds_load_2addr_b32 v[14:15], v16 offset1:1
	s_waitcnt lgkmcnt(3)
	v_dual_add_f32 v16, v17, v19 :: v_dual_add_f32 v17, v18, v20
	s_waitcnt lgkmcnt(2)
	v_dual_add_f32 v16, v16, v21 :: v_dual_add_f32 v3, v17, v3
	s_delay_alu instid0(VALU_DEP_1) | instskip(SKIP_1) | instid1(VALU_DEP_1)
	v_add_f32_e32 v4, v16, v4
	s_waitcnt lgkmcnt(1)
	v_dual_add_f32 v3, v3, v12 :: v_dual_add_f32 v4, v4, v13
	s_waitcnt lgkmcnt(0)
	s_delay_alu instid0(VALU_DEP_1)
	v_dual_add_f32 v3, v3, v14 :: v_dual_add_f32 v4, v4, v15
	s_and_not1_b32 exec_lo, exec_lo, s8
	s_cbranch_execnz .LBB24_172
; %bb.173:
	s_set_inst_prefetch_distance 0x2
	s_or_b32 exec_lo, exec_lo, s8
.LBB24_174:
	s_delay_alu instid0(SALU_CYCLE_1) | instskip(SKIP_3) | instid1(VALU_DEP_1)
	s_or_b32 exec_lo, exec_lo, s3
	v_and_b32_e32 v11, 7, v9
	s_mov_b32 s7, 0
	s_mov_b32 s3, exec_lo
	v_cmpx_ne_u32_e32 0, v11
	s_cbranch_execz .LBB24_178
; %bb.175:
	v_mul_lo_u32 v6, v6, s5
	s_delay_alu instid0(VALU_DEP_1) | instskip(NEXT) | instid1(VALU_DEP_1)
	v_add3_u32 v5, v5, v8, v6
	v_subrev_nc_u32_e32 v5, s6, v5
	s_lshl_b32 s6, s5, 3
	s_delay_alu instid0(VALU_DEP_1)
	v_lshlrev_b32_e32 v5, 3, v5
.LBB24_176:                             ; =>This Inner Loop Header: Depth=1
	ds_load_b64 v[12:13], v5
	v_add_nc_u32_e32 v11, -1, v11
	v_add_nc_u32_e32 v5, s6, v5
	s_waitcnt lgkmcnt(0)
	v_add_f32_e32 v4, v4, v13
	s_delay_alu instid0(VALU_DEP_3) | instskip(SKIP_2) | instid1(SALU_CYCLE_1)
	v_cmp_eq_u32_e32 vcc_lo, 0, v11
	v_add_f32_e32 v3, v3, v12
	s_or_b32 s7, vcc_lo, s7
	s_and_not1_b32 exec_lo, exec_lo, s7
	s_cbranch_execnz .LBB24_176
; %bb.177:
	s_or_b32 exec_lo, exec_lo, s7
.LBB24_178:
	s_delay_alu instid0(SALU_CYCLE_1)
	s_or_b32 exec_lo, exec_lo, s3
.LBB24_179:
	s_delay_alu instid0(SALU_CYCLE_1) | instskip(NEXT) | instid1(VALU_DEP_2)
	s_or_b32 exec_lo, exec_lo, s2
	v_mad_u64_u32 v[5:6], null, v9, s5, v[2:3]
	s_mov_b32 s2, exec_lo
	s_delay_alu instid0(VALU_DEP_1) | instskip(NEXT) | instid1(VALU_DEP_1)
	v_sub_nc_u32_e32 v2, v7, v5
	v_cmpx_lt_i32_e64 v8, v2
	s_cbranch_execz .LBB24_181
; %bb.180:
	v_add_lshl_u32 v2, v5, v8, 3
	ds_load_b64 v[5:6], v2
	s_waitcnt lgkmcnt(0)
	v_dual_add_f32 v3, v3, v5 :: v_dual_add_f32 v4, v4, v6
.LBB24_181:
	s_or_b32 exec_lo, exec_lo, s2
.LBB24_182:
	s_delay_alu instid0(SALU_CYCLE_1)
	s_or_b32 exec_lo, exec_lo, s1
	v_cmp_gt_i32_e32 vcc_lo, s16, v0
	s_waitcnt vmcnt(0)
	s_barrier
	buffer_gl0_inv
	ds_store_b64 v10, v[3:4]
	s_waitcnt lgkmcnt(0)
	s_barrier
	buffer_gl0_inv
	s_and_b32 exec_lo, exec_lo, vcc_lo
	s_cbranch_execz .LBB24_194
; %bb.183:
	v_mul_lo_u32 v2, s5, v0
	v_mov_b32_e32 v5, 0
	s_cmp_lt_u32 s5, 8
	s_cbranch_scc1 .LBB24_186
; %bb.184:
	s_delay_alu instid0(VALU_DEP_2)
	v_lshlrev_b32_e32 v3, 3, v2
	v_mov_b32_e32 v7, 0
	v_mov_b32_e32 v5, 0
	s_and_b32 s1, s5, 0x7ffffff8
	s_mov_b32 s2, 0
	.p2align	6
.LBB24_185:                             ; =>This Inner Loop Header: Depth=1
	ds_load_2addr_b64 v[8:11], v3 offset1:1
	ds_load_2addr_b64 v[12:15], v3 offset0:2 offset1:3
	ds_load_2addr_b64 v[16:19], v3 offset0:4 offset1:5
	s_add_i32 s2, s2, 8
	s_delay_alu instid0(SALU_CYCLE_1) | instskip(SKIP_2) | instid1(VALU_DEP_1)
	s_cmp_eq_u32 s1, s2
	s_waitcnt lgkmcnt(2)
	v_dual_add_f32 v4, v5, v8 :: v_dual_add_f32 v5, v7, v9
	v_dual_add_f32 v8, v4, v10 :: v_dual_add_f32 v9, v5, v11
	ds_load_2addr_b64 v[4:7], v3 offset0:6 offset1:7
	s_waitcnt lgkmcnt(2)
	v_dual_add_f32 v8, v8, v12 :: v_dual_add_nc_u32 v3, 64, v3
	s_delay_alu instid0(VALU_DEP_1) | instskip(SKIP_1) | instid1(VALU_DEP_1)
	v_dual_add_f32 v9, v9, v13 :: v_dual_add_f32 v8, v8, v14
	s_waitcnt lgkmcnt(1)
	v_dual_add_f32 v9, v9, v15 :: v_dual_add_f32 v8, v8, v16
	s_delay_alu instid0(VALU_DEP_1) | instskip(SKIP_1) | instid1(VALU_DEP_1)
	v_dual_add_f32 v9, v9, v17 :: v_dual_add_f32 v8, v8, v18
	s_waitcnt lgkmcnt(0)
	v_dual_add_f32 v9, v9, v19 :: v_dual_add_f32 v4, v8, v4
	s_delay_alu instid0(VALU_DEP_1) | instskip(NEXT) | instid1(VALU_DEP_1)
	v_dual_add_f32 v8, v9, v5 :: v_dual_add_f32 v5, v4, v6
	v_add_f32_e32 v7, v8, v7
	s_cbranch_scc0 .LBB24_185
	s_branch .LBB24_187
.LBB24_186:
	v_mov_b32_e32 v7, 0
	s_mov_b32 s1, 0
.LBB24_187:
	s_bfe_u32 s2, s4, 0x30001
	s_delay_alu instid0(SALU_CYCLE_1)
	s_cmp_eq_u32 s2, 0
	s_cbranch_scc1 .LBB24_190
; %bb.188:
	v_add_lshl_u32 v2, s1, v2, 3
.LBB24_189:                             ; =>This Inner Loop Header: Depth=1
	ds_load_b64 v[3:4], v2
	v_add_nc_u32_e32 v2, 8, v2
	s_add_i32 s2, s2, -1
	s_delay_alu instid0(SALU_CYCLE_1)
	s_cmp_lg_u32 s2, 0
	s_waitcnt lgkmcnt(0)
	v_add_f32_e32 v5, v5, v3
	v_add_f32_e32 v7, v7, v4
	s_cbranch_scc1 .LBB24_189
.LBB24_190:
	v_ashrrev_i32_e32 v2, 31, v1
	v_lshlrev_b32_e32 v0, 3, v0
	s_lshl_b32 s0, s0, 3
	s_delay_alu instid0(VALU_DEP_2) | instskip(NEXT) | instid1(VALU_DEP_2)
	v_lshlrev_b64 v[1:2], 3, v[1:2]
	v_add3_u32 v0, 0x2000, s0, v0
	s_mov_b32 s0, 0
	ds_load_2addr_b32 v[3:4], v0 offset1:1
	v_add_co_u32 v1, vcc_lo, s20, v1
	v_add_co_ci_u32_e32 v2, vcc_lo, s21, v2, vcc_lo
	global_load_b32 v6, v[1:2], off
	s_waitcnt lgkmcnt(0)
	v_add_f32_e32 v0, v5, v3
.LBB24_191:                             ; =>This Inner Loop Header: Depth=1
	s_waitcnt vmcnt(0)
	s_delay_alu instid0(VALU_DEP_1)
	v_add_f32_e32 v5, v6, v0
	global_atomic_cmpswap_b32 v3, v[1:2], v[5:6], off glc
	s_waitcnt vmcnt(0)
	v_cmp_eq_u32_e32 vcc_lo, v3, v6
	v_mov_b32_e32 v6, v3
	s_or_b32 s0, vcc_lo, s0
	s_delay_alu instid0(SALU_CYCLE_1)
	s_and_not1_b32 exec_lo, exec_lo, s0
	s_cbranch_execnz .LBB24_191
; %bb.192:
	s_or_b32 exec_lo, exec_lo, s0
	global_load_b32 v5, v[1:2], off offset:4
	v_add_f32_e32 v0, v7, v4
	s_mov_b32 s0, 0
.LBB24_193:                             ; =>This Inner Loop Header: Depth=1
	s_waitcnt vmcnt(0)
	s_delay_alu instid0(VALU_DEP_1)
	v_add_f32_e32 v4, v5, v0
	global_atomic_cmpswap_b32 v3, v[1:2], v[4:5], off offset:4 glc
	s_waitcnt vmcnt(0)
	v_cmp_eq_u32_e32 vcc_lo, v3, v5
	v_mov_b32_e32 v5, v3
	s_or_b32 s0, vcc_lo, s0
	s_delay_alu instid0(SALU_CYCLE_1)
	s_and_not1_b32 exec_lo, exec_lo, s0
	s_cbranch_execnz .LBB24_193
.LBB24_194:
	s_endpgm
	.section	.rodata,"a",@progbits
	.p2align	6, 0x0
	.amdhsa_kernel _ZN9rocsparseL27csrmvn_symm_adaptive_kernelIii21rocsparse_complex_numIfES2_S2_S2_EEvbT_S3_PKS3_NS_24const_host_device_scalarIT4_EES5_PKT0_PKT1_PKT2_S8_PT3_21rocsparse_index_base_b
		.amdhsa_group_segment_fixed_size 8192
		.amdhsa_private_segment_fixed_size 0
		.amdhsa_kernarg_size 344
		.amdhsa_user_sgpr_count 15
		.amdhsa_user_sgpr_dispatch_ptr 0
		.amdhsa_user_sgpr_queue_ptr 0
		.amdhsa_user_sgpr_kernarg_segment_ptr 1
		.amdhsa_user_sgpr_dispatch_id 0
		.amdhsa_user_sgpr_private_segment_size 0
		.amdhsa_wavefront_size32 1
		.amdhsa_uses_dynamic_stack 0
		.amdhsa_enable_private_segment 0
		.amdhsa_system_sgpr_workgroup_id_x 1
		.amdhsa_system_sgpr_workgroup_id_y 0
		.amdhsa_system_sgpr_workgroup_id_z 0
		.amdhsa_system_sgpr_workgroup_info 0
		.amdhsa_system_vgpr_workitem_id 0
		.amdhsa_next_free_vgpr 23
		.amdhsa_next_free_sgpr 37
		.amdhsa_reserve_vcc 1
		.amdhsa_float_round_mode_32 0
		.amdhsa_float_round_mode_16_64 0
		.amdhsa_float_denorm_mode_32 3
		.amdhsa_float_denorm_mode_16_64 3
		.amdhsa_dx10_clamp 1
		.amdhsa_ieee_mode 1
		.amdhsa_fp16_overflow 0
		.amdhsa_workgroup_processor_mode 1
		.amdhsa_memory_ordered 1
		.amdhsa_forward_progress 0
		.amdhsa_shared_vgpr_count 0
		.amdhsa_exception_fp_ieee_invalid_op 0
		.amdhsa_exception_fp_denorm_src 0
		.amdhsa_exception_fp_ieee_div_zero 0
		.amdhsa_exception_fp_ieee_overflow 0
		.amdhsa_exception_fp_ieee_underflow 0
		.amdhsa_exception_fp_ieee_inexact 0
		.amdhsa_exception_int_div_zero 0
	.end_amdhsa_kernel
	.section	.text._ZN9rocsparseL27csrmvn_symm_adaptive_kernelIii21rocsparse_complex_numIfES2_S2_S2_EEvbT_S3_PKS3_NS_24const_host_device_scalarIT4_EES5_PKT0_PKT1_PKT2_S8_PT3_21rocsparse_index_base_b,"axG",@progbits,_ZN9rocsparseL27csrmvn_symm_adaptive_kernelIii21rocsparse_complex_numIfES2_S2_S2_EEvbT_S3_PKS3_NS_24const_host_device_scalarIT4_EES5_PKT0_PKT1_PKT2_S8_PT3_21rocsparse_index_base_b,comdat
.Lfunc_end24:
	.size	_ZN9rocsparseL27csrmvn_symm_adaptive_kernelIii21rocsparse_complex_numIfES2_S2_S2_EEvbT_S3_PKS3_NS_24const_host_device_scalarIT4_EES5_PKT0_PKT1_PKT2_S8_PT3_21rocsparse_index_base_b, .Lfunc_end24-_ZN9rocsparseL27csrmvn_symm_adaptive_kernelIii21rocsparse_complex_numIfES2_S2_S2_EEvbT_S3_PKS3_NS_24const_host_device_scalarIT4_EES5_PKT0_PKT1_PKT2_S8_PT3_21rocsparse_index_base_b
                                        ; -- End function
	.section	.AMDGPU.csdata,"",@progbits
; Kernel info:
; codeLenInByte = 9264
; NumSgprs: 39
; NumVgprs: 23
; ScratchSize: 0
; MemoryBound: 0
; FloatMode: 240
; IeeeMode: 1
; LDSByteSize: 8192 bytes/workgroup (compile time only)
; SGPRBlocks: 4
; VGPRBlocks: 2
; NumSGPRsForWavesPerEU: 39
; NumVGPRsForWavesPerEU: 23
; Occupancy: 16
; WaveLimiterHint : 1
; COMPUTE_PGM_RSRC2:SCRATCH_EN: 0
; COMPUTE_PGM_RSRC2:USER_SGPR: 15
; COMPUTE_PGM_RSRC2:TRAP_HANDLER: 0
; COMPUTE_PGM_RSRC2:TGID_X_EN: 1
; COMPUTE_PGM_RSRC2:TGID_Y_EN: 0
; COMPUTE_PGM_RSRC2:TGID_Z_EN: 0
; COMPUTE_PGM_RSRC2:TIDIG_COMP_CNT: 0
	.section	.text._ZL33csrmvn_symm_large_adaptive_kernelIii21rocsparse_complex_numIfES1_S1_S1_EvbT_PKS2_N9rocsparse24const_host_device_scalarIT4_EES4_PKT0_PKT1_PKT2_S8_PT3_21rocsparse_index_base_b,"axG",@progbits,_ZL33csrmvn_symm_large_adaptive_kernelIii21rocsparse_complex_numIfES1_S1_S1_EvbT_PKS2_N9rocsparse24const_host_device_scalarIT4_EES4_PKT0_PKT1_PKT2_S8_PT3_21rocsparse_index_base_b,comdat
	.globl	_ZL33csrmvn_symm_large_adaptive_kernelIii21rocsparse_complex_numIfES1_S1_S1_EvbT_PKS2_N9rocsparse24const_host_device_scalarIT4_EES4_PKT0_PKT1_PKT2_S8_PT3_21rocsparse_index_base_b ; -- Begin function _ZL33csrmvn_symm_large_adaptive_kernelIii21rocsparse_complex_numIfES1_S1_S1_EvbT_PKS2_N9rocsparse24const_host_device_scalarIT4_EES4_PKT0_PKT1_PKT2_S8_PT3_21rocsparse_index_base_b
	.p2align	8
	.type	_ZL33csrmvn_symm_large_adaptive_kernelIii21rocsparse_complex_numIfES1_S1_S1_EvbT_PKS2_N9rocsparse24const_host_device_scalarIT4_EES4_PKT0_PKT1_PKT2_S8_PT3_21rocsparse_index_base_b,@function
_ZL33csrmvn_symm_large_adaptive_kernelIii21rocsparse_complex_numIfES1_S1_S1_EvbT_PKS2_N9rocsparse24const_host_device_scalarIT4_EES4_PKT0_PKT1_PKT2_S8_PT3_21rocsparse_index_base_b: ; @_ZL33csrmvn_symm_large_adaptive_kernelIii21rocsparse_complex_numIfES1_S1_S1_EvbT_PKS2_N9rocsparse24const_host_device_scalarIT4_EES4_PKT0_PKT1_PKT2_S8_PT3_21rocsparse_index_base_b
; %bb.0:
	s_clause 0x2
	s_load_b64 s[6:7], s[0:1], 0x48
	s_load_b64 s[8:9], s[0:1], 0x10
	;; [unrolled: 1-line block ×3, first 2 shown]
	s_mov_b32 s4, s15
	s_waitcnt lgkmcnt(0)
	s_bitcmp1_b32 s7, 0
	v_mov_b32_e32 v7, s8
	s_cselect_b32 s5, -1, 0
	s_delay_alu instid0(SALU_CYCLE_1)
	s_and_b32 vcc_lo, exec_lo, s5
	s_xor_b32 s5, s5, -1
	s_cbranch_vccz .LBB25_10
; %bb.1:
	v_cndmask_b32_e64 v2, 0, 1, s5
	v_mov_b32_e32 v8, s9
	s_and_not1_b32 vcc_lo, exec_lo, s5
	s_cbranch_vccz .LBB25_11
.LBB25_2:
	s_delay_alu instid0(VALU_DEP_2)
	v_cmp_ne_u32_e32 vcc_lo, 1, v2
	v_mov_b32_e32 v1, s2
	s_cbranch_vccz .LBB25_12
.LBB25_3:
	v_cmp_ne_u32_e32 vcc_lo, 1, v2
	v_mov_b32_e32 v2, s3
	s_cbranch_vccnz .LBB25_5
.LBB25_4:
	v_dual_mov_b32 v2, s2 :: v_dual_mov_b32 v3, s3
	flat_load_b32 v2, v[2:3] offset:4
.LBB25_5:
	s_waitcnt vmcnt(0) lgkmcnt(0)
	v_cmp_eq_f32_e32 vcc_lo, 0, v7
	v_cmp_eq_f32_e64 s2, 0, v8
	s_delay_alu instid0(VALU_DEP_1)
	s_and_b32 s5, vcc_lo, s2
	s_mov_b32 s2, -1
	s_and_saveexec_b32 s3, s5
; %bb.6:
	v_and_b32_e32 v2, 0x7fffffff, v2
	v_cmp_neq_f32_e32 vcc_lo, 1.0, v1
	s_delay_alu instid0(VALU_DEP_2) | instskip(NEXT) | instid1(VALU_DEP_1)
	v_cmp_ne_u32_e64 s2, 0, v2
	s_or_b32 s2, vcc_lo, s2
	s_delay_alu instid0(SALU_CYCLE_1)
	s_or_not1_b32 s2, s2, exec_lo
; %bb.7:
	s_or_b32 exec_lo, exec_lo, s3
	s_and_saveexec_b32 s3, s2
	s_cbranch_execz .LBB25_55
; %bb.8:
	s_clause 0x1
	s_load_b32 s5, s[0:1], 0x0
	s_load_b64 s[8:9], s[0:1], 0x8
	s_mov_b32 s2, 0
	s_delay_alu instid0(SALU_CYCLE_1)
	s_mov_b32 s3, s2
	v_mov_b32_e32 v1, s2
	v_dual_mov_b32 v2, s3 :: v_dual_lshlrev_b32 v9, 3, v0
	ds_store_2addr_stride64_b64 v9, v[1:2], v[1:2] offset1:4
	ds_store_2addr_stride64_b64 v9, v[1:2], v[1:2] offset0:8 offset1:12
	s_waitcnt lgkmcnt(0)
	s_barrier
	buffer_gl0_inv
	s_bitcmp1_b32 s5, 0
	s_cselect_b32 s7, -1, 0
	s_ashr_i32 s5, s4, 31
	s_delay_alu instid0(SALU_CYCLE_1) | instskip(NEXT) | instid1(SALU_CYCLE_1)
	s_lshl_b64 s[4:5], s[4:5], 2
	s_add_u32 s4, s8, s4
	s_addc_u32 s5, s9, s5
	s_load_b64 s[16:17], s[4:5], 0x0
	s_clause 0x1
	s_load_b256 s[8:15], s[0:1], 0x18
	s_load_b64 s[18:19], s[0:1], 0x40
	s_waitcnt lgkmcnt(0)
	s_cmp_lt_i32 s16, s17
	s_cbranch_scc1 .LBB25_13
; %bb.9:
	s_ashr_i32 s1, s16, 31
	s_mov_b32 s0, s16
	s_delay_alu instid0(SALU_CYCLE_1) | instskip(NEXT) | instid1(SALU_CYCLE_1)
	s_lshl_b64 s[0:1], s[0:1], 2
	s_add_u32 s0, s8, s0
	s_addc_u32 s1, s9, s1
	s_load_b32 s24, s[0:1], 0x0
	v_subrev_nc_u32_e32 v10, s6, v0
	s_and_not1_b32 vcc_lo, exec_lo, s2
	s_cbranch_vccz .LBB25_14
	s_branch .LBB25_43
.LBB25_10:
	v_dual_mov_b32 v1, s8 :: v_dual_mov_b32 v2, s9
	flat_load_b32 v7, v[1:2]
	v_cndmask_b32_e64 v2, 0, 1, s5
	v_mov_b32_e32 v8, s9
	s_and_not1_b32 vcc_lo, exec_lo, s5
	s_cbranch_vccnz .LBB25_2
.LBB25_11:
	v_dual_mov_b32 v3, s8 :: v_dual_mov_b32 v4, s9
	flat_load_b32 v8, v[3:4] offset:4
	v_cmp_ne_u32_e32 vcc_lo, 1, v2
	v_mov_b32_e32 v1, s2
	s_cbranch_vccnz .LBB25_3
.LBB25_12:
	v_dual_mov_b32 v4, s3 :: v_dual_mov_b32 v3, s2
	flat_load_b32 v1, v[3:4]
	v_cmp_ne_u32_e32 vcc_lo, 1, v2
	v_mov_b32_e32 v2, s3
	s_cbranch_vccz .LBB25_4
	s_branch .LBB25_5
.LBB25_13:
                                        ; implicit-def: $sgpr24
	v_subrev_nc_u32_e32 v10, s6, v0
.LBB25_14:
	s_ashr_i32 s1, s16, 31
	s_mov_b32 s0, s16
	v_cmp_gt_u32_e32 vcc_lo, 0x100, v0
	s_lshl_b64 s[0:1], s[0:1], 2
	v_cmp_gt_u32_e64 s2, 4, v0
	s_add_u32 s0, s8, s0
	s_addc_u32 s1, s9, s1
	v_cmp_eq_u32_e64 s3, 0, v0
	s_waitcnt lgkmcnt(0)
	s_load_b32 s24, s[0:1], 0x0
	v_cmp_gt_u32_e64 s0, 64, v0
	v_cmp_gt_u32_e64 s1, 16, v0
	v_mov_b32_e32 v11, 0
	s_add_u32 s25, s8, 4
	s_addc_u32 s26, s9, 0
	s_add_u32 s27, s12, 4
	s_addc_u32 s28, s13, 0
	s_mov_b32 s20, s16
	s_waitcnt lgkmcnt(0)
	s_mov_b32 s29, s24
	s_branch .LBB25_16
.LBB25_15:                              ;   in Loop: Header=BB25_16 Depth=1
	s_or_b32 exec_lo, exec_lo, s5
	s_add_i32 s20, s20, 1
	s_delay_alu instid0(SALU_CYCLE_1)
	s_cmp_ge_i32 s20, s17
	s_cbranch_scc1 .LBB25_43
.LBB25_16:                              ; =>This Loop Header: Depth=1
                                        ;     Child Loop BB25_18 Depth 2
                                        ;     Child Loop BB25_32 Depth 2
	;; [unrolled: 1-line block ×5, first 2 shown]
	s_ashr_i32 s21, s20, 31
	s_mov_b32 s22, s29
	s_lshl_b64 s[4:5], s[20:21], 2
	v_dual_mov_b32 v1, 0 :: v_dual_add_nc_u32 v0, s22, v10
	s_add_u32 s4, s25, s4
	s_addc_u32 s5, s26, s5
	v_mov_b32_e32 v2, 0
	s_load_b32 s29, s[4:5], 0x0
	s_mov_b32 s22, exec_lo
	s_waitcnt lgkmcnt(0)
	s_sub_i32 s23, s29, s6
	s_delay_alu instid0(SALU_CYCLE_1)
	v_cmpx_gt_i32_e64 s23, v0
	s_cbranch_execz .LBB25_20
; %bb.17:                               ;   in Loop: Header=BB25_16 Depth=1
	v_ashrrev_i32_e32 v1, 31, v0
	v_mov_b32_e32 v2, 0
	s_mov_b32 s30, 0
	s_delay_alu instid0(VALU_DEP_2) | instskip(SKIP_1) | instid1(VALU_DEP_3)
	v_lshlrev_b64 v[3:4], 2, v[0:1]
	v_lshlrev_b64 v[5:6], 3, v[0:1]
	v_mov_b32_e32 v1, v2
	s_delay_alu instid0(VALU_DEP_3) | instskip(NEXT) | instid1(VALU_DEP_1)
	v_add_co_u32 v3, s4, s10, v3
	v_add_co_ci_u32_e64 v4, s4, s11, v4, s4
	s_delay_alu instid0(VALU_DEP_4) | instskip(NEXT) | instid1(VALU_DEP_1)
	v_add_co_u32 v5, s4, s27, v5
	v_add_co_ci_u32_e64 v6, s4, s28, v6, s4
	s_set_inst_prefetch_distance 0x1
	.p2align	6
.LBB25_18:                              ;   Parent Loop BB25_16 Depth=1
                                        ; =>  This Inner Loop Header: Depth=2
	global_load_b32 v12, v[3:4], off
	global_load_b64 v[14:15], v[5:6], off offset:-4
	v_add_nc_u32_e32 v0, 0x100, v0
	s_delay_alu instid0(VALU_DEP_1) | instskip(NEXT) | instid1(VALU_DEP_1)
	v_cmp_le_i32_e64 s5, s23, v0
	s_or_b32 s30, s5, s30
	s_waitcnt vmcnt(1)
	v_subrev_nc_u32_e32 v12, s6, v12
	s_waitcnt vmcnt(0)
	v_cndmask_b32_e64 v15, v15, -v15, s7
	s_delay_alu instid0(VALU_DEP_2) | instskip(NEXT) | instid1(VALU_DEP_1)
	v_ashrrev_i32_e32 v13, 31, v12
	v_lshlrev_b64 v[12:13], 3, v[12:13]
	s_delay_alu instid0(VALU_DEP_1) | instskip(NEXT) | instid1(VALU_DEP_1)
	v_add_co_u32 v12, s4, s14, v12
	v_add_co_ci_u32_e64 v13, s4, s15, v13, s4
	v_add_co_u32 v3, s4, 0x400, v3
	s_delay_alu instid0(VALU_DEP_1) | instskip(SKIP_2) | instid1(VALU_DEP_1)
	v_add_co_ci_u32_e64 v4, s4, 0, v4, s4
	global_load_b64 v[12:13], v[12:13], off
	v_add_co_u32 v5, s4, 0x800, v5
	v_add_co_ci_u32_e64 v6, s4, 0, v6, s4
	s_waitcnt vmcnt(0)
	v_fmac_f32_e32 v1, v14, v12
	v_fmac_f32_e32 v2, v15, v12
	s_delay_alu instid0(VALU_DEP_2) | instskip(NEXT) | instid1(VALU_DEP_2)
	v_fma_f32 v1, -v15, v13, v1
	v_fmac_f32_e32 v2, v14, v13
	s_and_not1_b32 exec_lo, exec_lo, s30
	s_cbranch_execnz .LBB25_18
; %bb.19:                               ;   in Loop: Header=BB25_16 Depth=1
	s_set_inst_prefetch_distance 0x2
	s_or_b32 exec_lo, exec_lo, s30
.LBB25_20:                              ;   in Loop: Header=BB25_16 Depth=1
	s_delay_alu instid0(SALU_CYCLE_1)
	s_or_b32 exec_lo, exec_lo, s22
	ds_store_b64 v9, v[1:2]
	s_waitcnt lgkmcnt(0)
	s_barrier
	buffer_gl0_inv
	s_and_saveexec_b32 s4, vcc_lo
	s_cbranch_execz .LBB25_22
; %bb.21:                               ;   in Loop: Header=BB25_16 Depth=1
	ds_load_2addr_stride64_b64 v[0:3], v9 offset1:4
	ds_load_2addr_stride64_b64 v[12:15], v9 offset0:8 offset1:12
	s_waitcnt lgkmcnt(0)
	v_dual_add_f32 v2, v12, v2 :: v_dual_add_f32 v3, v13, v3
	s_delay_alu instid0(VALU_DEP_1) | instskip(NEXT) | instid1(VALU_DEP_1)
	v_dual_add_f32 v2, v2, v14 :: v_dual_add_f32 v3, v3, v15
	v_dual_add_f32 v0, v2, v0 :: v_dual_add_f32 v1, v3, v1
	ds_store_b64 v9, v[0:1]
.LBB25_22:                              ;   in Loop: Header=BB25_16 Depth=1
	s_or_b32 exec_lo, exec_lo, s4
	s_waitcnt lgkmcnt(0)
	s_barrier
	buffer_gl0_inv
	s_and_saveexec_b32 s4, s0
	s_cbranch_execz .LBB25_24
; %bb.23:                               ;   in Loop: Header=BB25_16 Depth=1
	ds_load_2addr_stride64_b64 v[0:3], v9 offset1:1
	ds_load_2addr_stride64_b64 v[12:15], v9 offset0:2 offset1:3
	s_waitcnt lgkmcnt(0)
	v_dual_add_f32 v2, v12, v2 :: v_dual_add_f32 v3, v13, v3
	s_delay_alu instid0(VALU_DEP_1) | instskip(NEXT) | instid1(VALU_DEP_1)
	v_dual_add_f32 v2, v2, v14 :: v_dual_add_f32 v3, v3, v15
	v_dual_add_f32 v0, v2, v0 :: v_dual_add_f32 v1, v3, v1
	ds_store_b64 v9, v[0:1]
.LBB25_24:                              ;   in Loop: Header=BB25_16 Depth=1
	s_or_b32 exec_lo, exec_lo, s4
	s_waitcnt lgkmcnt(0)
	s_barrier
	buffer_gl0_inv
	s_and_saveexec_b32 s4, s1
	s_cbranch_execz .LBB25_26
; %bb.25:                               ;   in Loop: Header=BB25_16 Depth=1
	ds_load_2addr_b64 v[0:3], v9 offset1:16
	ds_load_2addr_b64 v[12:15], v9 offset0:32 offset1:48
	s_waitcnt lgkmcnt(0)
	v_dual_add_f32 v2, v12, v2 :: v_dual_add_f32 v3, v13, v3
	s_delay_alu instid0(VALU_DEP_1) | instskip(NEXT) | instid1(VALU_DEP_1)
	v_dual_add_f32 v2, v2, v14 :: v_dual_add_f32 v3, v3, v15
	v_dual_add_f32 v0, v2, v0 :: v_dual_add_f32 v1, v3, v1
	ds_store_b64 v9, v[0:1]
.LBB25_26:                              ;   in Loop: Header=BB25_16 Depth=1
	s_or_b32 exec_lo, exec_lo, s4
	s_waitcnt lgkmcnt(0)
	s_barrier
	buffer_gl0_inv
	s_and_saveexec_b32 s4, s2
	s_cbranch_execz .LBB25_28
; %bb.27:                               ;   in Loop: Header=BB25_16 Depth=1
	ds_load_2addr_b64 v[0:3], v9 offset1:4
	ds_load_2addr_b64 v[12:15], v9 offset0:8 offset1:12
	s_waitcnt lgkmcnt(0)
	v_dual_add_f32 v2, v12, v2 :: v_dual_add_f32 v3, v13, v3
	s_delay_alu instid0(VALU_DEP_1) | instskip(NEXT) | instid1(VALU_DEP_1)
	v_dual_add_f32 v2, v2, v14 :: v_dual_add_f32 v3, v3, v15
	v_dual_add_f32 v0, v2, v0 :: v_dual_add_f32 v1, v3, v1
	ds_store_b64 v9, v[0:1]
.LBB25_28:                              ;   in Loop: Header=BB25_16 Depth=1
	s_or_b32 exec_lo, exec_lo, s4
	s_waitcnt lgkmcnt(0)
	s_barrier
	buffer_gl0_inv
	s_and_saveexec_b32 s4, s3
	s_cbranch_execz .LBB25_30
; %bb.29:                               ;   in Loop: Header=BB25_16 Depth=1
	ds_load_b128 v[0:3], v11 offset:16
	ds_load_b64 v[4:5], v11 offset:8
	ds_load_b64 v[12:13], v9
	s_waitcnt lgkmcnt(1)
	v_dual_add_f32 v0, v0, v4 :: v_dual_add_f32 v1, v1, v5
	s_delay_alu instid0(VALU_DEP_1) | instskip(SKIP_1) | instid1(VALU_DEP_1)
	v_dual_add_f32 v0, v0, v2 :: v_dual_add_f32 v1, v1, v3
	s_waitcnt lgkmcnt(0)
	v_dual_add_f32 v0, v0, v12 :: v_dual_add_f32 v1, v1, v13
	ds_store_b64 v9, v[0:1]
.LBB25_30:                              ;   in Loop: Header=BB25_16 Depth=1
	s_or_b32 exec_lo, exec_lo, s4
	s_waitcnt lgkmcnt(0)
	s_barrier
	buffer_gl0_inv
	s_and_saveexec_b32 s5, s3
	s_cbranch_execz .LBB25_15
; %bb.31:                               ;   in Loop: Header=BB25_16 Depth=1
	ds_load_b64 v[0:1], v11
	v_bfrev_b32_e32 v4, 1
	s_mov_b32 s4, exec_lo
	s_waitcnt lgkmcnt(0)
	v_mul_f32_e64 v2, v1, -v8
	s_delay_alu instid0(VALU_DEP_1)
	v_fmac_f32_e32 v2, v7, v0
.LBB25_32:                              ;   Parent Loop BB25_16 Depth=1
                                        ; =>  This Inner Loop Header: Depth=2
	s_ctz_i32_b32 s22, s4
	s_delay_alu instid0(VALU_DEP_1) | instid1(SALU_CYCLE_1)
	v_readlane_b32 s23, v2, s22
	s_lshl_b32 s22, 1, s22
	s_delay_alu instid0(SALU_CYCLE_1) | instskip(NEXT) | instid1(SALU_CYCLE_1)
	s_and_not1_b32 s4, s4, s22
	s_cmp_lg_u32 s4, 0
	s_delay_alu instid0(VALU_DEP_1)
	v_add_f32_e32 v4, s23, v4
	s_cbranch_scc1 .LBB25_32
; %bb.33:                               ;   in Loop: Header=BB25_16 Depth=1
	v_mbcnt_lo_u32_b32 v2, exec_lo, 0
	s_lshl_b64 s[22:23], s[20:21], 3
	s_mov_b32 s21, exec_lo
	s_add_u32 s22, s18, s22
	s_addc_u32 s23, s19, s23
	v_cmpx_eq_u32_e32 0, v2
	s_xor_b32 s21, exec_lo, s21
	s_cbranch_execz .LBB25_37
; %bb.34:                               ;   in Loop: Header=BB25_16 Depth=1
	global_load_b32 v3, v11, s[22:23]
	s_mov_b32 s30, 0
.LBB25_35:                              ;   Parent Loop BB25_16 Depth=1
                                        ; =>  This Inner Loop Header: Depth=2
	s_waitcnt vmcnt(0)
	v_add_f32_e32 v2, v3, v4
	global_atomic_cmpswap_b32 v2, v11, v[2:3], s[22:23] glc
	s_waitcnt vmcnt(0)
	v_cmp_eq_u32_e64 s4, v2, v3
	v_mov_b32_e32 v3, v2
	s_delay_alu instid0(VALU_DEP_2) | instskip(NEXT) | instid1(SALU_CYCLE_1)
	s_or_b32 s30, s4, s30
	s_and_not1_b32 exec_lo, exec_lo, s30
	s_cbranch_execnz .LBB25_35
; %bb.36:                               ;   in Loop: Header=BB25_16 Depth=1
	s_or_b32 exec_lo, exec_lo, s30
.LBB25_37:                              ;   in Loop: Header=BB25_16 Depth=1
	s_delay_alu instid0(SALU_CYCLE_1) | instskip(SKIP_3) | instid1(VALU_DEP_2)
	s_or_b32 exec_lo, exec_lo, s21
	v_mul_f32_e32 v1, v1, v7
	v_bfrev_b32_e32 v2, 1
	s_mov_b32 s4, exec_lo
	v_fmac_f32_e32 v1, v8, v0
.LBB25_38:                              ;   Parent Loop BB25_16 Depth=1
                                        ; =>  This Inner Loop Header: Depth=2
	s_ctz_i32_b32 s21, s4
	s_delay_alu instid0(VALU_DEP_1) | instid1(SALU_CYCLE_1)
	v_readlane_b32 s30, v1, s21
	s_lshl_b32 s21, 1, s21
	s_delay_alu instid0(SALU_CYCLE_1) | instskip(NEXT) | instid1(SALU_CYCLE_1)
	s_and_not1_b32 s4, s4, s21
	s_cmp_lg_u32 s4, 0
	s_delay_alu instid0(VALU_DEP_1)
	v_add_f32_e32 v2, s30, v2
	s_cbranch_scc1 .LBB25_38
; %bb.39:                               ;   in Loop: Header=BB25_16 Depth=1
	v_mbcnt_lo_u32_b32 v0, exec_lo, 0
	s_mov_b32 s21, exec_lo
	s_delay_alu instid0(VALU_DEP_1)
	v_cmpx_eq_u32_e32 0, v0
	s_xor_b32 s21, exec_lo, s21
	s_cbranch_execz .LBB25_15
; %bb.40:                               ;   in Loop: Header=BB25_16 Depth=1
	global_load_b32 v1, v11, s[22:23] offset:4
	s_mov_b32 s21, 0
.LBB25_41:                              ;   Parent Loop BB25_16 Depth=1
                                        ; =>  This Inner Loop Header: Depth=2
	s_waitcnt vmcnt(0)
	v_add_f32_e32 v0, v1, v2
	global_atomic_cmpswap_b32 v0, v11, v[0:1], s[22:23] offset:4 glc
	s_waitcnt vmcnt(0)
	v_cmp_eq_u32_e64 s4, v0, v1
	v_mov_b32_e32 v1, v0
	s_delay_alu instid0(VALU_DEP_2) | instskip(NEXT) | instid1(SALU_CYCLE_1)
	s_or_b32 s21, s4, s21
	s_and_not1_b32 exec_lo, exec_lo, s21
	s_cbranch_execnz .LBB25_41
; %bb.42:                               ;   in Loop: Header=BB25_16 Depth=1
	s_or_b32 exec_lo, exec_lo, s21
	s_branch .LBB25_15
.LBB25_43:
	s_ashr_i32 s1, s17, 31
	s_mov_b32 s0, s17
	s_waitcnt lgkmcnt(0)
	v_add_nc_u32_e32 v0, s24, v10
	s_lshl_b64 s[0:1], s[0:1], 2
	s_delay_alu instid0(SALU_CYCLE_1) | instskip(SKIP_4) | instid1(SALU_CYCLE_1)
	s_add_u32 s0, s8, s0
	s_addc_u32 s1, s9, s1
	s_load_b32 s0, s[0:1], 0x0
	s_waitcnt lgkmcnt(0)
	s_sub_i32 s1, s0, s6
	v_cmp_gt_i32_e32 vcc_lo, s1, v0
	s_and_b32 exec_lo, exec_lo, vcc_lo
	s_cbranch_execz .LBB25_55
; %bb.44:
	s_add_i32 s2, s17, -1
	s_mov_b32 s4, 0
	s_cmp_gt_i32 s2, s16
	s_cselect_b32 s0, -1, 0
	s_add_i32 s3, s17, -2
	s_delay_alu instid0(SALU_CYCLE_1) | instskip(SKIP_1) | instid1(SALU_CYCLE_1)
	s_cmp_lg_u32 s3, s16
	s_cselect_b32 s3, -1, 0
	s_and_b32 s3, s0, s3
	s_branch .LBB25_46
.LBB25_45:                              ;   in Loop: Header=BB25_46 Depth=1
	s_or_b32 exec_lo, exec_lo, s0
	v_add_nc_u32_e32 v0, 0x100, v0
	s_delay_alu instid0(VALU_DEP_1) | instskip(SKIP_1) | instid1(SALU_CYCLE_1)
	v_cmp_le_i32_e32 vcc_lo, s1, v0
	s_or_b32 s4, vcc_lo, s4
	s_and_not1_b32 exec_lo, exec_lo, s4
	s_cbranch_execz .LBB25_55
.LBB25_46:                              ; =>This Loop Header: Depth=1
                                        ;     Child Loop BB25_48 Depth 2
                                        ;     Child Loop BB25_52 Depth 2
	;; [unrolled: 1-line block ×3, first 2 shown]
	v_mov_b32_e32 v4, s16
	v_mov_b32_e32 v2, s2
	s_and_not1_b32 vcc_lo, exec_lo, s3
	s_cbranch_vccnz .LBB25_50
; %bb.47:                               ;   in Loop: Header=BB25_46 Depth=1
	v_mov_b32_e32 v4, s16
	v_mov_b32_e32 v2, s2
	s_mov_b32 s5, 0
	.p2align	6
.LBB25_48:                              ;   Parent Loop BB25_46 Depth=1
                                        ; =>  This Inner Loop Header: Depth=2
	s_delay_alu instid0(VALU_DEP_1) | instskip(NEXT) | instid1(VALU_DEP_1)
	v_add_nc_u32_e32 v1, v2, v4
	v_lshrrev_b32_e32 v3, 31, v1
	s_delay_alu instid0(VALU_DEP_1) | instskip(NEXT) | instid1(VALU_DEP_1)
	v_add_nc_u32_e32 v1, v1, v3
	v_ashrrev_i32_e32 v5, 1, v1
	s_delay_alu instid0(VALU_DEP_1) | instskip(NEXT) | instid1(VALU_DEP_1)
	v_ashrrev_i32_e32 v6, 31, v5
	v_lshlrev_b64 v[9:10], 2, v[5:6]
	s_delay_alu instid0(VALU_DEP_1) | instskip(NEXT) | instid1(VALU_DEP_2)
	v_add_co_u32 v9, vcc_lo, s8, v9
	v_add_co_ci_u32_e32 v10, vcc_lo, s9, v10, vcc_lo
	global_load_b32 v1, v[9:10], off
	s_waitcnt vmcnt(0)
	v_subrev_nc_u32_e32 v1, s6, v1
	s_delay_alu instid0(VALU_DEP_1) | instskip(SKIP_1) | instid1(VALU_DEP_1)
	v_cmp_gt_i32_e32 vcc_lo, v1, v0
	v_cndmask_b32_e32 v2, v2, v5, vcc_lo
	v_dual_cndmask_b32 v4, v5, v4 :: v_dual_add_nc_u32 v1, -1, v2
	s_delay_alu instid0(VALU_DEP_1) | instskip(NEXT) | instid1(VALU_DEP_2)
	v_cmp_ge_i32_e32 vcc_lo, v4, v2
	v_cmp_eq_u32_e64 s0, v4, v1
	s_delay_alu instid0(VALU_DEP_1) | instskip(NEXT) | instid1(SALU_CYCLE_1)
	s_or_b32 s0, vcc_lo, s0
	s_and_b32 s0, exec_lo, s0
	s_delay_alu instid0(SALU_CYCLE_1) | instskip(NEXT) | instid1(SALU_CYCLE_1)
	s_or_b32 s5, s0, s5
	s_and_not1_b32 exec_lo, exec_lo, s5
	s_cbranch_execnz .LBB25_48
; %bb.49:                               ;   in Loop: Header=BB25_46 Depth=1
	s_or_b32 exec_lo, exec_lo, s5
.LBB25_50:                              ;   in Loop: Header=BB25_46 Depth=1
	s_delay_alu instid0(VALU_DEP_1) | instskip(SKIP_2) | instid1(VALU_DEP_2)
	v_ashrrev_i32_e32 v3, 31, v2
	v_ashrrev_i32_e32 v1, 31, v0
	s_mov_b32 s0, exec_lo
	v_lshlrev_b64 v[5:6], 2, v[2:3]
	s_delay_alu instid0(VALU_DEP_2) | instskip(NEXT) | instid1(VALU_DEP_2)
	v_lshlrev_b64 v[9:10], 2, v[0:1]
	v_add_co_u32 v5, vcc_lo, s8, v5
	s_delay_alu instid0(VALU_DEP_3)
	v_add_co_ci_u32_e32 v6, vcc_lo, s9, v6, vcc_lo
	global_load_b32 v3, v[5:6], off
	v_add_co_u32 v5, vcc_lo, s10, v9
	v_add_co_ci_u32_e32 v6, vcc_lo, s11, v10, vcc_lo
	global_load_b32 v5, v[5:6], off
	s_waitcnt vmcnt(1)
	v_subrev_nc_u32_e32 v3, s6, v3
	s_delay_alu instid0(VALU_DEP_1) | instskip(SKIP_3) | instid1(VALU_DEP_1)
	v_cmp_gt_i32_e32 vcc_lo, v3, v0
	v_cndmask_b32_e32 v3, v2, v4, vcc_lo
	s_waitcnt vmcnt(0)
	v_subrev_nc_u32_e32 v2, s6, v5
	v_cmpx_ne_u32_e64 v2, v3
	s_cbranch_execz .LBB25_45
; %bb.51:                               ;   in Loop: Header=BB25_46 Depth=1
	v_lshlrev_b64 v[4:5], 3, v[0:1]
	s_mov_b32 s5, 0
	s_delay_alu instid0(VALU_DEP_1) | instskip(NEXT) | instid1(VALU_DEP_2)
	v_add_co_u32 v9, vcc_lo, s12, v4
	v_add_co_ci_u32_e32 v10, vcc_lo, s13, v5, vcc_lo
	v_ashrrev_i32_e32 v4, 31, v3
	global_load_b64 v[11:12], v[9:10], off
	v_lshlrev_b64 v[4:5], 3, v[3:4]
	v_ashrrev_i32_e32 v3, 31, v2
	s_delay_alu instid0(VALU_DEP_2) | instskip(NEXT) | instid1(VALU_DEP_3)
	v_add_co_u32 v4, vcc_lo, s14, v4
	v_add_co_ci_u32_e32 v5, vcc_lo, s15, v5, vcc_lo
	s_delay_alu instid0(VALU_DEP_3)
	v_lshlrev_b64 v[1:2], 3, v[2:3]
	global_load_b64 v[3:4], v[4:5], off
	v_add_co_u32 v1, vcc_lo, s18, v1
	v_add_co_ci_u32_e32 v2, vcc_lo, s19, v2, vcc_lo
	global_load_b32 v6, v[1:2], off
	s_waitcnt vmcnt(2)
	v_cndmask_b32_e64 v5, v12, -v12, s7
	s_delay_alu instid0(VALU_DEP_1) | instskip(SKIP_1) | instid1(VALU_DEP_2)
	v_mul_f32_e32 v9, v5, v7
	v_mul_f32_e64 v10, v5, -v8
	v_fmac_f32_e32 v9, v8, v11
	s_delay_alu instid0(VALU_DEP_2) | instskip(SKIP_1) | instid1(VALU_DEP_2)
	v_fmac_f32_e32 v10, v7, v11
	s_waitcnt vmcnt(1)
	v_mul_f32_e64 v11, v4, -v9
	s_delay_alu instid0(VALU_DEP_1)
	v_fmac_f32_e32 v11, v10, v3
.LBB25_52:                              ;   Parent Loop BB25_46 Depth=1
                                        ; =>  This Inner Loop Header: Depth=2
	s_waitcnt vmcnt(0)
	s_delay_alu instid0(VALU_DEP_1)
	v_add_f32_e32 v5, v6, v11
	global_atomic_cmpswap_b32 v5, v[1:2], v[5:6], off glc
	s_waitcnt vmcnt(0)
	v_cmp_eq_u32_e32 vcc_lo, v5, v6
	v_mov_b32_e32 v6, v5
	s_or_b32 s5, vcc_lo, s5
	s_delay_alu instid0(SALU_CYCLE_1)
	s_and_not1_b32 exec_lo, exec_lo, s5
	s_cbranch_execnz .LBB25_52
; %bb.53:                               ;   in Loop: Header=BB25_46 Depth=1
	s_or_b32 exec_lo, exec_lo, s5
	global_load_b32 v5, v[1:2], off offset:4
	v_mul_f32_e32 v6, v4, v10
	s_mov_b32 s5, 0
	s_delay_alu instid0(VALU_DEP_1)
	v_fmac_f32_e32 v6, v9, v3
.LBB25_54:                              ;   Parent Loop BB25_46 Depth=1
                                        ; =>  This Inner Loop Header: Depth=2
	s_waitcnt vmcnt(0)
	s_delay_alu instid0(VALU_DEP_1)
	v_add_f32_e32 v4, v5, v6
	global_atomic_cmpswap_b32 v3, v[1:2], v[4:5], off offset:4 glc
	s_waitcnt vmcnt(0)
	v_cmp_eq_u32_e32 vcc_lo, v3, v5
	v_mov_b32_e32 v5, v3
	s_or_b32 s5, vcc_lo, s5
	s_delay_alu instid0(SALU_CYCLE_1)
	s_and_not1_b32 exec_lo, exec_lo, s5
	s_cbranch_execnz .LBB25_54
	s_branch .LBB25_45
.LBB25_55:
	s_endpgm
	.section	.rodata,"a",@progbits
	.p2align	6, 0x0
	.amdhsa_kernel _ZL33csrmvn_symm_large_adaptive_kernelIii21rocsparse_complex_numIfES1_S1_S1_EvbT_PKS2_N9rocsparse24const_host_device_scalarIT4_EES4_PKT0_PKT1_PKT2_S8_PT3_21rocsparse_index_base_b
		.amdhsa_group_segment_fixed_size 8192
		.amdhsa_private_segment_fixed_size 0
		.amdhsa_kernarg_size 80
		.amdhsa_user_sgpr_count 15
		.amdhsa_user_sgpr_dispatch_ptr 0
		.amdhsa_user_sgpr_queue_ptr 0
		.amdhsa_user_sgpr_kernarg_segment_ptr 1
		.amdhsa_user_sgpr_dispatch_id 0
		.amdhsa_user_sgpr_private_segment_size 0
		.amdhsa_wavefront_size32 1
		.amdhsa_uses_dynamic_stack 0
		.amdhsa_enable_private_segment 0
		.amdhsa_system_sgpr_workgroup_id_x 1
		.amdhsa_system_sgpr_workgroup_id_y 0
		.amdhsa_system_sgpr_workgroup_id_z 0
		.amdhsa_system_sgpr_workgroup_info 0
		.amdhsa_system_vgpr_workitem_id 0
		.amdhsa_next_free_vgpr 16
		.amdhsa_next_free_sgpr 31
		.amdhsa_reserve_vcc 1
		.amdhsa_float_round_mode_32 0
		.amdhsa_float_round_mode_16_64 0
		.amdhsa_float_denorm_mode_32 3
		.amdhsa_float_denorm_mode_16_64 3
		.amdhsa_dx10_clamp 1
		.amdhsa_ieee_mode 1
		.amdhsa_fp16_overflow 0
		.amdhsa_workgroup_processor_mode 1
		.amdhsa_memory_ordered 1
		.amdhsa_forward_progress 0
		.amdhsa_shared_vgpr_count 0
		.amdhsa_exception_fp_ieee_invalid_op 0
		.amdhsa_exception_fp_denorm_src 0
		.amdhsa_exception_fp_ieee_div_zero 0
		.amdhsa_exception_fp_ieee_overflow 0
		.amdhsa_exception_fp_ieee_underflow 0
		.amdhsa_exception_fp_ieee_inexact 0
		.amdhsa_exception_int_div_zero 0
	.end_amdhsa_kernel
	.section	.text._ZL33csrmvn_symm_large_adaptive_kernelIii21rocsparse_complex_numIfES1_S1_S1_EvbT_PKS2_N9rocsparse24const_host_device_scalarIT4_EES4_PKT0_PKT1_PKT2_S8_PT3_21rocsparse_index_base_b,"axG",@progbits,_ZL33csrmvn_symm_large_adaptive_kernelIii21rocsparse_complex_numIfES1_S1_S1_EvbT_PKS2_N9rocsparse24const_host_device_scalarIT4_EES4_PKT0_PKT1_PKT2_S8_PT3_21rocsparse_index_base_b,comdat
.Lfunc_end25:
	.size	_ZL33csrmvn_symm_large_adaptive_kernelIii21rocsparse_complex_numIfES1_S1_S1_EvbT_PKS2_N9rocsparse24const_host_device_scalarIT4_EES4_PKT0_PKT1_PKT2_S8_PT3_21rocsparse_index_base_b, .Lfunc_end25-_ZL33csrmvn_symm_large_adaptive_kernelIii21rocsparse_complex_numIfES1_S1_S1_EvbT_PKS2_N9rocsparse24const_host_device_scalarIT4_EES4_PKT0_PKT1_PKT2_S8_PT3_21rocsparse_index_base_b
                                        ; -- End function
	.section	.AMDGPU.csdata,"",@progbits
; Kernel info:
; codeLenInByte = 2504
; NumSgprs: 33
; NumVgprs: 16
; ScratchSize: 0
; MemoryBound: 0
; FloatMode: 240
; IeeeMode: 1
; LDSByteSize: 8192 bytes/workgroup (compile time only)
; SGPRBlocks: 4
; VGPRBlocks: 1
; NumSGPRsForWavesPerEU: 33
; NumVGPRsForWavesPerEU: 16
; Occupancy: 16
; WaveLimiterHint : 1
; COMPUTE_PGM_RSRC2:SCRATCH_EN: 0
; COMPUTE_PGM_RSRC2:USER_SGPR: 15
; COMPUTE_PGM_RSRC2:TRAP_HANDLER: 0
; COMPUTE_PGM_RSRC2:TGID_X_EN: 1
; COMPUTE_PGM_RSRC2:TGID_Y_EN: 0
; COMPUTE_PGM_RSRC2:TGID_Z_EN: 0
; COMPUTE_PGM_RSRC2:TIDIG_COMP_CNT: 0
	.section	.text._ZN9rocsparseL22csrmvn_adaptive_kernelIli21rocsparse_complex_numIfES2_S2_S2_EEvbT_PKS3_PjPKT0_NS_24const_host_device_scalarIT4_EES5_S9_PKT1_PKT2_SC_PT3_21rocsparse_index_base_b,"axG",@progbits,_ZN9rocsparseL22csrmvn_adaptive_kernelIli21rocsparse_complex_numIfES2_S2_S2_EEvbT_PKS3_PjPKT0_NS_24const_host_device_scalarIT4_EES5_S9_PKT1_PKT2_SC_PT3_21rocsparse_index_base_b,comdat
	.globl	_ZN9rocsparseL22csrmvn_adaptive_kernelIli21rocsparse_complex_numIfES2_S2_S2_EEvbT_PKS3_PjPKT0_NS_24const_host_device_scalarIT4_EES5_S9_PKT1_PKT2_SC_PT3_21rocsparse_index_base_b ; -- Begin function _ZN9rocsparseL22csrmvn_adaptive_kernelIli21rocsparse_complex_numIfES2_S2_S2_EEvbT_PKS3_PjPKT0_NS_24const_host_device_scalarIT4_EES5_S9_PKT1_PKT2_SC_PT3_21rocsparse_index_base_b
	.p2align	8
	.type	_ZN9rocsparseL22csrmvn_adaptive_kernelIli21rocsparse_complex_numIfES2_S2_S2_EEvbT_PKS3_PjPKT0_NS_24const_host_device_scalarIT4_EES5_S9_PKT1_PKT2_SC_PT3_21rocsparse_index_base_b,@function
_ZN9rocsparseL22csrmvn_adaptive_kernelIli21rocsparse_complex_numIfES2_S2_S2_EEvbT_PKS3_PjPKT0_NS_24const_host_device_scalarIT4_EES5_S9_PKT1_PKT2_SC_PT3_21rocsparse_index_base_b: ; @_ZN9rocsparseL22csrmvn_adaptive_kernelIli21rocsparse_complex_numIfES2_S2_S2_EEvbT_PKS3_PjPKT0_NS_24const_host_device_scalarIT4_EES5_S9_PKT1_PKT2_SC_PT3_21rocsparse_index_base_b
; %bb.0:
	s_clause 0x2
	s_load_b64 s[30:31], s[0:1], 0x60
	s_load_b64 s[4:5], s[0:1], 0x28
	s_load_b64 s[2:3], s[0:1], 0x50
	s_mov_b32 s36, s15
	s_waitcnt lgkmcnt(0)
	s_bitcmp1_b32 s31, 0
	v_mov_b32_e32 v11, s4
	s_cselect_b32 s6, -1, 0
	s_delay_alu instid0(SALU_CYCLE_1)
	s_and_b32 vcc_lo, exec_lo, s6
	s_xor_b32 s6, s6, -1
	s_cbranch_vccz .LBB26_37
; %bb.1:
	v_cndmask_b32_e64 v1, 0, 1, s6
	v_mov_b32_e32 v12, s5
	s_and_not1_b32 vcc_lo, exec_lo, s6
	s_cbranch_vccz .LBB26_38
.LBB26_2:
	s_delay_alu instid0(VALU_DEP_2)
	v_cmp_ne_u32_e32 vcc_lo, 1, v1
	v_mov_b32_e32 v9, s2
	s_cbranch_vccz .LBB26_39
.LBB26_3:
	v_cmp_ne_u32_e32 vcc_lo, 1, v1
	v_mov_b32_e32 v10, s3
	s_cbranch_vccnz .LBB26_5
.LBB26_4:
	v_dual_mov_b32 v1, s2 :: v_dual_mov_b32 v2, s3
	flat_load_b32 v10, v[1:2] offset:4
.LBB26_5:
	s_waitcnt vmcnt(0) lgkmcnt(0)
	v_cmp_eq_f32_e32 vcc_lo, 0, v11
	v_cmp_eq_f32_e64 s2, 0, v12
	s_delay_alu instid0(VALU_DEP_1)
	s_and_b32 s4, vcc_lo, s2
	s_mov_b32 s2, -1
	s_and_saveexec_b32 s3, s4
; %bb.6:
	v_cmp_neq_f32_e32 vcc_lo, 1.0, v9
	v_cmp_neq_f32_e64 s2, 0, v10
	s_delay_alu instid0(VALU_DEP_1) | instskip(NEXT) | instid1(SALU_CYCLE_1)
	s_or_b32 s2, vcc_lo, s2
	s_or_not1_b32 s2, s2, exec_lo
; %bb.7:
	s_or_b32 exec_lo, exec_lo, s3
	s_and_saveexec_b32 s3, s2
	s_cbranch_execz .LBB26_125
; %bb.8:
	s_clause 0x3
	s_load_b64 s[4:5], s[0:1], 0x20
	s_load_b32 s6, s[0:1], 0x0
	s_load_b64 s[2:3], s[0:1], 0x10
	s_load_b64 s[24:25], s[0:1], 0x58
	s_waitcnt lgkmcnt(0)
	s_bitcmp1_b32 s6, 0
	s_cselect_b32 s33, -1, 0
	s_ashr_i32 s37, s36, 31
	s_delay_alu instid0(SALU_CYCLE_1) | instskip(NEXT) | instid1(SALU_CYCLE_1)
	s_lshl_b64 s[6:7], s[36:37], 3
	s_add_u32 s2, s2, s6
	s_addc_u32 s3, s3, s7
	s_load_b128 s[20:23], s[2:3], 0x0
	s_load_b256 s[12:19], s[0:1], 0x30
	s_lshl_b64 s[38:39], s[36:37], 2
	s_mov_b32 s3, -1
	s_waitcnt lgkmcnt(0)
	s_sub_i32 s2, s22, s20
	s_add_u32 s4, s4, s38
	s_addc_u32 s5, s5, s39
	s_lshl_b64 s[34:35], s[20:21], 3
	s_delay_alu instid0(SALU_CYCLE_1)
	s_add_u32 s26, s12, s34
	s_addc_u32 s27, s13, s35
	s_load_b32 s31, s[4:5], 0x0
	s_load_b64 s[28:29], s[26:27], 0x0
	s_cmp_lt_i32 s2, 2
	s_cbranch_scc0 .LBB26_81
; %bb.9:
	s_cmp_lg_u32 s2, 1
	s_cselect_b32 s2, -1, 0
	s_waitcnt lgkmcnt(0)
	s_cmp_lg_u32 s31, 0
	s_cselect_b32 s3, -1, 0
	s_delay_alu instid0(SALU_CYCLE_1) | instskip(NEXT) | instid1(SALU_CYCLE_1)
	s_or_b32 s2, s2, s3
	s_and_b32 vcc_lo, exec_lo, s2
	s_mov_b32 s2, -1
	s_cbranch_vccnz .LBB26_41
; %bb.10:
	v_cmp_le_i64_e64 s2, s[22:23], s[20:21]
	s_delay_alu instid0(VALU_DEP_1)
	s_and_b32 vcc_lo, exec_lo, s2
	s_cbranch_vccnz .LBB26_40
; %bb.11:
	v_cmp_neq_f32_e32 vcc_lo, 0, v9
	v_cmp_neq_f32_e64 s10, 0, v10
	v_sub_co_u32 v13, s2, v0, s30
	s_delay_alu instid0(VALU_DEP_1) | instskip(NEXT) | instid1(VALU_DEP_3)
	v_sub_co_ci_u32_e64 v14, null, 0, 0, s2
	s_or_b32 s11, vcc_lo, s10
	v_dual_mov_b32 v16, 0 :: v_dual_lshlrev_b32 v15, 3, v0
	v_cmp_gt_u32_e64 s2, 0x80, v0
	v_cmp_gt_u32_e64 s3, 64, v0
	;; [unrolled: 1-line block ×7, first 2 shown]
	v_cmp_eq_u32_e64 s9, 0, v0
	s_add_u32 s37, s12, 8
	s_addc_u32 s48, s13, 0
	s_add_u32 s49, s16, 4
	s_addc_u32 s50, s17, 0
	s_mov_b64 s[42:43], s[28:29]
	s_mov_b64 s[40:41], s[20:21]
	s_branch .LBB26_14
.LBB26_12:                              ;   in Loop: Header=BB26_14 Depth=1
	s_or_b32 exec_lo, exec_lo, s46
	s_add_u32 s44, s24, s44
	s_addc_u32 s45, s25, s45
	s_waitcnt lgkmcnt(0)
	global_store_b64 v16, v[1:2], s[44:45]
.LBB26_13:                              ;   in Loop: Header=BB26_14 Depth=1
	s_or_b32 exec_lo, exec_lo, s10
	s_add_u32 s40, s40, 1
	s_addc_u32 s41, s41, 0
	s_delay_alu instid0(SALU_CYCLE_1) | instskip(NEXT) | instid1(VALU_DEP_1)
	v_cmp_ge_i64_e64 s10, s[40:41], s[22:23]
	s_and_b32 vcc_lo, exec_lo, s10
	s_cbranch_vccnz .LBB26_40
.LBB26_14:                              ; =>This Loop Header: Depth=1
                                        ;     Child Loop BB26_16 Depth 2
	s_lshl_b64 s[44:45], s[40:41], 3
	s_mov_b64 s[52:53], s[42:43]
	s_add_u32 s46, s37, s44
	s_addc_u32 s47, s48, s45
	v_add_co_u32 v1, vcc_lo, s52, v13
	s_load_b64 s[42:43], s[46:47], 0x0
	v_add_co_ci_u32_e32 v2, vcc_lo, s53, v14, vcc_lo
	v_dual_mov_b32 v4, 0 :: v_dual_mov_b32 v3, 0
	s_mov_b32 s51, exec_lo
	s_waitcnt lgkmcnt(0)
	s_sub_u32 s46, s42, s30
	s_subb_u32 s47, s43, 0
	s_delay_alu instid0(SALU_CYCLE_1)
	v_cmpx_gt_i64_e64 s[46:47], v[1:2]
	s_cbranch_execz .LBB26_18
; %bb.15:                               ;   in Loop: Header=BB26_14 Depth=1
	v_lshlrev_b64 v[5:6], 3, v[1:2]
	v_lshlrev_b64 v[7:8], 2, v[1:2]
	v_mov_b32_e32 v4, 0
	s_mov_b32 s52, 0
	s_delay_alu instid0(VALU_DEP_3) | instskip(NEXT) | instid1(VALU_DEP_4)
	v_add_co_u32 v5, vcc_lo, s49, v5
	v_add_co_ci_u32_e32 v6, vcc_lo, s50, v6, vcc_lo
	s_delay_alu instid0(VALU_DEP_4)
	v_add_co_u32 v7, vcc_lo, s14, v7
	v_add_co_ci_u32_e32 v8, vcc_lo, s15, v8, vcc_lo
	v_mov_b32_e32 v3, v4
	s_set_inst_prefetch_distance 0x1
	.p2align	6
.LBB26_16:                              ;   Parent Loop BB26_14 Depth=1
                                        ; =>  This Inner Loop Header: Depth=2
	global_load_b32 v17, v[7:8], off
	global_load_b64 v[19:20], v[5:6], off offset:-4
	s_waitcnt vmcnt(1)
	v_subrev_nc_u32_e32 v17, s30, v17
	s_waitcnt vmcnt(0)
	v_cndmask_b32_e64 v20, v20, -v20, s33
	s_delay_alu instid0(VALU_DEP_2) | instskip(NEXT) | instid1(VALU_DEP_2)
	v_ashrrev_i32_e32 v18, 31, v17
	v_mul_f32_e64 v21, v20, -v12
	s_delay_alu instid0(VALU_DEP_2) | instskip(NEXT) | instid1(VALU_DEP_1)
	v_lshlrev_b64 v[17:18], 3, v[17:18]
	v_add_co_u32 v17, vcc_lo, s18, v17
	s_delay_alu instid0(VALU_DEP_2)
	v_add_co_ci_u32_e32 v18, vcc_lo, s19, v18, vcc_lo
	v_add_co_u32 v1, vcc_lo, 0x100, v1
	v_add_co_ci_u32_e32 v2, vcc_lo, 0, v2, vcc_lo
	global_load_b64 v[17:18], v[17:18], off
	v_fmac_f32_e32 v21, v11, v19
	v_mul_f32_e32 v20, v20, v11
	v_add_co_u32 v5, vcc_lo, 0x800, v5
	v_add_co_ci_u32_e32 v6, vcc_lo, 0, v6, vcc_lo
	v_cmp_le_i64_e64 s10, s[46:47], v[1:2]
	v_add_co_u32 v7, vcc_lo, 0x400, v7
	v_add_co_ci_u32_e32 v8, vcc_lo, 0, v8, vcc_lo
	s_delay_alu instid0(VALU_DEP_3) | instskip(SKIP_2) | instid1(VALU_DEP_1)
	s_or_b32 s52, s10, s52
	s_waitcnt vmcnt(0)
	v_dual_fmac_f32 v3, v21, v17 :: v_dual_fmac_f32 v20, v12, v19
	v_fmac_f32_e32 v4, v20, v17
	s_delay_alu instid0(VALU_DEP_2) | instskip(NEXT) | instid1(VALU_DEP_2)
	v_fma_f32 v3, -v20, v18, v3
	v_fmac_f32_e32 v4, v21, v18
	s_and_not1_b32 exec_lo, exec_lo, s52
	s_cbranch_execnz .LBB26_16
; %bb.17:                               ;   in Loop: Header=BB26_14 Depth=1
	s_set_inst_prefetch_distance 0x2
	s_or_b32 exec_lo, exec_lo, s52
.LBB26_18:                              ;   in Loop: Header=BB26_14 Depth=1
	s_delay_alu instid0(SALU_CYCLE_1)
	s_or_b32 exec_lo, exec_lo, s51
	ds_store_b64 v15, v[3:4]
	s_waitcnt lgkmcnt(0)
	s_waitcnt_vscnt null, 0x0
	s_barrier
	buffer_gl0_inv
	s_and_saveexec_b32 s10, s2
	s_cbranch_execz .LBB26_20
; %bb.19:                               ;   in Loop: Header=BB26_14 Depth=1
	ds_load_2addr_stride64_b64 v[1:4], v15 offset1:2
	s_waitcnt lgkmcnt(0)
	v_dual_add_f32 v1, v3, v1 :: v_dual_add_f32 v2, v4, v2
	ds_store_b64 v15, v[1:2]
.LBB26_20:                              ;   in Loop: Header=BB26_14 Depth=1
	s_or_b32 exec_lo, exec_lo, s10
	s_waitcnt lgkmcnt(0)
	s_barrier
	buffer_gl0_inv
	s_and_saveexec_b32 s10, s3
	s_cbranch_execz .LBB26_22
; %bb.21:                               ;   in Loop: Header=BB26_14 Depth=1
	ds_load_2addr_stride64_b64 v[1:4], v15 offset1:1
	s_waitcnt lgkmcnt(0)
	v_dual_add_f32 v1, v3, v1 :: v_dual_add_f32 v2, v4, v2
	ds_store_b64 v15, v[1:2]
.LBB26_22:                              ;   in Loop: Header=BB26_14 Depth=1
	s_or_b32 exec_lo, exec_lo, s10
	s_waitcnt lgkmcnt(0)
	s_barrier
	buffer_gl0_inv
	s_and_saveexec_b32 s10, s4
	s_cbranch_execz .LBB26_24
; %bb.23:                               ;   in Loop: Header=BB26_14 Depth=1
	ds_load_2addr_b64 v[1:4], v15 offset1:32
	s_waitcnt lgkmcnt(0)
	v_dual_add_f32 v1, v3, v1 :: v_dual_add_f32 v2, v4, v2
	ds_store_b64 v15, v[1:2]
.LBB26_24:                              ;   in Loop: Header=BB26_14 Depth=1
	s_or_b32 exec_lo, exec_lo, s10
	s_waitcnt lgkmcnt(0)
	s_barrier
	buffer_gl0_inv
	s_and_saveexec_b32 s10, s5
	s_cbranch_execz .LBB26_26
; %bb.25:                               ;   in Loop: Header=BB26_14 Depth=1
	ds_load_2addr_b64 v[1:4], v15 offset1:16
	s_waitcnt lgkmcnt(0)
	v_dual_add_f32 v1, v3, v1 :: v_dual_add_f32 v2, v4, v2
	ds_store_b64 v15, v[1:2]
.LBB26_26:                              ;   in Loop: Header=BB26_14 Depth=1
	;; [unrolled: 12-line block ×6, first 2 shown]
	s_or_b32 exec_lo, exec_lo, s10
	s_waitcnt lgkmcnt(0)
	s_barrier
	buffer_gl0_inv
	s_and_saveexec_b32 s10, s9
	s_cbranch_execz .LBB26_13
; %bb.35:                               ;   in Loop: Header=BB26_14 Depth=1
	ds_load_b64 v[1:2], v16
	s_and_saveexec_b32 s46, s11
	s_cbranch_execz .LBB26_12
; %bb.36:                               ;   in Loop: Header=BB26_14 Depth=1
	s_add_u32 s52, s24, s44
	s_addc_u32 s53, s25, s45
	global_load_b64 v[3:4], v16, s[52:53]
	s_waitcnt vmcnt(0) lgkmcnt(0)
	v_fma_f32 v1, v9, v3, v1
	v_fmac_f32_e32 v2, v10, v3
	s_delay_alu instid0(VALU_DEP_2) | instskip(NEXT) | instid1(VALU_DEP_2)
	v_fma_f32 v1, -v10, v4, v1
	v_fmac_f32_e32 v2, v9, v4
	s_branch .LBB26_12
.LBB26_37:
	v_dual_mov_b32 v1, s4 :: v_dual_mov_b32 v2, s5
	flat_load_b32 v11, v[1:2]
	v_cndmask_b32_e64 v1, 0, 1, s6
	v_mov_b32_e32 v12, s5
	s_and_not1_b32 vcc_lo, exec_lo, s6
	s_cbranch_vccnz .LBB26_2
.LBB26_38:
	v_dual_mov_b32 v2, s4 :: v_dual_mov_b32 v3, s5
	flat_load_b32 v12, v[2:3] offset:4
	v_cmp_ne_u32_e32 vcc_lo, 1, v1
	v_mov_b32_e32 v9, s2
	s_cbranch_vccnz .LBB26_3
.LBB26_39:
	v_dual_mov_b32 v2, s2 :: v_dual_mov_b32 v3, s3
	flat_load_b32 v9, v[2:3]
	v_cmp_ne_u32_e32 vcc_lo, 1, v1
	v_mov_b32_e32 v10, s3
	s_cbranch_vccz .LBB26_4
	s_branch .LBB26_5
.LBB26_40:
	s_mov_b32 s2, 0
.LBB26_41:
	s_delay_alu instid0(SALU_CYCLE_1)
	s_and_not1_b32 vcc_lo, exec_lo, s2
	s_cbranch_vccnz .LBB26_80
; %bb.42:
	s_load_b64 s[6:7], s[0:1], 0x18
	s_sub_i32 s8, s36, s31
	v_or_b32_e32 v1, s31, v0
	v_mov_b32_e32 v2, 0
	s_delay_alu instid0(VALU_DEP_2)
	v_cmp_eq_u32_e32 vcc_lo, 0, v1
	v_mov_b32_e32 v1, 0
	s_waitcnt lgkmcnt(0)
	s_add_u32 s4, s6, s38
	s_addc_u32 s5, s7, s39
	s_load_b32 s36, s[4:5], 0x0
	s_and_saveexec_b32 s2, vcc_lo
	s_cbranch_execz .LBB26_46
; %bb.43:
	v_dual_mov_b32 v5, 0 :: v_dual_add_f32 v6, -1.0, v9
	s_add_u32 s10, s24, s34
	s_addc_u32 s11, s25, s35
	s_mov_b32 s3, exec_lo
	global_load_b64 v[3:4], v5, s[10:11]
	v_mbcnt_lo_u32_b32 v7, s3, 0
	s_mov_b32 s10, exec_lo
	s_waitcnt vmcnt(0) expcnt(0) lgkmcnt(0)
	s_waitcnt_vscnt null, 0x0
	v_mul_f32_e64 v1, v4, -v10
	v_mul_f32_e32 v2, v6, v4
	v_cmpx_eq_u32_e32 0, v7
	s_cbranch_execz .LBB26_45
; %bb.44:
	s_ashr_i32 s9, s8, 31
	s_delay_alu instid0(SALU_CYCLE_1) | instskip(NEXT) | instid1(SALU_CYCLE_1)
	s_lshl_b64 s[38:39], s[8:9], 2
	s_add_u32 s38, s6, s38
	s_addc_u32 s39, s7, s39
	s_bcnt1_i32_b32 s3, s3
	s_delay_alu instid0(SALU_CYCLE_1) | instskip(NEXT) | instid1(SALU_CYCLE_1)
	s_and_b32 s3, s3, 1
	v_mov_b32_e32 v4, s3
	global_atomic_xor_b32 v5, v4, s[38:39]
.LBB26_45:
	s_or_b32 exec_lo, exec_lo, s10
	v_fmac_f32_e32 v1, v6, v3
	v_fmac_f32_e32 v2, v10, v3
.LBB26_46:
	s_or_b32 exec_lo, exec_lo, s2
	s_load_b64 s[2:3], s[26:27], 0x8
	s_mul_i32 s10, s31, 0xc00
	s_sub_u32 s11, s28, s30
	s_subb_u32 s37, s29, 0
	s_mul_hi_i32 s9, s31, 0xc00
	s_add_u32 s11, s11, s10
	s_addc_u32 s10, s37, s9
	v_add_co_u32 v3, s9, s11, v0
	s_delay_alu instid0(VALU_DEP_1) | instskip(SKIP_4) | instid1(SALU_CYCLE_1)
	v_add_co_ci_u32_e64 v4, null, s10, 0, s9
	s_mov_b32 s9, exec_lo
	s_waitcnt lgkmcnt(0)
	s_sub_u32 s2, s2, s30
	s_subb_u32 s3, s3, 0
	v_cmpx_gt_i64_e64 s[2:3], v[3:4]
	s_cbranch_execz .LBB26_50
; %bb.47:
	v_lshlrev_b64 v[5:6], 3, v[3:4]
	v_lshlrev_b64 v[7:8], 2, v[3:4]
	s_add_u32 s38, s11, 0xc00
	s_addc_u32 s39, s10, 0
	s_delay_alu instid0(SALU_CYCLE_1) | instskip(NEXT) | instid1(VALU_DEP_3)
	v_cmp_lt_i64_e64 s10, s[38:39], s[2:3]
	v_add_co_u32 v5, vcc_lo, v5, s16
	v_add_co_ci_u32_e32 v6, vcc_lo, s17, v6, vcc_lo
	s_delay_alu instid0(VALU_DEP_3) | instskip(NEXT) | instid1(VALU_DEP_2)
	s_and_b32 s10, s10, exec_lo
	v_add_co_u32 v5, vcc_lo, v5, 4
	s_delay_alu instid0(VALU_DEP_2)
	v_add_co_ci_u32_e32 v6, vcc_lo, 0, v6, vcc_lo
	v_add_co_u32 v7, vcc_lo, s14, v7
	v_add_co_ci_u32_e32 v8, vcc_lo, s15, v8, vcc_lo
	s_cselect_b32 s11, s39, s3
	s_cselect_b32 s10, s38, s2
	s_mov_b32 s3, 0
	s_set_inst_prefetch_distance 0x1
	.p2align	6
.LBB26_48:                              ; =>This Inner Loop Header: Depth=1
	global_load_b32 v13, v[7:8], off
	global_load_b64 v[15:16], v[5:6], off offset:-4
	s_waitcnt vmcnt(1)
	v_subrev_nc_u32_e32 v13, s30, v13
	s_waitcnt vmcnt(0)
	v_cndmask_b32_e64 v16, v16, -v16, s33
	s_delay_alu instid0(VALU_DEP_2) | instskip(NEXT) | instid1(VALU_DEP_2)
	v_ashrrev_i32_e32 v14, 31, v13
	v_mul_f32_e64 v17, v16, -v12
	s_delay_alu instid0(VALU_DEP_2) | instskip(NEXT) | instid1(VALU_DEP_1)
	v_lshlrev_b64 v[13:14], 3, v[13:14]
	v_add_co_u32 v13, vcc_lo, s18, v13
	s_delay_alu instid0(VALU_DEP_2)
	v_add_co_ci_u32_e32 v14, vcc_lo, s19, v14, vcc_lo
	v_add_co_u32 v3, vcc_lo, 0x100, v3
	v_add_co_ci_u32_e32 v4, vcc_lo, 0, v4, vcc_lo
	global_load_b64 v[13:14], v[13:14], off
	v_fmac_f32_e32 v17, v11, v15
	v_mul_f32_e32 v16, v16, v11
	v_add_co_u32 v5, vcc_lo, 0x800, v5
	v_add_co_ci_u32_e32 v6, vcc_lo, 0, v6, vcc_lo
	v_cmp_le_i64_e64 s2, s[10:11], v[3:4]
	v_add_co_u32 v7, vcc_lo, 0x400, v7
	v_add_co_ci_u32_e32 v8, vcc_lo, 0, v8, vcc_lo
	s_delay_alu instid0(VALU_DEP_3) | instskip(SKIP_2) | instid1(VALU_DEP_1)
	s_or_b32 s3, s2, s3
	s_waitcnt vmcnt(0)
	v_dual_fmac_f32 v1, v17, v13 :: v_dual_fmac_f32 v16, v12, v15
	v_fmac_f32_e32 v2, v16, v13
	s_delay_alu instid0(VALU_DEP_2) | instskip(NEXT) | instid1(VALU_DEP_2)
	v_fma_f32 v1, -v16, v14, v1
	v_fmac_f32_e32 v2, v17, v14
	s_and_not1_b32 exec_lo, exec_lo, s3
	s_cbranch_execnz .LBB26_48
; %bb.49:
	s_set_inst_prefetch_distance 0x2
	s_or_b32 exec_lo, exec_lo, s3
.LBB26_50:
	s_delay_alu instid0(SALU_CYCLE_1)
	s_or_b32 exec_lo, exec_lo, s9
	v_lshlrev_b32_e32 v3, 3, v0
	s_mov_b32 s2, exec_lo
	ds_store_b64 v3, v[1:2]
	s_waitcnt lgkmcnt(0)
	s_waitcnt_vscnt null, 0x0
	s_barrier
	buffer_gl0_inv
	v_cmpx_gt_u32_e32 0x80, v0
	s_cbranch_execz .LBB26_52
; %bb.51:
	ds_load_2addr_stride64_b64 v[4:7], v3 offset1:2
	s_waitcnt lgkmcnt(0)
	v_dual_add_f32 v1, v6, v4 :: v_dual_add_f32 v2, v7, v5
	ds_store_b64 v3, v[1:2]
.LBB26_52:
	s_or_b32 exec_lo, exec_lo, s2
	s_delay_alu instid0(SALU_CYCLE_1)
	s_mov_b32 s2, exec_lo
	s_waitcnt lgkmcnt(0)
	s_barrier
	buffer_gl0_inv
	v_cmpx_gt_u32_e32 64, v0
	s_cbranch_execz .LBB26_54
; %bb.53:
	ds_load_2addr_stride64_b64 v[4:7], v3 offset1:1
	s_waitcnt lgkmcnt(0)
	v_dual_add_f32 v1, v6, v4 :: v_dual_add_f32 v2, v7, v5
	ds_store_b64 v3, v[1:2]
.LBB26_54:
	s_or_b32 exec_lo, exec_lo, s2
	s_delay_alu instid0(SALU_CYCLE_1)
	s_mov_b32 s2, exec_lo
	s_waitcnt lgkmcnt(0)
	s_barrier
	buffer_gl0_inv
	v_cmpx_gt_u32_e32 32, v0
	s_cbranch_execz .LBB26_56
; %bb.55:
	ds_load_2addr_b64 v[4:7], v3 offset1:32
	s_waitcnt lgkmcnt(0)
	v_dual_add_f32 v1, v6, v4 :: v_dual_add_f32 v2, v7, v5
	ds_store_b64 v3, v[1:2]
.LBB26_56:
	s_or_b32 exec_lo, exec_lo, s2
	s_delay_alu instid0(SALU_CYCLE_1)
	s_mov_b32 s2, exec_lo
	s_waitcnt lgkmcnt(0)
	s_barrier
	buffer_gl0_inv
	v_cmpx_gt_u32_e32 16, v0
	s_cbranch_execz .LBB26_58
; %bb.57:
	ds_load_2addr_b64 v[4:7], v3 offset1:16
	s_waitcnt lgkmcnt(0)
	v_dual_add_f32 v1, v6, v4 :: v_dual_add_f32 v2, v7, v5
	ds_store_b64 v3, v[1:2]
.LBB26_58:
	;; [unrolled: 14-line block ×5, first 2 shown]
	s_or_b32 exec_lo, exec_lo, s2
	v_cmp_eq_u32_e32 vcc_lo, 0, v0
	s_waitcnt lgkmcnt(0)
	s_barrier
	buffer_gl0_inv
	s_and_saveexec_b32 s2, vcc_lo
	s_cbranch_execz .LBB26_66
; %bb.65:
	v_mov_b32_e32 v5, 0
	ds_load_2addr_b64 v[1:4], v5 offset1:1
	s_waitcnt lgkmcnt(0)
	v_dual_add_f32 v2, v4, v2 :: v_dual_add_f32 v1, v3, v1
	ds_store_b64 v5, v[1:2]
.LBB26_66:
	s_or_b32 exec_lo, exec_lo, s2
	s_waitcnt lgkmcnt(0)
	s_barrier
	buffer_gl0_inv
	s_and_saveexec_b32 s10, vcc_lo
	s_cbranch_execz .LBB26_79
; %bb.67:
	s_cmp_eq_u32 s31, 0
	s_cbranch_scc1 .LBB26_73
; %bb.68:
	s_ashr_i32 s9, s8, 31
	v_mov_b32_e32 v1, 0
	s_lshl_b64 s[2:3], s[8:9], 2
	s_delay_alu instid0(SALU_CYCLE_1)
	s_add_u32 s2, s6, s2
	s_addc_u32 s3, s7, s3
	s_branch .LBB26_70
.LBB26_69:                              ;   in Loop: Header=BB26_70 Depth=1
	s_or_b32 exec_lo, exec_lo, s6
	s_waitcnt vmcnt(0)
	v_readfirstlane_b32 s6, v2
	s_delay_alu instid0(VALU_DEP_1)
	s_cmp_eq_u32 s6, s36
	s_cbranch_scc0 .LBB26_72
.LBB26_70:                              ; =>This Inner Loop Header: Depth=1
	v_mbcnt_lo_u32_b32 v2, exec_lo, 0
	s_delay_alu instid0(VALU_DEP_1)
	v_cmp_eq_u32_e32 vcc_lo, 0, v2
                                        ; implicit-def: $vgpr2
	s_and_saveexec_b32 s6, vcc_lo
	s_cbranch_execz .LBB26_69
; %bb.71:                               ;   in Loop: Header=BB26_70 Depth=1
	global_load_b32 v2, v1, s[2:3] glc
	s_branch .LBB26_69
.LBB26_72:
	v_mov_b32_e32 v1, 0
	global_load_b32 v2, v1, s[4:5]
	s_waitcnt vmcnt(0)
	v_xor_b32_e32 v2, 1, v2
	global_store_b32 v1, v2, s[4:5]
.LBB26_73:
	v_mov_b32_e32 v5, 0
	s_mov_b32 s5, exec_lo
	s_add_u32 s2, s24, s34
	v_mbcnt_lo_u32_b32 v3, s5, 0
	s_addc_u32 s3, s25, s35
	ds_load_b64 v[1:2], v5
	s_mov_b32 s4, exec_lo
	v_cmpx_eq_u32_e32 0, v3
	s_cbranch_execz .LBB26_76
; %bb.74:
	global_load_b32 v4, v5, s[2:3]
	s_bcnt1_i32_b32 s5, s5
	s_delay_alu instid0(SALU_CYCLE_1) | instskip(SKIP_2) | instid1(VALU_DEP_1)
	v_cvt_f32_ubyte0_e32 v3, s5
	s_mov_b32 s5, 0
	s_waitcnt lgkmcnt(0)
	v_mul_f32_e32 v1, v1, v3
.LBB26_75:                              ; =>This Inner Loop Header: Depth=1
	s_waitcnt vmcnt(0)
	s_delay_alu instid0(VALU_DEP_1)
	v_add_f32_e32 v3, v4, v1
	global_atomic_cmpswap_b32 v3, v5, v[3:4], s[2:3] glc
	s_waitcnt vmcnt(0)
	v_cmp_eq_u32_e32 vcc_lo, v3, v4
	v_mov_b32_e32 v4, v3
	s_or_b32 s5, vcc_lo, s5
	s_delay_alu instid0(SALU_CYCLE_1)
	s_and_not1_b32 exec_lo, exec_lo, s5
	s_cbranch_execnz .LBB26_75
.LBB26_76:
	s_or_b32 exec_lo, exec_lo, s4
	s_delay_alu instid0(SALU_CYCLE_1) | instskip(SKIP_3) | instid1(VALU_DEP_1)
	s_mov_b32 s5, exec_lo
	s_mov_b32 s4, 0
	s_waitcnt lgkmcnt(0)
	v_mbcnt_lo_u32_b32 v1, s5, 0
	v_cmp_eq_u32_e32 vcc_lo, 0, v1
	s_and_b32 s6, exec_lo, vcc_lo
	s_delay_alu instid0(SALU_CYCLE_1)
	s_mov_b32 exec_lo, s6
	s_cbranch_execz .LBB26_79
; %bb.77:
	s_bcnt1_i32_b32 s5, s5
	s_delay_alu instid0(SALU_CYCLE_1) | instskip(NEXT) | instid1(VALU_DEP_1)
	v_cvt_f32_ubyte0_e32 v4, s5
	v_dual_mov_b32 v1, 0 :: v_dual_mul_f32 v4, v2, v4
	global_load_b32 v3, v1, s[2:3] offset:4
.LBB26_78:                              ; =>This Inner Loop Header: Depth=1
	s_waitcnt vmcnt(0)
	v_add_f32_e32 v2, v3, v4
	global_atomic_cmpswap_b32 v2, v1, v[2:3], s[2:3] offset:4 glc
	s_waitcnt vmcnt(0)
	v_cmp_eq_u32_e32 vcc_lo, v2, v3
	v_mov_b32_e32 v3, v2
	s_or_b32 s4, vcc_lo, s4
	s_delay_alu instid0(SALU_CYCLE_1)
	s_and_not1_b32 exec_lo, exec_lo, s4
	s_cbranch_execnz .LBB26_78
.LBB26_79:
	s_or_b32 exec_lo, exec_lo, s10
.LBB26_80:
	s_mov_b32 s3, 0
.LBB26_81:
	s_delay_alu instid0(SALU_CYCLE_1)
	s_and_not1_b32 vcc_lo, exec_lo, s3
	s_cbranch_vccnz .LBB26_125
; %bb.82:
	s_load_b64 s[0:1], s[0:1], 0x8
	v_sub_co_u32 v1, s2, v0, s30
	s_delay_alu instid0(VALU_DEP_1) | instskip(SKIP_1) | instid1(VALU_DEP_2)
	v_sub_co_ci_u32_e64 v2, null, 0, 0, s2
	s_waitcnt lgkmcnt(0)
	v_add_co_u32 v1, vcc_lo, s28, v1
	s_delay_alu instid0(VALU_DEP_2) | instskip(NEXT) | instid1(VALU_DEP_2)
	v_add_co_ci_u32_e32 v2, vcc_lo, s29, v2, vcc_lo
	v_add_co_u32 v3, vcc_lo, 0x300, v1
	s_delay_alu instid0(VALU_DEP_2) | instskip(NEXT) | instid1(VALU_DEP_1)
	v_add_co_ci_u32_e32 v4, vcc_lo, 0, v2, vcc_lo
	v_cmp_le_i64_e32 vcc_lo, s[0:1], v[3:4]
	s_and_saveexec_b32 s0, vcc_lo
	s_delay_alu instid0(SALU_CYCLE_1)
	s_xor_b32 s1, exec_lo, s0
	s_cbranch_execz .LBB26_87
; %bb.83:
	s_lshl_b64 s[2:3], s[22:23], 3
	s_mov_b32 s4, exec_lo
	s_add_u32 s2, s12, s2
	s_addc_u32 s3, s13, s3
	s_load_b64 s[2:3], s[2:3], 0x0
	s_waitcnt lgkmcnt(0)
	s_sub_u32 s2, s2, s30
	s_subb_u32 s3, s3, 0
	s_delay_alu instid0(SALU_CYCLE_1)
	v_cmpx_gt_i64_e64 s[2:3], v[1:2]
	s_cbranch_execz .LBB26_86
; %bb.84:
	v_lshlrev_b64 v[3:4], 3, v[1:2]
	v_lshlrev_b64 v[5:6], 2, v[1:2]
	v_lshlrev_b32_e32 v7, 3, v0
	s_mov_b32 s5, 0
	s_delay_alu instid0(VALU_DEP_3) | instskip(NEXT) | instid1(VALU_DEP_4)
	v_add_co_u32 v3, vcc_lo, v3, s16
	v_add_co_ci_u32_e32 v4, vcc_lo, s17, v4, vcc_lo
	s_delay_alu instid0(VALU_DEP_2) | instskip(NEXT) | instid1(VALU_DEP_2)
	v_add_co_u32 v3, vcc_lo, v3, 4
	v_add_co_ci_u32_e32 v4, vcc_lo, 0, v4, vcc_lo
	v_add_co_u32 v5, vcc_lo, s14, v5
	v_add_co_ci_u32_e32 v6, vcc_lo, s15, v6, vcc_lo
	s_set_inst_prefetch_distance 0x1
	.p2align	6
.LBB26_85:                              ; =>This Inner Loop Header: Depth=1
	global_load_b32 v8, v[5:6], off
	global_load_b64 v[13:14], v[3:4], off offset:-4
	s_waitcnt vmcnt(1)
	v_subrev_nc_u32_e32 v15, s30, v8
	s_waitcnt vmcnt(0)
	v_cndmask_b32_e64 v8, v14, -v14, s33
	s_delay_alu instid0(VALU_DEP_2) | instskip(NEXT) | instid1(VALU_DEP_2)
	v_ashrrev_i32_e32 v16, 31, v15
	v_mul_f32_e32 v17, v8, v11
	v_mul_f32_e64 v8, v8, -v12
	s_delay_alu instid0(VALU_DEP_3) | instskip(NEXT) | instid1(VALU_DEP_2)
	v_lshlrev_b64 v[15:16], 3, v[15:16]
	v_fmac_f32_e32 v8, v11, v13
	s_delay_alu instid0(VALU_DEP_4) | instskip(NEXT) | instid1(VALU_DEP_3)
	v_fmac_f32_e32 v17, v12, v13
	v_add_co_u32 v15, vcc_lo, s18, v15
	s_delay_alu instid0(VALU_DEP_4)
	v_add_co_ci_u32_e32 v16, vcc_lo, s19, v16, vcc_lo
	v_add_co_u32 v1, vcc_lo, 0x100, v1
	v_add_co_ci_u32_e32 v2, vcc_lo, 0, v2, vcc_lo
	global_load_b64 v[15:16], v[15:16], off
	v_add_co_u32 v3, vcc_lo, 0x800, v3
	v_add_co_ci_u32_e32 v4, vcc_lo, 0, v4, vcc_lo
	v_cmp_le_i64_e64 s0, s[2:3], v[1:2]
	v_add_co_u32 v5, vcc_lo, 0x400, v5
	v_add_co_ci_u32_e32 v6, vcc_lo, 0, v6, vcc_lo
	s_delay_alu instid0(VALU_DEP_3) | instskip(SKIP_3) | instid1(VALU_DEP_2)
	s_or_b32 s5, s0, s5
	s_waitcnt vmcnt(0)
	v_mul_f32_e64 v13, v16, -v17
	v_mul_f32_e32 v14, v16, v8
	v_fmac_f32_e32 v13, v8, v15
	s_delay_alu instid0(VALU_DEP_2)
	v_fmac_f32_e32 v14, v17, v15
	ds_store_b64 v7, v[13:14]
	v_add_nc_u32_e32 v7, 0x800, v7
	s_and_not1_b32 exec_lo, exec_lo, s5
	s_cbranch_execnz .LBB26_85
.LBB26_86:
	s_set_inst_prefetch_distance 0x2
	s_or_b32 exec_lo, exec_lo, s4
                                        ; implicit-def: $vgpr1_vgpr2
                                        ; implicit-def: $vgpr12
                                        ; implicit-def: $vgpr11
.LBB26_87:
	s_or_saveexec_b32 s0, s1
	v_lshlrev_b32_e32 v13, 3, v0
	s_xor_b32 exec_lo, exec_lo, s0
	s_cbranch_execz .LBB26_89
; %bb.88:
	v_lshlrev_b64 v[3:4], 2, v[1:2]
	v_lshlrev_b64 v[1:2], 3, v[1:2]
	s_delay_alu instid0(VALU_DEP_2) | instskip(NEXT) | instid1(VALU_DEP_3)
	v_add_co_u32 v3, vcc_lo, s14, v3
	v_add_co_ci_u32_e32 v4, vcc_lo, s15, v4, vcc_lo
	s_delay_alu instid0(VALU_DEP_3) | instskip(NEXT) | instid1(VALU_DEP_4)
	v_add_co_u32 v1, vcc_lo, s16, v1
	v_add_co_ci_u32_e32 v2, vcc_lo, s17, v2, vcc_lo
	s_clause 0x3
	global_load_b32 v5, v[3:4], off
	global_load_b32 v14, v[3:4], off offset:1024
	global_load_b32 v15, v[3:4], off offset:2048
	global_load_b32 v4, v[3:4], off offset:3072
	s_waitcnt vmcnt(3)
	v_subrev_nc_u32_e32 v3, s30, v5
	s_waitcnt vmcnt(2)
	v_subrev_nc_u32_e32 v14, s30, v14
	s_waitcnt vmcnt(1)
	v_subrev_nc_u32_e32 v16, s30, v15
	s_waitcnt vmcnt(0)
	v_subrev_nc_u32_e32 v18, s30, v4
	s_clause 0x1
	global_load_b64 v[5:6], v[1:2], off
	global_load_b64 v[7:8], v[1:2], off offset:2048
	v_ashrrev_i32_e32 v4, 31, v3
	v_add_co_u32 v1, vcc_lo, 0x1000, v1
	v_ashrrev_i32_e32 v15, 31, v14
	v_add_co_ci_u32_e32 v2, vcc_lo, 0, v2, vcc_lo
	s_delay_alu instid0(VALU_DEP_4) | instskip(SKIP_1) | instid1(VALU_DEP_4)
	v_lshlrev_b64 v[3:4], 3, v[3:4]
	v_ashrrev_i32_e32 v17, 31, v16
	v_lshlrev_b64 v[14:15], 3, v[14:15]
	v_ashrrev_i32_e32 v19, 31, v18
	s_clause 0x1
	global_load_b64 v[20:21], v[1:2], off
	global_load_b64 v[1:2], v[1:2], off offset:2048
	v_lshlrev_b64 v[16:17], 3, v[16:17]
	v_add_co_u32 v3, vcc_lo, s18, v3
	v_add_co_ci_u32_e32 v4, vcc_lo, s19, v4, vcc_lo
	v_lshlrev_b64 v[18:19], 3, v[18:19]
	v_add_co_u32 v14, vcc_lo, s18, v14
	v_add_co_ci_u32_e32 v15, vcc_lo, s19, v15, vcc_lo
	v_add_co_u32 v16, vcc_lo, s18, v16
	v_add_co_ci_u32_e32 v17, vcc_lo, s19, v17, vcc_lo
	global_load_b64 v[3:4], v[3:4], off
	v_add_co_u32 v18, vcc_lo, s18, v18
	v_add_co_ci_u32_e32 v19, vcc_lo, s19, v19, vcc_lo
	s_clause 0x2
	global_load_b64 v[14:15], v[14:15], off
	global_load_b64 v[16:17], v[16:17], off
	;; [unrolled: 1-line block ×3, first 2 shown]
	s_waitcnt vmcnt(7)
	v_cndmask_b32_e64 v6, v6, -v6, s33
	s_waitcnt vmcnt(6)
	v_cndmask_b32_e64 v8, v8, -v8, s33
	s_delay_alu instid0(VALU_DEP_2) | instskip(SKIP_1) | instid1(VALU_DEP_3)
	v_mul_f32_e64 v22, v6, -v12
	v_mul_f32_e32 v23, v6, v11
	v_mul_f32_e64 v24, v8, -v12
	s_delay_alu instid0(VALU_DEP_3)
	v_fmac_f32_e32 v22, v11, v5
	s_waitcnt vmcnt(5)
	v_cndmask_b32_e64 v6, v21, -v21, s33
	s_waitcnt vmcnt(4)
	v_cndmask_b32_e64 v2, v2, -v2, s33
	v_dual_fmac_f32 v23, v12, v5 :: v_dual_fmac_f32 v24, v11, v7
	s_delay_alu instid0(VALU_DEP_3) | instskip(SKIP_1) | instid1(VALU_DEP_4)
	v_mul_f32_e64 v21, v6, -v12
	v_mul_f32_e32 v8, v8, v11
	v_mul_f32_e64 v26, v2, -v12
	v_mul_f32_e32 v25, v6, v11
	v_mul_f32_e32 v27, v2, v11
	s_delay_alu instid0(VALU_DEP_4) | instskip(NEXT) | instid1(VALU_DEP_3)
	v_dual_fmac_f32 v21, v11, v20 :: v_dual_fmac_f32 v8, v12, v7
	v_dual_fmac_f32 v26, v11, v1 :: v_dual_fmac_f32 v25, v12, v20
	s_waitcnt vmcnt(3)
	v_mul_f32_e32 v2, v4, v22
	v_fmac_f32_e32 v27, v12, v1
	v_mul_f32_e64 v1, v4, -v23
	s_waitcnt vmcnt(2)
	v_mul_f32_e32 v5, v15, v24
	v_fmac_f32_e32 v2, v23, v3
	v_mul_f32_e64 v4, v15, -v8
	s_waitcnt vmcnt(1)
	v_mul_f32_e32 v7, v17, v21
	s_waitcnt vmcnt(0)
	v_mul_f32_e64 v11, v19, -v27
	v_mul_f32_e32 v12, v19, v26
	v_mul_f32_e64 v6, v17, -v25
	v_dual_fmac_f32 v4, v24, v14 :: v_dual_fmac_f32 v1, v22, v3
	v_fmac_f32_e32 v5, v8, v14
	s_delay_alu instid0(VALU_DEP_4) | instskip(NEXT) | instid1(VALU_DEP_4)
	v_dual_fmac_f32 v7, v25, v16 :: v_dual_fmac_f32 v12, v27, v18
	v_dual_fmac_f32 v6, v21, v16 :: v_dual_fmac_f32 v11, v26, v18
	ds_store_2addr_stride64_b64 v13, v[1:2], v[4:5] offset1:4
	ds_store_2addr_stride64_b64 v13, v[6:7], v[11:12] offset0:8 offset1:12
.LBB26_89:
	s_or_b32 exec_lo, exec_lo, s0
	s_cmp_lt_i32 s31, 2
	s_mov_b32 s0, -1
	s_waitcnt lgkmcnt(0)
	s_waitcnt_vscnt null, 0x0
	s_barrier
	buffer_gl0_inv
	s_cbranch_scc0 .LBB26_100
; %bb.90:
	v_add_co_u32 v5, s0, s20, v0
	s_delay_alu instid0(VALU_DEP_1) | instskip(SKIP_1) | instid1(VALU_DEP_1)
	v_add_co_ci_u32_e64 v6, null, s21, 0, s0
	s_mov_b32 s1, exec_lo
	v_cmpx_gt_i64_e64 s[22:23], v[5:6]
	s_cbranch_execz .LBB26_99
; %bb.91:
	v_cmp_neq_f32_e32 vcc_lo, 0, v9
	v_cmp_neq_f32_e64 s0, 0, v10
	s_lshl_b32 s4, s28, 3
	s_mov_b32 s2, 0
	s_sub_i32 s4, 0, s4
	s_delay_alu instid0(VALU_DEP_1)
	s_or_b32 s3, vcc_lo, s0
	s_branch .LBB26_93
.LBB26_92:                              ;   in Loop: Header=BB26_93 Depth=1
	s_or_b32 exec_lo, exec_lo, s0
	v_add_co_u32 v5, vcc_lo, 0x100, v5
	v_add_co_ci_u32_e32 v6, vcc_lo, 0, v6, vcc_lo
	v_add_co_u32 v7, s0, s24, v7
	s_delay_alu instid0(VALU_DEP_1) | instskip(NEXT) | instid1(VALU_DEP_3)
	v_add_co_ci_u32_e64 v8, s0, s25, v8, s0
	v_cmp_le_i64_e32 vcc_lo, s[22:23], v[5:6]
	global_store_b64 v[7:8], v[2:3], off
	s_or_b32 s2, vcc_lo, s2
	s_delay_alu instid0(SALU_CYCLE_1)
	s_and_not1_b32 exec_lo, exec_lo, s2
	s_cbranch_execz .LBB26_99
.LBB26_93:                              ; =>This Loop Header: Depth=1
                                        ;     Child Loop BB26_95 Depth 2
	v_lshlrev_b64 v[7:8], 3, v[5:6]
	s_mov_b32 s0, exec_lo
	s_delay_alu instid0(VALU_DEP_1) | instskip(NEXT) | instid1(VALU_DEP_2)
	v_add_co_u32 v1, vcc_lo, s12, v7
	v_add_co_ci_u32_e32 v2, vcc_lo, s13, v8, vcc_lo
	global_load_b128 v[1:4], v[1:2], off
	s_waitcnt vmcnt(0)
	v_mov_b32_e32 v2, 0
	v_subrev_nc_u32_e32 v4, s28, v1
	v_subrev_nc_u32_e32 v11, s28, v3
	v_mov_b32_e32 v3, 0
	s_delay_alu instid0(VALU_DEP_2)
	v_cmpx_lt_i32_e64 v4, v11
	s_cbranch_execz .LBB26_97
; %bb.94:                               ;   in Loop: Header=BB26_93 Depth=1
	v_mov_b32_e32 v3, 0
	v_lshl_add_u32 v1, v1, 3, s4
	s_mov_b32 s5, 0
	s_delay_alu instid0(VALU_DEP_2)
	v_mov_b32_e32 v2, v3
.LBB26_95:                              ;   Parent Loop BB26_93 Depth=1
                                        ; =>  This Inner Loop Header: Depth=2
	ds_load_b64 v[14:15], v1
	v_add_nc_u32_e32 v4, 1, v4
	s_waitcnt lgkmcnt(0)
	v_dual_add_f32 v2, v2, v14 :: v_dual_add_nc_u32 v1, 8, v1
	v_add_f32_e32 v3, v3, v15
	s_delay_alu instid0(VALU_DEP_3) | instskip(SKIP_1) | instid1(SALU_CYCLE_1)
	v_cmp_ge_i32_e32 vcc_lo, v4, v11
	s_or_b32 s5, vcc_lo, s5
	s_and_not1_b32 exec_lo, exec_lo, s5
	s_cbranch_execnz .LBB26_95
; %bb.96:                               ;   in Loop: Header=BB26_93 Depth=1
	s_or_b32 exec_lo, exec_lo, s5
.LBB26_97:                              ;   in Loop: Header=BB26_93 Depth=1
	s_delay_alu instid0(SALU_CYCLE_1)
	s_or_b32 exec_lo, exec_lo, s0
	s_and_saveexec_b32 s0, s3
	s_cbranch_execz .LBB26_92
; %bb.98:                               ;   in Loop: Header=BB26_93 Depth=1
	v_add_co_u32 v11, vcc_lo, s24, v7
	v_add_co_ci_u32_e32 v12, vcc_lo, s25, v8, vcc_lo
	global_load_b64 v[11:12], v[11:12], off
	s_waitcnt vmcnt(0)
	v_fmac_f32_e32 v2, v9, v11
	v_fmac_f32_e32 v3, v10, v11
	s_delay_alu instid0(VALU_DEP_2) | instskip(NEXT) | instid1(VALU_DEP_2)
	v_fma_f32 v2, -v10, v12, v2
	v_fmac_f32_e32 v3, v9, v12
	s_branch .LBB26_92
.LBB26_99:
	s_or_b32 exec_lo, exec_lo, s1
	s_mov_b32 s0, 0
.LBB26_100:
	s_delay_alu instid0(SALU_CYCLE_1)
	s_and_not1_b32 vcc_lo, exec_lo, s0
	s_cbranch_vccnz .LBB26_125
; %bb.101:
	s_clz_i32_u32 s0, s31
	s_mov_b32 s1, exec_lo
	s_xor_b32 s0, s0, 31
	s_delay_alu instid0(SALU_CYCLE_1) | instskip(NEXT) | instid1(VALU_DEP_1)
	v_lshrrev_b32_e32 v5, s0, v0
	v_add_co_u32 v1, s0, s20, v5
	s_delay_alu instid0(VALU_DEP_1) | instskip(SKIP_1) | instid1(SALU_CYCLE_1)
	v_add_co_ci_u32_e64 v2, null, s21, 0, s0
	s_add_i32 s0, s31, -1
	v_dual_mov_b32 v3, 0 :: v_dual_and_b32 v0, s0, v0
	s_delay_alu instid0(VALU_DEP_2) | instskip(NEXT) | instid1(VALU_DEP_2)
	v_cmp_le_i64_e32 vcc_lo, s[22:23], v[1:2]
	v_mov_b32_e32 v4, v3
	v_cmpx_gt_i64_e64 s[22:23], v[1:2]
	s_cbranch_execz .LBB26_107
; %bb.102:
	v_lshlrev_b32_e32 v3, 3, v5
	s_mov_b32 s2, exec_lo
	s_clause 0x1
	global_load_b32 v4, v3, s[26:27]
	global_load_b32 v3, v3, s[26:27] offset:8
	s_waitcnt vmcnt(1)
	v_subrev_nc_u32_e32 v4, s28, v4
	s_waitcnt vmcnt(0)
	v_subrev_nc_u32_e32 v5, s28, v3
	s_delay_alu instid0(VALU_DEP_2) | instskip(SKIP_1) | instid1(VALU_DEP_2)
	v_dual_mov_b32 v3, 0 :: v_dual_add_nc_u32 v6, v0, v4
	v_mov_b32_e32 v4, 0
	v_cmpx_lt_i32_e64 v6, v5
	s_cbranch_execz .LBB26_106
; %bb.103:
	v_dual_mov_b32 v4, 0 :: v_dual_lshlrev_b32 v7, 3, v6
	s_lshl_b32 s4, s31, 3
	s_mov_b32 s3, 0
	s_delay_alu instid0(VALU_DEP_1)
	v_mov_b32_e32 v3, v4
.LBB26_104:                             ; =>This Inner Loop Header: Depth=1
	ds_load_b64 v[11:12], v7
	v_add_nc_u32_e32 v6, s31, v6
	s_waitcnt lgkmcnt(0)
	v_dual_add_f32 v4, v4, v12 :: v_dual_add_nc_u32 v7, s4, v7
	v_add_f32_e32 v3, v3, v11
	s_delay_alu instid0(VALU_DEP_3) | instskip(NEXT) | instid1(VALU_DEP_1)
	v_cmp_ge_i32_e64 s0, v6, v5
	s_or_b32 s3, s0, s3
	s_delay_alu instid0(SALU_CYCLE_1)
	s_and_not1_b32 exec_lo, exec_lo, s3
	s_cbranch_execnz .LBB26_104
; %bb.105:
	s_or_b32 exec_lo, exec_lo, s3
.LBB26_106:
	s_delay_alu instid0(SALU_CYCLE_1)
	s_or_b32 exec_lo, exec_lo, s2
.LBB26_107:
	s_delay_alu instid0(SALU_CYCLE_1)
	s_or_b32 exec_lo, exec_lo, s1
	s_cmpk_lt_i32 s31, 0x81
	s_waitcnt_vscnt null, 0x0
	s_barrier
	buffer_gl0_inv
	ds_store_b64 v13, v[3:4]
	s_waitcnt lgkmcnt(0)
	s_barrier
	buffer_gl0_inv
	s_cbranch_scc1 .LBB26_109
; %bb.108:
	ds_load_b64 v[5:6], v13 offset:1024
	s_waitcnt lgkmcnt(0)
	s_barrier
	buffer_gl0_inv
	v_dual_add_f32 v3, v3, v5 :: v_dual_add_f32 v4, v4, v6
	ds_store_b64 v13, v[3:4]
.LBB26_109:
	s_cmpk_lt_i32 s31, 0x41
	s_waitcnt lgkmcnt(0)
	s_barrier
	buffer_gl0_inv
	s_cbranch_scc1 .LBB26_111
; %bb.110:
	ds_load_b64 v[5:6], v13 offset:512
	s_waitcnt lgkmcnt(0)
	s_barrier
	buffer_gl0_inv
	v_dual_add_f32 v3, v3, v5 :: v_dual_add_f32 v4, v4, v6
	ds_store_b64 v13, v[3:4]
.LBB26_111:
	s_cmp_lt_i32 s31, 33
	s_waitcnt lgkmcnt(0)
	s_barrier
	buffer_gl0_inv
	s_cbranch_scc1 .LBB26_113
; %bb.112:
	ds_load_b64 v[5:6], v13 offset:256
	s_waitcnt lgkmcnt(0)
	s_barrier
	buffer_gl0_inv
	v_dual_add_f32 v3, v3, v5 :: v_dual_add_f32 v4, v4, v6
	ds_store_b64 v13, v[3:4]
.LBB26_113:
	s_cmp_lt_i32 s31, 17
	;; [unrolled: 13-line block ×4, first 2 shown]
	s_waitcnt lgkmcnt(0)
	s_barrier
	buffer_gl0_inv
	s_cbranch_scc1 .LBB26_119
; %bb.118:
	ds_load_b64 v[5:6], v13 offset:32
	s_waitcnt lgkmcnt(0)
	s_barrier
	buffer_gl0_inv
	v_dual_add_f32 v3, v3, v5 :: v_dual_add_f32 v4, v4, v6
	ds_store_b64 v13, v[3:4]
.LBB26_119:
	s_cmp_eq_u32 s31, 2
	s_waitcnt lgkmcnt(0)
	s_barrier
	buffer_gl0_inv
	s_cbranch_scc1 .LBB26_121
; %bb.120:
	ds_load_b64 v[5:6], v13 offset:16
	s_waitcnt lgkmcnt(0)
	s_barrier
	buffer_gl0_inv
	v_dual_add_f32 v3, v3, v5 :: v_dual_add_f32 v4, v4, v6
	ds_store_b64 v13, v[3:4]
.LBB26_121:
	s_waitcnt lgkmcnt(0)
	s_barrier
	buffer_gl0_inv
	ds_load_b64 v[5:6], v13 offset:8
	v_cmp_eq_u32_e64 s0, 0, v0
	s_xor_b32 s1, vcc_lo, -1
	s_waitcnt lgkmcnt(0)
	s_barrier
	buffer_gl0_inv
	s_and_b32 s0, s0, s1
	v_dual_add_f32 v3, v3, v5 :: v_dual_add_f32 v4, v4, v6
	ds_store_b64 v13, v[3:4]
	s_and_b32 exec_lo, exec_lo, s0
	s_cbranch_execz .LBB26_125
; %bb.122:
	v_cmp_neq_f32_e32 vcc_lo, 0, v9
	v_cmp_neq_f32_e64 s0, 0, v10
	v_lshlrev_b64 v[0:1], 3, v[1:2]
	s_delay_alu instid0(VALU_DEP_2) | instskip(NEXT) | instid1(SALU_CYCLE_1)
	s_or_b32 s1, vcc_lo, s0
	s_and_saveexec_b32 s0, s1
	s_cbranch_execz .LBB26_124
; %bb.123:
	s_delay_alu instid0(VALU_DEP_1) | instskip(NEXT) | instid1(VALU_DEP_2)
	v_add_co_u32 v5, vcc_lo, s24, v0
	v_add_co_ci_u32_e32 v6, vcc_lo, s25, v1, vcc_lo
	global_load_b64 v[5:6], v[5:6], off
	s_waitcnt vmcnt(0)
	v_fmac_f32_e32 v3, v9, v5
	v_fmac_f32_e32 v4, v10, v5
	s_delay_alu instid0(VALU_DEP_2) | instskip(NEXT) | instid1(VALU_DEP_2)
	v_fma_f32 v3, -v10, v6, v3
	v_fmac_f32_e32 v4, v9, v6
.LBB26_124:
	s_or_b32 exec_lo, exec_lo, s0
	s_delay_alu instid0(VALU_DEP_1)
	v_add_co_u32 v0, vcc_lo, s24, v0
	v_add_co_ci_u32_e32 v1, vcc_lo, s25, v1, vcc_lo
	global_store_b64 v[0:1], v[3:4], off
.LBB26_125:
	s_nop 0
	s_sendmsg sendmsg(MSG_DEALLOC_VGPRS)
	s_endpgm
	.section	.rodata,"a",@progbits
	.p2align	6, 0x0
	.amdhsa_kernel _ZN9rocsparseL22csrmvn_adaptive_kernelIli21rocsparse_complex_numIfES2_S2_S2_EEvbT_PKS3_PjPKT0_NS_24const_host_device_scalarIT4_EES5_S9_PKT1_PKT2_SC_PT3_21rocsparse_index_base_b
		.amdhsa_group_segment_fixed_size 8192
		.amdhsa_private_segment_fixed_size 0
		.amdhsa_kernarg_size 104
		.amdhsa_user_sgpr_count 15
		.amdhsa_user_sgpr_dispatch_ptr 0
		.amdhsa_user_sgpr_queue_ptr 0
		.amdhsa_user_sgpr_kernarg_segment_ptr 1
		.amdhsa_user_sgpr_dispatch_id 0
		.amdhsa_user_sgpr_private_segment_size 0
		.amdhsa_wavefront_size32 1
		.amdhsa_uses_dynamic_stack 0
		.amdhsa_enable_private_segment 0
		.amdhsa_system_sgpr_workgroup_id_x 1
		.amdhsa_system_sgpr_workgroup_id_y 0
		.amdhsa_system_sgpr_workgroup_id_z 0
		.amdhsa_system_sgpr_workgroup_info 0
		.amdhsa_system_vgpr_workitem_id 0
		.amdhsa_next_free_vgpr 28
		.amdhsa_next_free_sgpr 54
		.amdhsa_reserve_vcc 1
		.amdhsa_float_round_mode_32 0
		.amdhsa_float_round_mode_16_64 0
		.amdhsa_float_denorm_mode_32 3
		.amdhsa_float_denorm_mode_16_64 3
		.amdhsa_dx10_clamp 1
		.amdhsa_ieee_mode 1
		.amdhsa_fp16_overflow 0
		.amdhsa_workgroup_processor_mode 1
		.amdhsa_memory_ordered 1
		.amdhsa_forward_progress 0
		.amdhsa_shared_vgpr_count 0
		.amdhsa_exception_fp_ieee_invalid_op 0
		.amdhsa_exception_fp_denorm_src 0
		.amdhsa_exception_fp_ieee_div_zero 0
		.amdhsa_exception_fp_ieee_overflow 0
		.amdhsa_exception_fp_ieee_underflow 0
		.amdhsa_exception_fp_ieee_inexact 0
		.amdhsa_exception_int_div_zero 0
	.end_amdhsa_kernel
	.section	.text._ZN9rocsparseL22csrmvn_adaptive_kernelIli21rocsparse_complex_numIfES2_S2_S2_EEvbT_PKS3_PjPKT0_NS_24const_host_device_scalarIT4_EES5_S9_PKT1_PKT2_SC_PT3_21rocsparse_index_base_b,"axG",@progbits,_ZN9rocsparseL22csrmvn_adaptive_kernelIli21rocsparse_complex_numIfES2_S2_S2_EEvbT_PKS3_PjPKT0_NS_24const_host_device_scalarIT4_EES5_S9_PKT1_PKT2_SC_PT3_21rocsparse_index_base_b,comdat
.Lfunc_end26:
	.size	_ZN9rocsparseL22csrmvn_adaptive_kernelIli21rocsparse_complex_numIfES2_S2_S2_EEvbT_PKS3_PjPKT0_NS_24const_host_device_scalarIT4_EES5_S9_PKT1_PKT2_SC_PT3_21rocsparse_index_base_b, .Lfunc_end26-_ZN9rocsparseL22csrmvn_adaptive_kernelIli21rocsparse_complex_numIfES2_S2_S2_EEvbT_PKS3_PjPKT0_NS_24const_host_device_scalarIT4_EES5_S9_PKT1_PKT2_SC_PT3_21rocsparse_index_base_b
                                        ; -- End function
	.section	.AMDGPU.csdata,"",@progbits
; Kernel info:
; codeLenInByte = 5520
; NumSgprs: 56
; NumVgprs: 28
; ScratchSize: 0
; MemoryBound: 0
; FloatMode: 240
; IeeeMode: 1
; LDSByteSize: 8192 bytes/workgroup (compile time only)
; SGPRBlocks: 6
; VGPRBlocks: 3
; NumSGPRsForWavesPerEU: 56
; NumVGPRsForWavesPerEU: 28
; Occupancy: 16
; WaveLimiterHint : 1
; COMPUTE_PGM_RSRC2:SCRATCH_EN: 0
; COMPUTE_PGM_RSRC2:USER_SGPR: 15
; COMPUTE_PGM_RSRC2:TRAP_HANDLER: 0
; COMPUTE_PGM_RSRC2:TGID_X_EN: 1
; COMPUTE_PGM_RSRC2:TGID_Y_EN: 0
; COMPUTE_PGM_RSRC2:TGID_Z_EN: 0
; COMPUTE_PGM_RSRC2:TIDIG_COMP_CNT: 0
	.section	.text._ZN9rocsparseL27csrmvn_symm_adaptive_kernelIli21rocsparse_complex_numIfES2_S2_S2_EEvbT_S3_PKS3_NS_24const_host_device_scalarIT4_EES5_PKT0_PKT1_PKT2_S8_PT3_21rocsparse_index_base_b,"axG",@progbits,_ZN9rocsparseL27csrmvn_symm_adaptive_kernelIli21rocsparse_complex_numIfES2_S2_S2_EEvbT_S3_PKS3_NS_24const_host_device_scalarIT4_EES5_PKT0_PKT1_PKT2_S8_PT3_21rocsparse_index_base_b,comdat
	.globl	_ZN9rocsparseL27csrmvn_symm_adaptive_kernelIli21rocsparse_complex_numIfES2_S2_S2_EEvbT_S3_PKS3_NS_24const_host_device_scalarIT4_EES5_PKT0_PKT1_PKT2_S8_PT3_21rocsparse_index_base_b ; -- Begin function _ZN9rocsparseL27csrmvn_symm_adaptive_kernelIli21rocsparse_complex_numIfES2_S2_S2_EEvbT_S3_PKS3_NS_24const_host_device_scalarIT4_EES5_PKT0_PKT1_PKT2_S8_PT3_21rocsparse_index_base_b
	.p2align	8
	.type	_ZN9rocsparseL27csrmvn_symm_adaptive_kernelIli21rocsparse_complex_numIfES2_S2_S2_EEvbT_S3_PKS3_NS_24const_host_device_scalarIT4_EES5_PKT0_PKT1_PKT2_S8_PT3_21rocsparse_index_base_b,@function
_ZN9rocsparseL27csrmvn_symm_adaptive_kernelIli21rocsparse_complex_numIfES2_S2_S2_EEvbT_S3_PKS3_NS_24const_host_device_scalarIT4_EES5_PKT0_PKT1_PKT2_S8_PT3_21rocsparse_index_base_b: ; @_ZN9rocsparseL27csrmvn_symm_adaptive_kernelIli21rocsparse_complex_numIfES2_S2_S2_EEvbT_S3_PKS3_NS_24const_host_device_scalarIT4_EES5_PKT0_PKT1_PKT2_S8_PT3_21rocsparse_index_base_b
; %bb.0:
	s_clause 0x2
	s_load_b64 s[24:25], s[0:1], 0x58
	s_load_b64 s[6:7], s[0:1], 0x20
	;; [unrolled: 1-line block ×3, first 2 shown]
	s_mov_b32 s4, s15
	s_waitcnt lgkmcnt(0)
	s_bitcmp1_b32 s25, 0
	v_mov_b32_e32 v10, s6
	s_cselect_b32 s5, -1, 0
	s_delay_alu instid0(SALU_CYCLE_1)
	s_and_b32 vcc_lo, exec_lo, s5
	s_xor_b32 s5, s5, -1
	s_cbranch_vccz .LBB27_11
; %bb.1:
	v_cndmask_b32_e64 v2, 0, 1, s5
	v_mov_b32_e32 v11, s7
	s_and_not1_b32 vcc_lo, exec_lo, s5
	s_cbranch_vccz .LBB27_12
.LBB27_2:
	s_delay_alu instid0(VALU_DEP_2)
	v_cmp_ne_u32_e32 vcc_lo, 1, v2
	v_mov_b32_e32 v1, s2
	s_cbranch_vccz .LBB27_13
.LBB27_3:
	v_cmp_ne_u32_e32 vcc_lo, 1, v2
	v_mov_b32_e32 v2, s3
	s_cbranch_vccnz .LBB27_5
.LBB27_4:
	v_dual_mov_b32 v2, s2 :: v_dual_mov_b32 v3, s3
	flat_load_b32 v2, v[2:3] offset:4
.LBB27_5:
	s_waitcnt vmcnt(0) lgkmcnt(0)
	v_cmp_eq_f32_e32 vcc_lo, 0, v10
	v_cmp_eq_f32_e64 s2, 0, v11
	s_delay_alu instid0(VALU_DEP_1)
	s_and_b32 s5, vcc_lo, s2
	s_mov_b32 s2, -1
	s_and_saveexec_b32 s3, s5
; %bb.6:
	v_and_b32_e32 v2, 0x7fffffff, v2
	v_cmp_neq_f32_e32 vcc_lo, 1.0, v1
	s_delay_alu instid0(VALU_DEP_2) | instskip(NEXT) | instid1(VALU_DEP_1)
	v_cmp_ne_u32_e64 s2, 0, v2
	s_or_b32 s2, vcc_lo, s2
	s_delay_alu instid0(SALU_CYCLE_1)
	s_or_not1_b32 s2, s2, exec_lo
; %bb.7:
	s_or_b32 exec_lo, exec_lo, s3
	s_and_saveexec_b32 s3, s2
	s_cbranch_execz .LBB27_200
; %bb.8:
	s_clause 0x1
	s_load_b32 s5, s[0:1], 0x0
	s_load_b64 s[2:3], s[0:1], 0x18
	s_mov_b32 s6, 0
	s_delay_alu instid0(SALU_CYCLE_1)
	s_mov_b32 s7, s6
	v_dual_mov_b32 v1, s6 :: v_dual_lshlrev_b32 v18, 3, v0
	v_mov_b32_e32 v2, s7
	ds_store_2addr_stride64_b64 v18, v[1:2], v[1:2] offset1:4
	ds_store_2addr_stride64_b64 v18, v[1:2], v[1:2] offset0:8 offset1:12
	s_waitcnt lgkmcnt(0)
	s_barrier
	buffer_gl0_inv
	s_bitcmp1_b32 s5, 0
	s_cselect_b32 s25, -1, 0
	s_ashr_i32 s5, s4, 31
	s_delay_alu instid0(SALU_CYCLE_1) | instskip(NEXT) | instid1(SALU_CYCLE_1)
	s_lshl_b64 s[4:5], s[4:5], 3
	s_add_u32 s2, s2, s4
	s_addc_u32 s3, s3, s5
	s_load_b128 s[16:19], s[2:3], 0x0
	s_clause 0x1
	s_load_b256 s[8:15], s[0:1], 0x28
	s_load_b64 s[20:21], s[0:1], 0x50
	s_waitcnt lgkmcnt(0)
	s_sub_u32 s22, s18, s16
	s_subb_u32 s23, s19, s17
	s_delay_alu instid0(SALU_CYCLE_1) | instskip(NEXT) | instid1(VALU_DEP_1)
	v_cmp_gt_i64_e64 s2, s[22:23], 2
	s_and_b32 vcc_lo, exec_lo, s2
	s_mov_b32 s2, -1
	s_cbranch_vccnz .LBB27_57
; %bb.9:
	v_cmp_gt_i64_e64 s2, s[18:19], s[16:17]
	v_sub_co_u32 v9, s3, v0, s24
	s_delay_alu instid0(VALU_DEP_1) | instskip(NEXT) | instid1(VALU_DEP_3)
	v_sub_co_ci_u32_e64 v12, null, 0, 0, s3
	s_and_b32 vcc_lo, exec_lo, s2
	s_cbranch_vccnz .LBB27_14
; %bb.10:
	s_lshl_b64 s[2:3], s[16:17], 3
	s_delay_alu instid0(SALU_CYCLE_1)
	s_add_u32 s2, s8, s2
	s_addc_u32 s3, s9, s3
	s_load_b64 s[26:27], s[2:3], 0x0
	s_cbranch_execz .LBB27_15
	s_branch .LBB27_44
.LBB27_11:
	v_dual_mov_b32 v1, s6 :: v_dual_mov_b32 v2, s7
	flat_load_b32 v10, v[1:2]
	v_cndmask_b32_e64 v2, 0, 1, s5
	v_mov_b32_e32 v11, s7
	s_and_not1_b32 vcc_lo, exec_lo, s5
	s_cbranch_vccnz .LBB27_2
.LBB27_12:
	v_dual_mov_b32 v3, s6 :: v_dual_mov_b32 v4, s7
	flat_load_b32 v11, v[3:4] offset:4
	v_cmp_ne_u32_e32 vcc_lo, 1, v2
	v_mov_b32_e32 v1, s2
	s_cbranch_vccnz .LBB27_3
.LBB27_13:
	v_dual_mov_b32 v4, s3 :: v_dual_mov_b32 v3, s2
	flat_load_b32 v1, v[3:4]
	v_cmp_ne_u32_e32 vcc_lo, 1, v2
	v_mov_b32_e32 v2, s3
	s_cbranch_vccz .LBB27_4
	s_branch .LBB27_5
.LBB27_14:
                                        ; implicit-def: $sgpr26_sgpr27
.LBB27_15:
	s_lshl_b64 s[2:3], s[16:17], 3
	v_cmp_gt_u32_e64 s4, 16, v0
	s_add_u32 s2, s8, s2
	s_addc_u32 s3, s9, s3
	v_cmp_gt_u32_e64 s5, 4, v0
	s_waitcnt lgkmcnt(0)
	s_load_b64 s[26:27], s[2:3], 0x0
	v_cmp_gt_u32_e64 s2, 0x100, v0
	v_cmp_gt_u32_e64 s3, 64, v0
	v_cmp_eq_u32_e64 s6, 0, v0
	v_mov_b32_e32 v13, 0
	s_add_u32 s33, s8, 8
	s_addc_u32 s38, s9, 0
	s_add_u32 s39, s12, 4
	s_addc_u32 s40, s13, 0
	s_mov_b64 s[28:29], s[16:17]
	s_waitcnt lgkmcnt(0)
	s_mov_b64 s[30:31], s[26:27]
	s_branch .LBB27_17
.LBB27_16:                              ;   in Loop: Header=BB27_17 Depth=1
	s_or_b32 exec_lo, exec_lo, s7
	s_add_u32 s28, s28, 1
	s_addc_u32 s29, s29, 0
	s_delay_alu instid0(SALU_CYCLE_1) | instskip(NEXT) | instid1(VALU_DEP_1)
	v_cmp_ge_i64_e64 s7, s[28:29], s[18:19]
	s_and_b32 vcc_lo, exec_lo, s7
	s_cbranch_vccnz .LBB27_44
.LBB27_17:                              ; =>This Loop Header: Depth=1
                                        ;     Child Loop BB27_19 Depth 2
                                        ;     Child Loop BB27_33 Depth 2
	;; [unrolled: 1-line block ×5, first 2 shown]
	s_lshl_b64 s[34:35], s[28:29], 3
	s_mov_b64 s[42:43], s[30:31]
	s_add_u32 s36, s33, s34
	s_addc_u32 s37, s38, s35
	v_add_co_u32 v1, vcc_lo, s42, v9
	s_load_b64 s[30:31], s[36:37], 0x0
	v_add_co_ci_u32_e32 v2, vcc_lo, s43, v12, vcc_lo
	v_dual_mov_b32 v4, 0 :: v_dual_mov_b32 v3, 0
	s_mov_b32 s41, exec_lo
	s_waitcnt lgkmcnt(0)
	s_sub_u32 s36, s30, s24
	s_subb_u32 s37, s31, 0
	s_delay_alu instid0(SALU_CYCLE_1)
	v_cmpx_gt_i64_e64 s[36:37], v[1:2]
	s_cbranch_execz .LBB27_21
; %bb.18:                               ;   in Loop: Header=BB27_17 Depth=1
	v_lshlrev_b64 v[5:6], 2, v[1:2]
	v_lshlrev_b64 v[7:8], 3, v[1:2]
	v_mov_b32_e32 v4, 0
	s_mov_b32 s42, 0
	s_delay_alu instid0(VALU_DEP_3) | instskip(NEXT) | instid1(VALU_DEP_4)
	v_add_co_u32 v5, vcc_lo, s10, v5
	v_add_co_ci_u32_e32 v6, vcc_lo, s11, v6, vcc_lo
	s_delay_alu instid0(VALU_DEP_4)
	v_add_co_u32 v7, vcc_lo, s39, v7
	v_add_co_ci_u32_e32 v8, vcc_lo, s40, v8, vcc_lo
	v_mov_b32_e32 v3, v4
	s_set_inst_prefetch_distance 0x1
	.p2align	6
.LBB27_19:                              ;   Parent Loop BB27_17 Depth=1
                                        ; =>  This Inner Loop Header: Depth=2
	global_load_b32 v14, v[5:6], off
	global_load_b64 v[16:17], v[7:8], off offset:-4
	s_waitcnt vmcnt(1)
	v_subrev_nc_u32_e32 v14, s24, v14
	s_waitcnt vmcnt(0)
	v_cndmask_b32_e64 v17, v17, -v17, s25
	s_delay_alu instid0(VALU_DEP_2) | instskip(NEXT) | instid1(VALU_DEP_1)
	v_ashrrev_i32_e32 v15, 31, v14
	v_lshlrev_b64 v[14:15], 3, v[14:15]
	s_delay_alu instid0(VALU_DEP_1) | instskip(NEXT) | instid1(VALU_DEP_2)
	v_add_co_u32 v14, vcc_lo, s14, v14
	v_add_co_ci_u32_e32 v15, vcc_lo, s15, v15, vcc_lo
	v_add_co_u32 v1, vcc_lo, 0x100, v1
	v_add_co_ci_u32_e32 v2, vcc_lo, 0, v2, vcc_lo
	global_load_b64 v[14:15], v[14:15], off
	v_add_co_u32 v5, vcc_lo, 0x400, v5
	v_add_co_ci_u32_e32 v6, vcc_lo, 0, v6, vcc_lo
	v_cmp_le_i64_e64 s7, s[36:37], v[1:2]
	v_add_co_u32 v7, vcc_lo, 0x800, v7
	v_add_co_ci_u32_e32 v8, vcc_lo, 0, v8, vcc_lo
	s_delay_alu instid0(VALU_DEP_3) | instskip(SKIP_3) | instid1(VALU_DEP_2)
	s_or_b32 s42, s7, s42
	s_waitcnt vmcnt(0)
	v_fmac_f32_e32 v3, v16, v14
	v_fmac_f32_e32 v4, v17, v14
	v_fma_f32 v3, -v17, v15, v3
	s_delay_alu instid0(VALU_DEP_2)
	v_fmac_f32_e32 v4, v16, v15
	s_and_not1_b32 exec_lo, exec_lo, s42
	s_cbranch_execnz .LBB27_19
; %bb.20:                               ;   in Loop: Header=BB27_17 Depth=1
	s_set_inst_prefetch_distance 0x2
	s_or_b32 exec_lo, exec_lo, s42
.LBB27_21:                              ;   in Loop: Header=BB27_17 Depth=1
	s_delay_alu instid0(SALU_CYCLE_1)
	s_or_b32 exec_lo, exec_lo, s41
	ds_store_b64 v18, v[3:4]
	s_waitcnt lgkmcnt(0)
	s_barrier
	buffer_gl0_inv
	s_and_saveexec_b32 s7, s2
	s_cbranch_execz .LBB27_23
; %bb.22:                               ;   in Loop: Header=BB27_17 Depth=1
	ds_load_2addr_stride64_b64 v[1:4], v18 offset1:4
	ds_load_2addr_stride64_b64 v[5:8], v18 offset0:8 offset1:12
	s_waitcnt lgkmcnt(0)
	v_dual_add_f32 v3, v5, v3 :: v_dual_add_f32 v4, v6, v4
	s_delay_alu instid0(VALU_DEP_1) | instskip(NEXT) | instid1(VALU_DEP_1)
	v_dual_add_f32 v3, v3, v7 :: v_dual_add_f32 v4, v4, v8
	v_dual_add_f32 v1, v3, v1 :: v_dual_add_f32 v2, v4, v2
	ds_store_b64 v18, v[1:2]
.LBB27_23:                              ;   in Loop: Header=BB27_17 Depth=1
	s_or_b32 exec_lo, exec_lo, s7
	s_waitcnt lgkmcnt(0)
	s_barrier
	buffer_gl0_inv
	s_and_saveexec_b32 s7, s3
	s_cbranch_execz .LBB27_25
; %bb.24:                               ;   in Loop: Header=BB27_17 Depth=1
	ds_load_2addr_stride64_b64 v[1:4], v18 offset1:1
	ds_load_2addr_stride64_b64 v[5:8], v18 offset0:2 offset1:3
	s_waitcnt lgkmcnt(0)
	v_dual_add_f32 v3, v5, v3 :: v_dual_add_f32 v4, v6, v4
	s_delay_alu instid0(VALU_DEP_1) | instskip(NEXT) | instid1(VALU_DEP_1)
	v_dual_add_f32 v3, v3, v7 :: v_dual_add_f32 v4, v4, v8
	v_dual_add_f32 v1, v3, v1 :: v_dual_add_f32 v2, v4, v2
	ds_store_b64 v18, v[1:2]
.LBB27_25:                              ;   in Loop: Header=BB27_17 Depth=1
	s_or_b32 exec_lo, exec_lo, s7
	s_waitcnt lgkmcnt(0)
	s_barrier
	buffer_gl0_inv
	s_and_saveexec_b32 s7, s4
	s_cbranch_execz .LBB27_27
; %bb.26:                               ;   in Loop: Header=BB27_17 Depth=1
	ds_load_2addr_b64 v[1:4], v18 offset1:16
	ds_load_2addr_b64 v[5:8], v18 offset0:32 offset1:48
	s_waitcnt lgkmcnt(0)
	v_dual_add_f32 v3, v5, v3 :: v_dual_add_f32 v4, v6, v4
	s_delay_alu instid0(VALU_DEP_1) | instskip(NEXT) | instid1(VALU_DEP_1)
	v_dual_add_f32 v3, v3, v7 :: v_dual_add_f32 v4, v4, v8
	v_dual_add_f32 v1, v3, v1 :: v_dual_add_f32 v2, v4, v2
	ds_store_b64 v18, v[1:2]
.LBB27_27:                              ;   in Loop: Header=BB27_17 Depth=1
	s_or_b32 exec_lo, exec_lo, s7
	s_waitcnt lgkmcnt(0)
	s_barrier
	buffer_gl0_inv
	s_and_saveexec_b32 s7, s5
	s_cbranch_execz .LBB27_29
; %bb.28:                               ;   in Loop: Header=BB27_17 Depth=1
	ds_load_2addr_b64 v[1:4], v18 offset1:4
	ds_load_2addr_b64 v[5:8], v18 offset0:8 offset1:12
	s_waitcnt lgkmcnt(0)
	v_dual_add_f32 v3, v5, v3 :: v_dual_add_f32 v4, v6, v4
	s_delay_alu instid0(VALU_DEP_1) | instskip(NEXT) | instid1(VALU_DEP_1)
	v_dual_add_f32 v3, v3, v7 :: v_dual_add_f32 v4, v4, v8
	v_dual_add_f32 v1, v3, v1 :: v_dual_add_f32 v2, v4, v2
	ds_store_b64 v18, v[1:2]
.LBB27_29:                              ;   in Loop: Header=BB27_17 Depth=1
	s_or_b32 exec_lo, exec_lo, s7
	s_waitcnt lgkmcnt(0)
	s_barrier
	buffer_gl0_inv
	s_and_saveexec_b32 s7, s6
	s_cbranch_execz .LBB27_31
; %bb.30:                               ;   in Loop: Header=BB27_17 Depth=1
	ds_load_b128 v[1:4], v13 offset:16
	ds_load_b64 v[5:6], v13 offset:8
	ds_load_b64 v[7:8], v18
	s_waitcnt lgkmcnt(1)
	v_dual_add_f32 v1, v1, v5 :: v_dual_add_f32 v2, v2, v6
	s_delay_alu instid0(VALU_DEP_1) | instskip(SKIP_1) | instid1(VALU_DEP_1)
	v_dual_add_f32 v1, v1, v3 :: v_dual_add_f32 v2, v2, v4
	s_waitcnt lgkmcnt(0)
	v_dual_add_f32 v1, v1, v7 :: v_dual_add_f32 v2, v2, v8
	ds_store_b64 v18, v[1:2]
.LBB27_31:                              ;   in Loop: Header=BB27_17 Depth=1
	s_or_b32 exec_lo, exec_lo, s7
	s_waitcnt lgkmcnt(0)
	s_barrier
	buffer_gl0_inv
	s_and_saveexec_b32 s7, s6
	s_cbranch_execz .LBB27_16
; %bb.32:                               ;   in Loop: Header=BB27_17 Depth=1
	ds_load_b64 v[1:2], v13
	v_bfrev_b32_e32 v5, 1
	s_mov_b32 s36, exec_lo
	s_waitcnt lgkmcnt(0)
	v_mul_f32_e64 v3, v2, -v11
	s_delay_alu instid0(VALU_DEP_1)
	v_fmac_f32_e32 v3, v10, v1
.LBB27_33:                              ;   Parent Loop BB27_17 Depth=1
                                        ; =>  This Inner Loop Header: Depth=2
	s_ctz_i32_b32 s37, s36
	s_delay_alu instid0(VALU_DEP_1) | instid1(SALU_CYCLE_1)
	v_readlane_b32 s41, v3, s37
	s_lshl_b32 s37, 1, s37
	s_delay_alu instid0(SALU_CYCLE_1) | instskip(NEXT) | instid1(SALU_CYCLE_1)
	s_and_not1_b32 s36, s36, s37
	s_cmp_lg_u32 s36, 0
	s_delay_alu instid0(VALU_DEP_1)
	v_add_f32_e32 v5, s41, v5
	s_cbranch_scc1 .LBB27_33
; %bb.34:                               ;   in Loop: Header=BB27_17 Depth=1
	v_mbcnt_lo_u32_b32 v3, exec_lo, 0
	s_add_u32 s34, s20, s34
	s_addc_u32 s35, s21, s35
	s_mov_b32 s36, exec_lo
	s_delay_alu instid0(VALU_DEP_1)
	v_cmpx_eq_u32_e32 0, v3
	s_xor_b32 s36, exec_lo, s36
	s_cbranch_execz .LBB27_38
; %bb.35:                               ;   in Loop: Header=BB27_17 Depth=1
	global_load_b32 v4, v13, s[34:35]
	s_mov_b32 s37, 0
.LBB27_36:                              ;   Parent Loop BB27_17 Depth=1
                                        ; =>  This Inner Loop Header: Depth=2
	s_waitcnt vmcnt(0)
	v_add_f32_e32 v3, v4, v5
	global_atomic_cmpswap_b32 v3, v13, v[3:4], s[34:35] glc
	s_waitcnt vmcnt(0)
	v_cmp_eq_u32_e32 vcc_lo, v3, v4
	v_mov_b32_e32 v4, v3
	s_or_b32 s37, vcc_lo, s37
	s_delay_alu instid0(SALU_CYCLE_1)
	s_and_not1_b32 exec_lo, exec_lo, s37
	s_cbranch_execnz .LBB27_36
; %bb.37:                               ;   in Loop: Header=BB27_17 Depth=1
	s_or_b32 exec_lo, exec_lo, s37
.LBB27_38:                              ;   in Loop: Header=BB27_17 Depth=1
	s_delay_alu instid0(SALU_CYCLE_1) | instskip(SKIP_3) | instid1(VALU_DEP_2)
	s_or_b32 exec_lo, exec_lo, s36
	v_mul_f32_e32 v2, v2, v10
	v_bfrev_b32_e32 v3, 1
	s_mov_b32 s36, exec_lo
	v_fmac_f32_e32 v2, v11, v1
.LBB27_39:                              ;   Parent Loop BB27_17 Depth=1
                                        ; =>  This Inner Loop Header: Depth=2
	s_ctz_i32_b32 s37, s36
	s_delay_alu instid0(VALU_DEP_1) | instid1(SALU_CYCLE_1)
	v_readlane_b32 s41, v2, s37
	s_lshl_b32 s37, 1, s37
	s_delay_alu instid0(SALU_CYCLE_1) | instskip(NEXT) | instid1(SALU_CYCLE_1)
	s_and_not1_b32 s36, s36, s37
	s_cmp_lg_u32 s36, 0
	s_delay_alu instid0(VALU_DEP_1)
	v_add_f32_e32 v3, s41, v3
	s_cbranch_scc1 .LBB27_39
; %bb.40:                               ;   in Loop: Header=BB27_17 Depth=1
	v_mbcnt_lo_u32_b32 v1, exec_lo, 0
	s_mov_b32 s36, exec_lo
	s_delay_alu instid0(VALU_DEP_1)
	v_cmpx_eq_u32_e32 0, v1
	s_xor_b32 s36, exec_lo, s36
	s_cbranch_execz .LBB27_16
; %bb.41:                               ;   in Loop: Header=BB27_17 Depth=1
	global_load_b32 v2, v13, s[34:35] offset:4
	s_mov_b32 s36, 0
.LBB27_42:                              ;   Parent Loop BB27_17 Depth=1
                                        ; =>  This Inner Loop Header: Depth=2
	s_waitcnt vmcnt(0)
	v_add_f32_e32 v1, v2, v3
	global_atomic_cmpswap_b32 v1, v13, v[1:2], s[34:35] offset:4 glc
	s_waitcnt vmcnt(0)
	v_cmp_eq_u32_e32 vcc_lo, v1, v2
	v_mov_b32_e32 v2, v1
	s_or_b32 s36, vcc_lo, s36
	s_delay_alu instid0(SALU_CYCLE_1)
	s_and_not1_b32 exec_lo, exec_lo, s36
	s_cbranch_execnz .LBB27_42
; %bb.43:                               ;   in Loop: Header=BB27_17 Depth=1
	s_or_b32 exec_lo, exec_lo, s36
	s_branch .LBB27_16
.LBB27_44:
	s_lshl_b64 s[2:3], s[18:19], 3
	s_waitcnt lgkmcnt(0)
	v_add_co_u32 v1, vcc_lo, s26, v9
	s_add_u32 s2, s8, s2
	s_addc_u32 s3, s9, s3
	v_add_co_ci_u32_e32 v2, vcc_lo, s27, v12, vcc_lo
	s_load_b64 s[2:3], s[2:3], 0x0
	s_waitcnt lgkmcnt(0)
	s_sub_u32 s4, s2, s24
	s_subb_u32 s5, s3, 0
	s_mov_b32 s3, exec_lo
	v_cmpx_gt_i64_e64 s[4:5], v[1:2]
	s_cbranch_execz .LBB27_56
; %bb.45:
	s_add_u32 s6, s18, -1
	s_addc_u32 s7, s19, -1
	s_add_u32 s26, s18, -2
	v_cmp_gt_i64_e64 s2, s[6:7], s[16:17]
	s_addc_u32 s27, s19, -1
	s_delay_alu instid0(SALU_CYCLE_1)
	s_cmp_lg_u64 s[26:27], s[16:17]
	s_mov_b32 s27, 0
	s_cselect_b32 s26, -1, 0
	s_delay_alu instid0(VALU_DEP_1) | instid1(SALU_CYCLE_1)
	s_and_b32 s26, s2, s26
	s_branch .LBB27_47
.LBB27_46:                              ;   in Loop: Header=BB27_47 Depth=1
	s_or_b32 exec_lo, exec_lo, s2
	v_add_co_u32 v1, vcc_lo, 0x100, v1
	v_add_co_ci_u32_e32 v2, vcc_lo, 0, v2, vcc_lo
	s_delay_alu instid0(VALU_DEP_1) | instskip(SKIP_1) | instid1(SALU_CYCLE_1)
	v_cmp_le_i64_e32 vcc_lo, s[4:5], v[1:2]
	s_or_b32 s27, vcc_lo, s27
	s_and_not1_b32 exec_lo, exec_lo, s27
	s_cbranch_execz .LBB27_56
.LBB27_47:                              ; =>This Loop Header: Depth=1
                                        ;     Child Loop BB27_49 Depth 2
                                        ;     Child Loop BB27_53 Depth 2
	;; [unrolled: 1-line block ×3, first 2 shown]
	v_dual_mov_b32 v3, s16 :: v_dual_mov_b32 v4, s17
	v_dual_mov_b32 v5, s6 :: v_dual_mov_b32 v6, s7
	s_and_not1_b32 vcc_lo, exec_lo, s26
	s_cbranch_vccnz .LBB27_51
; %bb.48:                               ;   in Loop: Header=BB27_47 Depth=1
	v_dual_mov_b32 v3, s16 :: v_dual_mov_b32 v4, s17
	v_dual_mov_b32 v5, s6 :: v_dual_mov_b32 v6, s7
	s_mov_b32 s28, 0
	s_set_inst_prefetch_distance 0x1
	.p2align	6
.LBB27_49:                              ;   Parent Loop BB27_47 Depth=1
                                        ; =>  This Inner Loop Header: Depth=2
	s_delay_alu instid0(VALU_DEP_1) | instskip(NEXT) | instid1(VALU_DEP_2)
	v_add_co_u32 v7, vcc_lo, v5, v3
	v_add_co_ci_u32_e32 v8, vcc_lo, v6, v4, vcc_lo
	s_delay_alu instid0(VALU_DEP_1) | instskip(NEXT) | instid1(VALU_DEP_1)
	v_lshrrev_b32_e32 v9, 31, v8
	v_add_co_u32 v7, vcc_lo, v7, v9
	v_add_co_ci_u32_e32 v8, vcc_lo, 0, v8, vcc_lo
	s_delay_alu instid0(VALU_DEP_1) | instskip(NEXT) | instid1(VALU_DEP_1)
	v_ashrrev_i64 v[7:8], 1, v[7:8]
	v_lshlrev_b64 v[12:13], 3, v[7:8]
	s_delay_alu instid0(VALU_DEP_1) | instskip(NEXT) | instid1(VALU_DEP_2)
	v_add_co_u32 v12, vcc_lo, s8, v12
	v_add_co_ci_u32_e32 v13, vcc_lo, s9, v13, vcc_lo
	global_load_b64 v[12:13], v[12:13], off
	s_waitcnt vmcnt(0)
	v_sub_co_u32 v12, vcc_lo, v12, s24
	v_subrev_co_ci_u32_e32 v13, vcc_lo, 0, v13, vcc_lo
	s_delay_alu instid0(VALU_DEP_1) | instskip(SKIP_2) | instid1(VALU_DEP_2)
	v_cmp_gt_i64_e32 vcc_lo, v[12:13], v[1:2]
	v_dual_cndmask_b32 v6, v6, v8 :: v_dual_cndmask_b32 v5, v5, v7
	v_dual_cndmask_b32 v4, v8, v4 :: v_dual_cndmask_b32 v3, v7, v3
	v_add_co_u32 v7, vcc_lo, v5, -1
	s_delay_alu instid0(VALU_DEP_3) | instskip(NEXT) | instid1(VALU_DEP_3)
	v_add_co_ci_u32_e32 v8, vcc_lo, -1, v6, vcc_lo
	v_cmp_ge_i64_e32 vcc_lo, v[3:4], v[5:6]
	s_delay_alu instid0(VALU_DEP_2) | instskip(NEXT) | instid1(VALU_DEP_1)
	v_cmp_eq_u64_e64 s2, v[3:4], v[7:8]
	s_or_b32 s2, vcc_lo, s2
	s_delay_alu instid0(SALU_CYCLE_1) | instskip(NEXT) | instid1(SALU_CYCLE_1)
	s_and_b32 s2, exec_lo, s2
	s_or_b32 s28, s2, s28
	s_delay_alu instid0(SALU_CYCLE_1)
	s_and_not1_b32 exec_lo, exec_lo, s28
	s_cbranch_execnz .LBB27_49
; %bb.50:                               ;   in Loop: Header=BB27_47 Depth=1
	s_set_inst_prefetch_distance 0x2
	s_or_b32 exec_lo, exec_lo, s28
.LBB27_51:                              ;   in Loop: Header=BB27_47 Depth=1
	s_delay_alu instid0(VALU_DEP_1) | instskip(SKIP_2) | instid1(VALU_DEP_2)
	v_lshlrev_b64 v[7:8], 3, v[5:6]
	v_lshlrev_b64 v[12:13], 2, v[1:2]
	s_mov_b32 s2, exec_lo
	v_add_co_u32 v7, vcc_lo, s8, v7
	s_delay_alu instid0(VALU_DEP_3) | instskip(NEXT) | instid1(VALU_DEP_3)
	v_add_co_ci_u32_e32 v8, vcc_lo, s9, v8, vcc_lo
	v_add_co_u32 v12, vcc_lo, s10, v12
	s_delay_alu instid0(VALU_DEP_4)
	v_add_co_ci_u32_e32 v13, vcc_lo, s11, v13, vcc_lo
	global_load_b64 v[7:8], v[7:8], off
	global_load_b32 v9, v[12:13], off
	s_waitcnt vmcnt(1)
	v_sub_co_u32 v7, vcc_lo, v7, s24
	v_subrev_co_ci_u32_e32 v8, vcc_lo, 0, v8, vcc_lo
	s_delay_alu instid0(VALU_DEP_1) | instskip(SKIP_2) | instid1(VALU_DEP_1)
	v_cmp_gt_i64_e32 vcc_lo, v[7:8], v[1:2]
	s_waitcnt vmcnt(0)
	v_subrev_nc_u32_e32 v7, s24, v9
	v_ashrrev_i32_e32 v8, 31, v7
	v_dual_cndmask_b32 v4, v6, v4 :: v_dual_cndmask_b32 v3, v5, v3
	s_delay_alu instid0(VALU_DEP_1)
	v_cmpx_ne_u64_e64 v[3:4], v[7:8]
	s_cbranch_execz .LBB27_46
; %bb.52:                               ;   in Loop: Header=BB27_47 Depth=1
	v_lshlrev_b64 v[5:6], 3, v[1:2]
	v_lshlrev_b64 v[3:4], 3, v[3:4]
	v_lshlrev_b64 v[7:8], 3, v[7:8]
	s_mov_b32 s28, 0
	s_delay_alu instid0(VALU_DEP_3) | instskip(NEXT) | instid1(VALU_DEP_4)
	v_add_co_u32 v5, vcc_lo, s12, v5
	v_add_co_ci_u32_e32 v6, vcc_lo, s13, v6, vcc_lo
	s_delay_alu instid0(VALU_DEP_4)
	v_add_co_u32 v3, vcc_lo, s14, v3
	v_add_co_ci_u32_e32 v4, vcc_lo, s15, v4, vcc_lo
	global_load_b64 v[13:14], v[5:6], off
	global_load_b64 v[5:6], v[3:4], off
	v_add_co_u32 v3, vcc_lo, s20, v7
	v_add_co_ci_u32_e32 v4, vcc_lo, s21, v8, vcc_lo
	global_load_b32 v8, v[3:4], off
	s_waitcnt vmcnt(2)
	v_cndmask_b32_e64 v7, v14, -v14, s25
	s_delay_alu instid0(VALU_DEP_1) | instskip(NEXT) | instid1(VALU_DEP_1)
	v_mul_f32_e64 v12, v7, -v11
	v_dual_mul_f32 v9, v7, v10 :: v_dual_fmac_f32 v12, v10, v13
	s_delay_alu instid0(VALU_DEP_1) | instskip(SKIP_1) | instid1(VALU_DEP_1)
	v_fmac_f32_e32 v9, v11, v13
	s_waitcnt vmcnt(1)
	v_mul_f32_e64 v13, v6, -v9
	s_delay_alu instid0(VALU_DEP_1)
	v_fmac_f32_e32 v13, v12, v5
.LBB27_53:                              ;   Parent Loop BB27_47 Depth=1
                                        ; =>  This Inner Loop Header: Depth=2
	s_waitcnt vmcnt(0)
	s_delay_alu instid0(VALU_DEP_1)
	v_add_f32_e32 v7, v8, v13
	global_atomic_cmpswap_b32 v7, v[3:4], v[7:8], off glc
	s_waitcnt vmcnt(0)
	v_cmp_eq_u32_e32 vcc_lo, v7, v8
	v_mov_b32_e32 v8, v7
	s_or_b32 s28, vcc_lo, s28
	s_delay_alu instid0(SALU_CYCLE_1)
	s_and_not1_b32 exec_lo, exec_lo, s28
	s_cbranch_execnz .LBB27_53
; %bb.54:                               ;   in Loop: Header=BB27_47 Depth=1
	s_or_b32 exec_lo, exec_lo, s28
	global_load_b32 v7, v[3:4], off offset:4
	v_mul_f32_e32 v8, v6, v12
	s_mov_b32 s28, 0
	s_delay_alu instid0(VALU_DEP_1)
	v_fmac_f32_e32 v8, v9, v5
.LBB27_55:                              ;   Parent Loop BB27_47 Depth=1
                                        ; =>  This Inner Loop Header: Depth=2
	s_waitcnt vmcnt(0)
	s_delay_alu instid0(VALU_DEP_1)
	v_add_f32_e32 v6, v7, v8
	global_atomic_cmpswap_b32 v5, v[3:4], v[6:7], off offset:4 glc
	s_waitcnt vmcnt(0)
	v_cmp_eq_u32_e32 vcc_lo, v5, v7
	v_mov_b32_e32 v7, v5
	s_or_b32 s28, vcc_lo, s28
	s_delay_alu instid0(SALU_CYCLE_1)
	s_and_not1_b32 exec_lo, exec_lo, s28
	s_cbranch_execnz .LBB27_55
	s_branch .LBB27_46
.LBB27_56:
	s_or_b32 exec_lo, exec_lo, s3
	s_mov_b32 s2, 0
.LBB27_57:
	s_delay_alu instid0(SALU_CYCLE_1)
	s_and_b32 vcc_lo, exec_lo, s2
	s_cbranch_vccz .LBB27_200
; %bb.58:
	s_load_b32 s2, s[0:1], 0x6c
	s_mov_b32 s7, 0
	s_mov_b64 s[28:29], 0
	s_waitcnt lgkmcnt(0)
	s_and_b32 s6, s2, 0xffff
	s_delay_alu instid0(SALU_CYCLE_1) | instskip(NEXT) | instid1(VALU_DEP_1)
	v_cmp_lt_u64_e64 s2, s[6:7], s[22:23]
	s_and_b32 vcc_lo, exec_lo, s2
	s_cbranch_vccnz .LBB27_60
; %bb.59:
	v_cvt_f32_u32_e32 v1, s22
	s_sub_i32 s3, 0, s22
	s_delay_alu instid0(VALU_DEP_1) | instskip(SKIP_2) | instid1(VALU_DEP_1)
	v_rcp_iflag_f32_e32 v1, v1
	s_waitcnt_depctr 0xfff
	v_mul_f32_e32 v1, 0x4f7ffffe, v1
	v_cvt_u32_f32_e32 v1, v1
	s_delay_alu instid0(VALU_DEP_1) | instskip(NEXT) | instid1(VALU_DEP_1)
	v_readfirstlane_b32 s2, v1
	s_mul_i32 s3, s3, s2
	s_delay_alu instid0(SALU_CYCLE_1) | instskip(NEXT) | instid1(SALU_CYCLE_1)
	s_mul_hi_u32 s3, s2, s3
	s_add_i32 s2, s2, s3
	s_delay_alu instid0(SALU_CYCLE_1) | instskip(NEXT) | instid1(SALU_CYCLE_1)
	s_mul_hi_u32 s2, s6, s2
	s_mul_i32 s3, s2, s22
	s_add_i32 s4, s2, 1
	s_sub_i32 s3, s6, s3
	s_delay_alu instid0(SALU_CYCLE_1)
	s_sub_i32 s5, s3, s22
	s_cmp_ge_u32 s3, s22
	s_cselect_b32 s2, s4, s2
	s_cselect_b32 s3, s5, s3
	s_add_i32 s4, s2, 1
	s_cmp_ge_u32 s3, s22
	s_cselect_b32 s28, s4, s2
.LBB27_60:
	s_lshl_b64 s[2:3], s[16:17], 3
	v_sub_co_u32 v1, s7, v0, s24
	s_add_u32 s26, s8, s2
	s_addc_u32 s27, s9, s3
	s_load_b64 s[4:5], s[26:27], 0x0
	s_load_b128 s[0:3], s[0:1], 0x8
	v_sub_co_ci_u32_e64 v3, null, 0, 0, s7
	s_waitcnt lgkmcnt(0)
	v_add_co_u32 v2, vcc_lo, s4, v1
	s_delay_alu instid0(VALU_DEP_2) | instskip(SKIP_1) | instid1(VALU_DEP_3)
	v_add_co_ci_u32_e32 v3, vcc_lo, s5, v3, vcc_lo
	v_mov_b32_e32 v1, 0
	v_add_co_u32 v4, vcc_lo, 0x300, v2
	s_delay_alu instid0(VALU_DEP_3) | instskip(NEXT) | instid1(VALU_DEP_1)
	v_add_co_ci_u32_e32 v5, vcc_lo, 0, v3, vcc_lo
	v_cmp_le_i64_e32 vcc_lo, s[0:1], v[4:5]
	s_and_saveexec_b32 s0, vcc_lo
	s_delay_alu instid0(SALU_CYCLE_1)
	s_xor_b32 s7, exec_lo, s0
	s_cbranch_execnz .LBB27_63
; %bb.61:
	s_and_not1_saveexec_b32 s1, s7
	s_cbranch_execnz .LBB27_67
.LBB27_62:
	s_or_b32 exec_lo, exec_lo, s1
	s_delay_alu instid0(SALU_CYCLE_1)
	s_mov_b32 s1, exec_lo
	v_cmpx_gt_i64_e64 s[2:3], v[0:1]
	s_cbranch_execnz .LBB27_68
	s_branch .LBB27_70
.LBB27_63:
	s_lshl_b64 s[0:1], s[18:19], 3
	s_mov_b32 s29, exec_lo
	s_add_u32 s0, s8, s0
	s_addc_u32 s1, s9, s1
	s_load_b64 s[0:1], s[0:1], 0x0
	s_waitcnt lgkmcnt(0)
	s_sub_u32 s30, s0, s4
	s_subb_u32 s31, s1, s5
	s_delay_alu instid0(SALU_CYCLE_1)
	v_cmpx_gt_i64_e64 s[30:31], v[0:1]
	s_cbranch_execz .LBB27_66
; %bb.64:
	v_lshlrev_b64 v[6:7], 3, v[2:3]
	v_dual_mov_b32 v12, v18 :: v_dual_mov_b32 v9, v1
	v_mov_b32_e32 v8, v0
	s_mov_b32 s33, 0
	s_delay_alu instid0(VALU_DEP_3) | instskip(NEXT) | instid1(VALU_DEP_1)
	v_add_co_u32 v6, s0, v6, s12
	v_add_co_ci_u32_e64 v7, s0, s13, v7, s0
	s_delay_alu instid0(VALU_DEP_2) | instskip(NEXT) | instid1(VALU_DEP_1)
	v_add_co_u32 v6, s0, v6, 4
	v_add_co_ci_u32_e64 v7, s0, 0, v7, s0
	.p2align	6
.LBB27_65:                              ; =>This Inner Loop Header: Depth=1
	global_load_b64 v[13:14], v[6:7], off offset:-4
	v_add_co_u32 v8, s0, 0x100, v8
	s_delay_alu instid0(VALU_DEP_1) | instskip(SKIP_1) | instid1(VALU_DEP_1)
	v_add_co_ci_u32_e64 v9, s0, 0, v9, s0
	v_add_co_u32 v6, s0, 0x800, v6
	v_add_co_ci_u32_e64 v7, s0, 0, v7, s0
	s_delay_alu instid0(VALU_DEP_3) | instskip(NEXT) | instid1(VALU_DEP_1)
	v_cmp_le_i64_e64 s1, s[30:31], v[8:9]
	s_or_b32 s33, s1, s33
	s_waitcnt vmcnt(0)
	v_cndmask_b32_e64 v15, v14, -v14, s25
	s_delay_alu instid0(VALU_DEP_1) | instskip(NEXT) | instid1(VALU_DEP_1)
	v_mul_f32_e64 v14, v15, -v11
	v_dual_mul_f32 v15, v15, v10 :: v_dual_fmac_f32 v14, v10, v13
	s_delay_alu instid0(VALU_DEP_1)
	v_fmac_f32_e32 v15, v11, v13
	ds_store_b64 v12, v[14:15]
	v_add_nc_u32_e32 v12, 0x800, v12
	s_and_not1_b32 exec_lo, exec_lo, s33
	s_cbranch_execnz .LBB27_65
.LBB27_66:
	s_or_b32 exec_lo, exec_lo, s29
                                        ; implicit-def: $vgpr11
                                        ; implicit-def: $vgpr10
	s_and_not1_saveexec_b32 s1, s7
	s_cbranch_execz .LBB27_62
.LBB27_67:
	v_lshlrev_b64 v[6:7], 3, v[2:3]
	s_delay_alu instid0(VALU_DEP_1) | instskip(NEXT) | instid1(VALU_DEP_1)
	v_add_co_u32 v6, s0, s12, v6
	v_add_co_ci_u32_e64 v7, s0, s13, v7, s0
	s_clause 0x1
	global_load_b64 v[8:9], v[6:7], off
	global_load_b64 v[12:13], v[6:7], off offset:2048
	v_add_co_u32 v6, s0, 0x1000, v6
	s_delay_alu instid0(VALU_DEP_1)
	v_add_co_ci_u32_e64 v7, s0, 0, v7, s0
	s_clause 0x1
	global_load_b64 v[14:15], v[6:7], off
	global_load_b64 v[6:7], v[6:7], off offset:2048
	s_waitcnt vmcnt(3)
	v_cndmask_b32_e64 v9, v9, -v9, s25
	s_waitcnt vmcnt(2)
	v_cndmask_b32_e64 v13, v13, -v13, s25
	s_delay_alu instid0(VALU_DEP_2) | instskip(SKIP_1) | instid1(VALU_DEP_3)
	v_mul_f32_e64 v16, v9, -v11
	v_mul_f32_e32 v17, v9, v10
	v_mul_f32_e64 v19, v13, -v11
	s_waitcnt vmcnt(1)
	v_cndmask_b32_e64 v9, v15, -v15, s25
	v_fmac_f32_e32 v16, v10, v8
	v_dual_mul_f32 v20, v13, v10 :: v_dual_fmac_f32 v17, v11, v8
	s_waitcnt vmcnt(0)
	v_cndmask_b32_e64 v13, v7, -v7, s25
	v_dual_fmac_f32 v19, v10, v12 :: v_dual_mul_f32 v8, v9, v10
	v_mul_f32_e64 v7, v9, -v11
	v_fmac_f32_e32 v20, v11, v12
	s_delay_alu instid0(VALU_DEP_4) | instskip(SKIP_3) | instid1(VALU_DEP_4)
	v_mul_f32_e64 v21, v13, -v11
	v_mul_f32_e32 v22, v13, v10
	v_fmac_f32_e32 v8, v11, v14
	v_fmac_f32_e32 v7, v10, v14
	;; [unrolled: 1-line block ×3, first 2 shown]
	s_delay_alu instid0(VALU_DEP_4) | instskip(SKIP_3) | instid1(SALU_CYCLE_1)
	v_fmac_f32_e32 v22, v11, v6
	ds_store_2addr_stride64_b64 v18, v[16:17], v[19:20] offset1:4
	ds_store_2addr_stride64_b64 v18, v[7:8], v[21:22] offset0:8 offset1:12
	s_or_b32 exec_lo, exec_lo, s1
	s_mov_b32 s1, exec_lo
	v_cmpx_gt_i64_e64 s[2:3], v[0:1]
	s_cbranch_execz .LBB27_70
.LBB27_68:
	v_mov_b32_e32 v7, v1
	v_lshl_add_u32 v8, v0, 3, 0x2000
	v_dual_mov_b32 v9, 0 :: v_dual_mov_b32 v6, v0
	s_mov_b32 s7, 0
.LBB27_69:                              ; =>This Inner Loop Header: Depth=1
	s_delay_alu instid0(VALU_DEP_1) | instskip(NEXT) | instid1(VALU_DEP_1)
	v_add_co_u32 v6, s0, 0x100, v6
	v_add_co_ci_u32_e64 v7, s0, 0, v7, s0
	ds_store_2addr_b32 v8, v9, v9 offset1:1
	v_add_nc_u32_e32 v8, 0x800, v8
	v_cmp_le_i64_e64 s0, s[2:3], v[6:7]
	s_delay_alu instid0(VALU_DEP_1) | instskip(NEXT) | instid1(SALU_CYCLE_1)
	s_or_b32 s7, s0, s7
	s_and_not1_b32 exec_lo, exec_lo, s7
	s_cbranch_execnz .LBB27_69
.LBB27_70:
	s_or_b32 exec_lo, exec_lo, s1
	v_cmp_ge_i64_e64 s0, s[18:19], s[2:3]
	s_sub_u32 s1, s18, s2
	s_subb_u32 s7, s19, s3
	s_waitcnt lgkmcnt(0)
	s_barrier
	buffer_gl0_inv
	s_and_b32 s0, s0, exec_lo
	s_cselect_b32 s13, s7, 0
	s_cselect_b32 s12, s1, 0
	s_and_saveexec_b32 s0, vcc_lo
	s_delay_alu instid0(SALU_CYCLE_1)
	s_xor_b32 s7, exec_lo, s0
	s_cbranch_execz .LBB27_91
; %bb.71:
	s_lshl_b64 s[0:1], s[18:19], 3
	s_mov_b32 s25, exec_lo
	s_add_u32 s0, s8, s0
	s_addc_u32 s1, s9, s1
	s_load_b64 s[0:1], s[0:1], 0x0
	s_waitcnt lgkmcnt(0)
	s_sub_u32 s30, s0, s4
	s_subb_u32 s31, s1, s5
	s_delay_alu instid0(SALU_CYCLE_1)
	v_cmpx_gt_i64_e64 s[30:31], v[0:1]
	s_cbranch_execz .LBB27_90
; %bb.72:
	s_add_u32 s34, s18, -1
	s_addc_u32 s35, s19, -1
	s_add_u32 s36, s18, -2
	v_cmp_gt_i64_e64 s29, s[34:35], s[16:17]
	s_addc_u32 s37, s19, -1
	s_mov_b64 s[38:39], 0
	s_cmp_lg_u64 s[36:37], s[16:17]
	s_cselect_b32 s33, -1, 0
	s_delay_alu instid0(VALU_DEP_1) | instid1(SALU_CYCLE_1)
	s_and_b32 s29, s29, s33
	s_sub_u32 s36, s0, s24
	s_subb_u32 s37, s1, 0
	s_mov_b32 s1, 0
	s_branch .LBB27_75
.LBB27_73:                              ;   in Loop: Header=BB27_75 Depth=1
	s_or_b32 exec_lo, exec_lo, s0
.LBB27_74:                              ;   in Loop: Header=BB27_75 Depth=1
	s_delay_alu instid0(SALU_CYCLE_1) | instskip(SKIP_4) | instid1(VALU_DEP_1)
	s_or_b32 exec_lo, exec_lo, s33
	v_lshlrev_b64 v[4:5], 3, v[4:5]
	s_add_u32 s38, s38, 0x100
	s_addc_u32 s39, s39, 0
	v_add_co_u32 v7, s0, s38, v0
	v_add_co_ci_u32_e64 v8, null, s39, 0, s0
	s_delay_alu instid0(VALU_DEP_3) | instskip(SKIP_1) | instid1(VALU_DEP_3)
	v_add_co_u32 v4, vcc_lo, s14, v4
	v_add_co_ci_u32_e32 v5, vcc_lo, s15, v5, vcc_lo
	v_cmp_le_i64_e32 vcc_lo, s[30:31], v[7:8]
	global_load_b64 v[4:5], v[4:5], off
	s_or_b32 s1, vcc_lo, s1
	s_waitcnt vmcnt(0) lgkmcnt(0)
	v_mul_f32_e32 v10, v5, v6
	v_lshlrev_b32_e32 v11, 3, v14
	ds_load_b32 v12, v11 offset:4
	s_waitcnt lgkmcnt(0)
	v_mul_f32_e64 v9, v5, -v12
	s_delay_alu instid0(VALU_DEP_1)
	v_fmac_f32_e32 v9, v6, v4
	v_fmac_f32_e32 v10, v12, v4
	ds_store_b64 v11, v[9:10]
	s_and_not1_b32 exec_lo, exec_lo, s1
	s_cbranch_execz .LBB27_90
.LBB27_75:                              ; =>This Loop Header: Depth=1
                                        ;     Child Loop BB27_77 Depth 2
                                        ;     Child Loop BB27_84 Depth 2
	;; [unrolled: 1-line block ×3, first 2 shown]
	v_add_co_u32 v6, vcc_lo, s38, v2
	v_add_co_ci_u32_e32 v7, vcc_lo, s39, v3, vcc_lo
	v_dual_mov_b32 v8, s16 :: v_dual_mov_b32 v9, s17
	v_dual_mov_b32 v10, s34 :: v_dual_mov_b32 v11, s35
	s_and_not1_b32 vcc_lo, exec_lo, s29
	s_cbranch_vccnz .LBB27_79
; %bb.76:                               ;   in Loop: Header=BB27_75 Depth=1
	v_dual_mov_b32 v8, s16 :: v_dual_mov_b32 v9, s17
	v_dual_mov_b32 v10, s34 :: v_dual_mov_b32 v11, s35
	s_mov_b32 s33, 0
	s_set_inst_prefetch_distance 0x1
	.p2align	6
.LBB27_77:                              ;   Parent Loop BB27_75 Depth=1
                                        ; =>  This Inner Loop Header: Depth=2
	s_delay_alu instid0(VALU_DEP_1) | instskip(NEXT) | instid1(VALU_DEP_2)
	v_add_co_u32 v4, vcc_lo, v10, v8
	v_add_co_ci_u32_e32 v5, vcc_lo, v11, v9, vcc_lo
	s_delay_alu instid0(VALU_DEP_1) | instskip(NEXT) | instid1(VALU_DEP_1)
	v_lshrrev_b32_e32 v12, 31, v5
	v_add_co_u32 v4, vcc_lo, v4, v12
	v_add_co_ci_u32_e32 v5, vcc_lo, 0, v5, vcc_lo
	s_delay_alu instid0(VALU_DEP_1) | instskip(NEXT) | instid1(VALU_DEP_1)
	v_ashrrev_i64 v[4:5], 1, v[4:5]
	v_lshlrev_b64 v[12:13], 3, v[4:5]
	s_delay_alu instid0(VALU_DEP_1) | instskip(NEXT) | instid1(VALU_DEP_2)
	v_add_co_u32 v12, vcc_lo, s8, v12
	v_add_co_ci_u32_e32 v13, vcc_lo, s9, v13, vcc_lo
	global_load_b64 v[12:13], v[12:13], off
	s_waitcnt vmcnt(0)
	v_sub_co_u32 v12, vcc_lo, v12, s24
	v_subrev_co_ci_u32_e32 v13, vcc_lo, 0, v13, vcc_lo
	s_delay_alu instid0(VALU_DEP_1) | instskip(SKIP_2) | instid1(VALU_DEP_2)
	v_cmp_gt_i64_e32 vcc_lo, v[12:13], v[6:7]
	v_dual_cndmask_b32 v11, v11, v5 :: v_dual_cndmask_b32 v10, v10, v4
	v_dual_cndmask_b32 v9, v5, v9 :: v_dual_cndmask_b32 v8, v4, v8
	v_add_co_u32 v4, vcc_lo, v10, -1
	s_delay_alu instid0(VALU_DEP_3) | instskip(NEXT) | instid1(VALU_DEP_3)
	v_add_co_ci_u32_e32 v5, vcc_lo, -1, v11, vcc_lo
	v_cmp_ge_i64_e32 vcc_lo, v[8:9], v[10:11]
	s_delay_alu instid0(VALU_DEP_2) | instskip(NEXT) | instid1(VALU_DEP_1)
	v_cmp_eq_u64_e64 s0, v[8:9], v[4:5]
	s_or_b32 s0, vcc_lo, s0
	s_delay_alu instid0(SALU_CYCLE_1) | instskip(NEXT) | instid1(SALU_CYCLE_1)
	s_and_b32 s0, exec_lo, s0
	s_or_b32 s33, s0, s33
	s_delay_alu instid0(SALU_CYCLE_1)
	s_and_not1_b32 exec_lo, exec_lo, s33
	s_cbranch_execnz .LBB27_77
; %bb.78:                               ;   in Loop: Header=BB27_75 Depth=1
	s_set_inst_prefetch_distance 0x2
	s_or_b32 exec_lo, exec_lo, s33
.LBB27_79:                              ;   in Loop: Header=BB27_75 Depth=1
	s_delay_alu instid0(VALU_DEP_1) | instskip(SKIP_2) | instid1(VALU_DEP_3)
	v_lshlrev_b64 v[4:5], 3, v[10:11]
	v_lshlrev_b64 v[12:13], 2, v[6:7]
	v_cmp_le_i64_e64 s0, s[36:37], v[6:7]
	v_add_co_u32 v4, vcc_lo, s8, v4
	s_delay_alu instid0(VALU_DEP_4) | instskip(NEXT) | instid1(VALU_DEP_4)
	v_add_co_ci_u32_e32 v5, vcc_lo, s9, v5, vcc_lo
	v_add_co_u32 v12, vcc_lo, s10, v12
	v_add_co_ci_u32_e32 v13, vcc_lo, s11, v13, vcc_lo
	global_load_b64 v[4:5], v[4:5], off
	global_load_b32 v14, v[12:13], off
	s_waitcnt vmcnt(1)
	v_sub_co_u32 v12, vcc_lo, v4, s24
	v_subrev_co_ci_u32_e32 v13, vcc_lo, 0, v5, vcc_lo
	s_waitcnt vmcnt(0)
	v_subrev_nc_u32_e32 v4, s24, v14
	v_add_co_u32 v14, null, s38, v0
	s_delay_alu instid0(VALU_DEP_3) | instskip(NEXT) | instid1(VALU_DEP_3)
	v_cmp_gt_i64_e32 vcc_lo, v[12:13], v[6:7]
                                        ; implicit-def: $vgpr6
	v_ashrrev_i32_e32 v5, 31, v4
	s_delay_alu instid0(VALU_DEP_3) | instskip(SKIP_1) | instid1(VALU_DEP_1)
	v_dual_cndmask_b32 v9, v11, v9 :: v_dual_lshlrev_b32 v12, 3, v14
	v_cndmask_b32_e32 v8, v10, v8, vcc_lo
	v_cmp_eq_u64_e32 vcc_lo, v[8:9], v[4:5]
	s_or_b32 s0, vcc_lo, s0
	s_delay_alu instid0(SALU_CYCLE_1) | instskip(NEXT) | instid1(SALU_CYCLE_1)
	s_and_saveexec_b32 s33, s0
	s_xor_b32 s0, exec_lo, s33
	s_cbranch_execz .LBB27_81
; %bb.80:                               ;   in Loop: Header=BB27_75 Depth=1
	ds_load_b32 v6, v12
                                        ; implicit-def: $vgpr12
                                        ; implicit-def: $vgpr8_vgpr9
.LBB27_81:                              ;   in Loop: Header=BB27_75 Depth=1
	s_and_not1_saveexec_b32 s33, s0
	s_cbranch_execz .LBB27_74
; %bb.82:                               ;   in Loop: Header=BB27_75 Depth=1
	v_cmp_gt_i64_e32 vcc_lo, s[12:13], v[4:5]
	v_cmp_le_i64_e64 s0, s[18:19], v[4:5]
	v_lshlrev_b64 v[7:8], 3, v[8:9]
                                        ; implicit-def: $vgpr6
	s_delay_alu instid0(VALU_DEP_2) | instskip(NEXT) | instid1(SALU_CYCLE_1)
	s_or_b32 s0, vcc_lo, s0
	s_and_saveexec_b32 s40, s0
	s_delay_alu instid0(SALU_CYCLE_1)
	s_xor_b32 s0, exec_lo, s40
	s_cbranch_execz .LBB27_88
; %bb.83:                               ;   in Loop: Header=BB27_75 Depth=1
	s_waitcnt lgkmcnt(0)
	v_add_co_u32 v6, vcc_lo, s14, v7
	v_add_co_ci_u32_e32 v7, vcc_lo, s15, v8, vcc_lo
	v_lshlrev_b64 v[8:9], 3, v[4:5]
	s_mov_b32 s40, 0
	global_load_b64 v[10:11], v[6:7], off
	ds_load_b64 v[6:7], v12
	v_add_co_u32 v8, vcc_lo, s20, v8
	v_add_co_ci_u32_e32 v9, vcc_lo, s21, v9, vcc_lo
	global_load_b32 v13, v[8:9], off
	s_waitcnt vmcnt(1) lgkmcnt(0)
	v_mul_f32_e64 v15, v11, -v7
	s_delay_alu instid0(VALU_DEP_1)
	v_fmac_f32_e32 v15, v6, v10
.LBB27_84:                              ;   Parent Loop BB27_75 Depth=1
                                        ; =>  This Inner Loop Header: Depth=2
	s_waitcnt vmcnt(0)
	s_delay_alu instid0(VALU_DEP_1)
	v_add_f32_e32 v12, v13, v15
	global_atomic_cmpswap_b32 v12, v[8:9], v[12:13], off glc
	s_waitcnt vmcnt(0)
	v_cmp_eq_u32_e32 vcc_lo, v12, v13
	v_mov_b32_e32 v13, v12
	s_or_b32 s40, vcc_lo, s40
	s_delay_alu instid0(SALU_CYCLE_1)
	s_and_not1_b32 exec_lo, exec_lo, s40
	s_cbranch_execnz .LBB27_84
; %bb.85:                               ;   in Loop: Header=BB27_75 Depth=1
	s_or_b32 exec_lo, exec_lo, s40
	global_load_b32 v12, v[8:9], off offset:4
	v_mul_f32_e32 v13, v11, v6
	s_mov_b32 s40, 0
	s_delay_alu instid0(VALU_DEP_1)
	v_fmac_f32_e32 v13, v7, v10
.LBB27_86:                              ;   Parent Loop BB27_75 Depth=1
                                        ; =>  This Inner Loop Header: Depth=2
	s_waitcnt vmcnt(0)
	s_delay_alu instid0(VALU_DEP_1)
	v_add_f32_e32 v11, v12, v13
	global_atomic_cmpswap_b32 v7, v[8:9], v[11:12], off offset:4 glc
	s_waitcnt vmcnt(0)
	v_cmp_eq_u32_e32 vcc_lo, v7, v12
	v_mov_b32_e32 v12, v7
	s_or_b32 s40, vcc_lo, s40
	s_delay_alu instid0(SALU_CYCLE_1)
	s_and_not1_b32 exec_lo, exec_lo, s40
	s_cbranch_execnz .LBB27_86
; %bb.87:                               ;   in Loop: Header=BB27_75 Depth=1
	s_or_b32 exec_lo, exec_lo, s40
                                        ; implicit-def: $vgpr7_vgpr8
                                        ; implicit-def: $vgpr12
.LBB27_88:                              ;   in Loop: Header=BB27_75 Depth=1
	s_and_not1_saveexec_b32 s0, s0
	s_cbranch_execz .LBB27_73
; %bb.89:                               ;   in Loop: Header=BB27_75 Depth=1
	s_waitcnt lgkmcnt(0)
	v_add_co_u32 v6, vcc_lo, s14, v7
	v_add_co_ci_u32_e32 v7, vcc_lo, s15, v8, vcc_lo
	v_subrev_nc_u32_e32 v10, s12, v4
	global_load_b64 v[8:9], v[6:7], off
	ds_load_b64 v[6:7], v12
	v_lshl_add_u32 v10, v10, 3, 0x2000
	s_waitcnt vmcnt(0) lgkmcnt(0)
	v_mul_f32_e64 v11, v9, -v7
	v_mul_f32_e32 v9, v9, v6
	s_delay_alu instid0(VALU_DEP_2) | instskip(NEXT) | instid1(VALU_DEP_2)
	v_fmac_f32_e32 v11, v6, v8
	v_fmac_f32_e32 v9, v7, v8
	ds_add_f32 v10, v11
	ds_add_f32 v10, v9 offset:4
	s_branch .LBB27_73
.LBB27_90:
	s_or_b32 exec_lo, exec_lo, s25
                                        ; implicit-def: $vgpr4_vgpr5
                                        ; implicit-def: $vgpr2
.LBB27_91:
	s_and_not1_saveexec_b32 s1, s7
	s_cbranch_execz .LBB27_149
; %bb.92:
	s_add_u32 s30, s18, -1
	s_addc_u32 s31, s19, -1
	s_add_u32 s34, s18, -2
	v_cmp_le_i64_e64 s0, s[30:31], s[16:17]
	s_addc_u32 s35, s19, -1
	v_dual_mov_b32 v9, s16 :: v_dual_mov_b32 v10, s17
	s_cmp_eq_u64 s[34:35], s[16:17]
	v_dual_mov_b32 v11, s30 :: v_dual_mov_b32 v12, s31
	s_cselect_b32 s7, -1, 0
	s_delay_alu instid0(SALU_CYCLE_1) | instskip(NEXT) | instid1(SALU_CYCLE_1)
	s_or_b32 s7, s0, s7
	s_and_b32 vcc_lo, exec_lo, s7
	s_cbranch_vccnz .LBB27_96
; %bb.93:
	v_dual_mov_b32 v9, s16 :: v_dual_mov_b32 v10, s17
	v_dual_mov_b32 v11, s30 :: v_dual_mov_b32 v12, s31
	s_mov_b32 s25, 0
	s_set_inst_prefetch_distance 0x1
	.p2align	6
.LBB27_94:                              ; =>This Inner Loop Header: Depth=1
	s_delay_alu instid0(VALU_DEP_1) | instskip(NEXT) | instid1(VALU_DEP_2)
	v_add_co_u32 v6, vcc_lo, v11, v9
	v_add_co_ci_u32_e32 v7, vcc_lo, v12, v10, vcc_lo
	s_delay_alu instid0(VALU_DEP_1) | instskip(NEXT) | instid1(VALU_DEP_1)
	v_lshrrev_b32_e32 v8, 31, v7
	v_add_co_u32 v6, vcc_lo, v6, v8
	v_add_co_ci_u32_e32 v7, vcc_lo, 0, v7, vcc_lo
	s_delay_alu instid0(VALU_DEP_1) | instskip(NEXT) | instid1(VALU_DEP_1)
	v_ashrrev_i64 v[6:7], 1, v[6:7]
	v_lshlrev_b64 v[13:14], 3, v[6:7]
	s_delay_alu instid0(VALU_DEP_1) | instskip(NEXT) | instid1(VALU_DEP_2)
	v_add_co_u32 v13, vcc_lo, s8, v13
	v_add_co_ci_u32_e32 v14, vcc_lo, s9, v14, vcc_lo
	global_load_b64 v[13:14], v[13:14], off
	s_waitcnt vmcnt(0)
	v_sub_co_u32 v13, vcc_lo, v13, s24
	v_subrev_co_ci_u32_e32 v14, vcc_lo, 0, v14, vcc_lo
	s_delay_alu instid0(VALU_DEP_1) | instskip(SKIP_2) | instid1(VALU_DEP_2)
	v_cmp_gt_i64_e32 vcc_lo, v[13:14], v[2:3]
	v_dual_cndmask_b32 v12, v12, v7 :: v_dual_cndmask_b32 v11, v11, v6
	v_dual_cndmask_b32 v10, v7, v10 :: v_dual_cndmask_b32 v9, v6, v9
	v_add_co_u32 v6, vcc_lo, v11, -1
	s_delay_alu instid0(VALU_DEP_3) | instskip(NEXT) | instid1(VALU_DEP_3)
	v_add_co_ci_u32_e32 v7, vcc_lo, -1, v12, vcc_lo
	v_cmp_ge_i64_e32 vcc_lo, v[9:10], v[11:12]
	s_delay_alu instid0(VALU_DEP_2) | instskip(NEXT) | instid1(VALU_DEP_1)
	v_cmp_eq_u64_e64 s0, v[9:10], v[6:7]
	s_or_b32 s0, vcc_lo, s0
	s_delay_alu instid0(SALU_CYCLE_1) | instskip(NEXT) | instid1(SALU_CYCLE_1)
	s_and_b32 s0, exec_lo, s0
	s_or_b32 s25, s0, s25
	s_delay_alu instid0(SALU_CYCLE_1)
	s_and_not1_b32 exec_lo, exec_lo, s25
	s_cbranch_execnz .LBB27_94
; %bb.95:
	s_set_inst_prefetch_distance 0x2
	s_or_b32 exec_lo, exec_lo, s25
.LBB27_96:
	v_lshlrev_b64 v[6:7], 3, v[11:12]
	v_lshlrev_b64 v[13:14], 2, v[2:3]
	s_xor_b32 s7, s7, -1
	s_mov_b32 s25, exec_lo
	s_delay_alu instid0(VALU_DEP_2) | instskip(NEXT) | instid1(VALU_DEP_3)
	v_add_co_u32 v6, vcc_lo, s8, v6
	v_add_co_ci_u32_e32 v7, vcc_lo, s9, v7, vcc_lo
	global_load_b64 v[15:16], v[6:7], off
	v_add_co_u32 v6, vcc_lo, s10, v13
	v_add_co_ci_u32_e32 v7, vcc_lo, s11, v14, vcc_lo
	s_lshl_b64 s[10:11], s[18:19], 3
	s_delay_alu instid0(SALU_CYCLE_1)
	s_add_u32 s10, s8, s10
	global_load_b32 v8, v[6:7], off
	s_addc_u32 s11, s9, s11
	s_waitcnt vmcnt(1)
	v_sub_co_u32 v13, vcc_lo, v15, s24
	v_subrev_co_ci_u32_e32 v14, vcc_lo, 0, v16, vcc_lo
	s_delay_alu instid0(VALU_DEP_1) | instskip(SKIP_3) | instid1(VALU_DEP_2)
	v_cmp_gt_i64_e32 vcc_lo, v[13:14], v[2:3]
	s_waitcnt vmcnt(0)
	v_subrev_nc_u32_e32 v8, s24, v8
	v_dual_cndmask_b32 v12, v12, v10 :: v_dual_cndmask_b32 v11, v11, v9
	v_ashrrev_i32_e32 v9, 31, v8
	s_delay_alu instid0(VALU_DEP_1)
	v_cmpx_ne_u64_e64 v[11:12], v[8:9]
	s_cbranch_execz .LBB27_106
; %bb.97:
	s_load_b64 s[34:35], s[10:11], 0x0
	s_waitcnt lgkmcnt(0)
	s_sub_u32 s34, s34, s24
	s_subb_u32 s35, s35, 0
	s_delay_alu instid0(SALU_CYCLE_1)
	v_cmp_gt_i64_e32 vcc_lo, s[34:35], v[2:3]
	s_and_b32 exec_lo, exec_lo, vcc_lo
	s_cbranch_execz .LBB27_106
; %bb.98:
	v_cmp_gt_i64_e32 vcc_lo, s[12:13], v[8:9]
	v_cmp_le_i64_e64 s0, s[18:19], v[8:9]
	v_lshlrev_b64 v[10:11], 3, v[11:12]
	s_delay_alu instid0(VALU_DEP_2) | instskip(NEXT) | instid1(SALU_CYCLE_1)
	s_or_b32 s0, vcc_lo, s0
	s_and_saveexec_b32 s29, s0
	s_delay_alu instid0(SALU_CYCLE_1)
	s_xor_b32 s0, exec_lo, s29
	s_cbranch_execz .LBB27_104
; %bb.99:
	s_delay_alu instid0(VALU_DEP_1)
	v_add_co_u32 v10, vcc_lo, s14, v10
	v_add_co_ci_u32_e32 v11, vcc_lo, s15, v11, vcc_lo
	v_lshlrev_b64 v[14:15], 3, v[8:9]
	s_mov_b32 s29, 0
	global_load_b64 v[12:13], v[10:11], off
	v_add_co_u32 v10, vcc_lo, s20, v14
	v_add_co_ci_u32_e32 v11, vcc_lo, s21, v15, vcc_lo
	ds_load_b64 v[14:15], v18
	global_load_b32 v17, v[10:11], off
	s_waitcnt vmcnt(1) lgkmcnt(0)
	v_mul_f32_e64 v19, v13, -v15
	s_delay_alu instid0(VALU_DEP_1)
	v_fmac_f32_e32 v19, v14, v12
.LBB27_100:                             ; =>This Inner Loop Header: Depth=1
	s_waitcnt vmcnt(0)
	s_delay_alu instid0(VALU_DEP_1)
	v_add_f32_e32 v16, v17, v19
	global_atomic_cmpswap_b32 v16, v[10:11], v[16:17], off glc
	s_waitcnt vmcnt(0)
	v_cmp_eq_u32_e32 vcc_lo, v16, v17
	v_mov_b32_e32 v17, v16
	s_or_b32 s29, vcc_lo, s29
	s_delay_alu instid0(SALU_CYCLE_1)
	s_and_not1_b32 exec_lo, exec_lo, s29
	s_cbranch_execnz .LBB27_100
; %bb.101:
	s_or_b32 exec_lo, exec_lo, s29
	global_load_b32 v16, v[10:11], off offset:4
	v_mul_f32_e32 v13, v13, v14
	s_mov_b32 s29, 0
	s_delay_alu instid0(VALU_DEP_1)
	v_fmac_f32_e32 v13, v15, v12
.LBB27_102:                             ; =>This Inner Loop Header: Depth=1
	s_waitcnt vmcnt(0)
	s_delay_alu instid0(VALU_DEP_1)
	v_add_f32_e32 v15, v16, v13
	global_atomic_cmpswap_b32 v12, v[10:11], v[15:16], off offset:4 glc
	s_waitcnt vmcnt(0)
	v_cmp_eq_u32_e32 vcc_lo, v12, v16
	v_mov_b32_e32 v16, v12
	s_or_b32 s29, vcc_lo, s29
	s_delay_alu instid0(SALU_CYCLE_1)
	s_and_not1_b32 exec_lo, exec_lo, s29
	s_cbranch_execnz .LBB27_102
; %bb.103:
	s_or_b32 exec_lo, exec_lo, s29
                                        ; implicit-def: $vgpr10_vgpr11
.LBB27_104:
	s_and_not1_saveexec_b32 s0, s0
	s_cbranch_execz .LBB27_106
; %bb.105:
	v_add_co_u32 v10, vcc_lo, s14, v10
	v_add_co_ci_u32_e32 v11, vcc_lo, s15, v11, vcc_lo
	ds_load_b64 v[12:13], v18
	v_subrev_nc_u32_e32 v14, s12, v8
	global_load_b64 v[10:11], v[10:11], off
	v_lshl_add_u32 v14, v14, 3, 0x2000
	s_waitcnt vmcnt(0) lgkmcnt(0)
	v_mul_f32_e64 v15, v11, -v13
	v_mul_f32_e32 v11, v11, v12
	s_delay_alu instid0(VALU_DEP_2) | instskip(NEXT) | instid1(VALU_DEP_2)
	v_fmac_f32_e32 v15, v12, v10
	v_fmac_f32_e32 v11, v13, v10
	ds_add_f32 v14, v15
	ds_add_f32 v14, v11 offset:4
.LBB27_106:
	s_or_b32 exec_lo, exec_lo, s25
	v_lshlrev_b64 v[8:9], 3, v[8:9]
	ds_load_b64 v[12:13], v18
	v_cndmask_b32_e64 v19, 0, 1, s7
	v_dual_mov_b32 v14, s30 :: v_dual_mov_b32 v15, s31
	v_add_co_u32 v8, vcc_lo, s14, v8
	v_add_co_ci_u32_e32 v9, vcc_lo, s15, v9, vcc_lo
	v_add_co_u32 v10, vcc_lo, 0x100, v2
	v_add_co_ci_u32_e32 v11, vcc_lo, 0, v3, vcc_lo
	global_load_b64 v[8:9], v[8:9], off
	s_and_not1_b32 vcc_lo, exec_lo, s7
	s_waitcnt vmcnt(0) lgkmcnt(0)
	v_mul_f32_e64 v16, v9, -v13
	v_mul_f32_e32 v17, v9, v12
	s_delay_alu instid0(VALU_DEP_2) | instskip(NEXT) | instid1(VALU_DEP_2)
	v_fmac_f32_e32 v16, v12, v8
	v_dual_fmac_f32 v17, v13, v8 :: v_dual_mov_b32 v12, s16
	v_mov_b32_e32 v13, s17
	ds_store_b64 v18, v[16:17]
	s_cbranch_vccnz .LBB27_110
; %bb.107:
	v_dual_mov_b32 v12, s16 :: v_dual_mov_b32 v13, s17
	v_dual_mov_b32 v14, s30 :: v_dual_mov_b32 v15, s31
	s_mov_b32 s7, 0
	s_set_inst_prefetch_distance 0x1
	.p2align	6
.LBB27_108:                             ; =>This Inner Loop Header: Depth=1
	s_delay_alu instid0(VALU_DEP_1) | instskip(NEXT) | instid1(VALU_DEP_2)
	v_add_co_u32 v8, vcc_lo, v14, v12
	v_add_co_ci_u32_e32 v9, vcc_lo, v15, v13, vcc_lo
	s_delay_alu instid0(VALU_DEP_1) | instskip(NEXT) | instid1(VALU_DEP_1)
	v_lshrrev_b32_e32 v16, 31, v9
	v_add_co_u32 v8, vcc_lo, v8, v16
	v_add_co_ci_u32_e32 v9, vcc_lo, 0, v9, vcc_lo
	s_delay_alu instid0(VALU_DEP_1) | instskip(NEXT) | instid1(VALU_DEP_1)
	v_ashrrev_i64 v[8:9], 1, v[8:9]
	v_lshlrev_b64 v[16:17], 3, v[8:9]
	s_delay_alu instid0(VALU_DEP_1) | instskip(NEXT) | instid1(VALU_DEP_2)
	v_add_co_u32 v16, vcc_lo, s8, v16
	v_add_co_ci_u32_e32 v17, vcc_lo, s9, v17, vcc_lo
	global_load_b64 v[16:17], v[16:17], off
	s_waitcnt vmcnt(0)
	v_sub_co_u32 v16, vcc_lo, v16, s24
	v_subrev_co_ci_u32_e32 v17, vcc_lo, 0, v17, vcc_lo
	s_delay_alu instid0(VALU_DEP_1) | instskip(SKIP_2) | instid1(VALU_DEP_2)
	v_cmp_gt_i64_e32 vcc_lo, v[16:17], v[10:11]
	v_dual_cndmask_b32 v15, v15, v9 :: v_dual_cndmask_b32 v14, v14, v8
	v_dual_cndmask_b32 v13, v9, v13 :: v_dual_cndmask_b32 v12, v8, v12
	v_add_co_u32 v8, vcc_lo, v14, -1
	s_delay_alu instid0(VALU_DEP_3) | instskip(NEXT) | instid1(VALU_DEP_3)
	v_add_co_ci_u32_e32 v9, vcc_lo, -1, v15, vcc_lo
	v_cmp_ge_i64_e32 vcc_lo, v[12:13], v[14:15]
	s_delay_alu instid0(VALU_DEP_2) | instskip(NEXT) | instid1(VALU_DEP_1)
	v_cmp_eq_u64_e64 s0, v[12:13], v[8:9]
	s_or_b32 s0, vcc_lo, s0
	s_delay_alu instid0(SALU_CYCLE_1) | instskip(NEXT) | instid1(SALU_CYCLE_1)
	s_and_b32 s0, exec_lo, s0
	s_or_b32 s7, s0, s7
	s_delay_alu instid0(SALU_CYCLE_1)
	s_and_not1_b32 exec_lo, exec_lo, s7
	s_cbranch_execnz .LBB27_108
; %bb.109:
	s_set_inst_prefetch_distance 0x2
	s_or_b32 exec_lo, exec_lo, s7
.LBB27_110:
	v_lshlrev_b64 v[8:9], 3, v[14:15]
	s_mov_b32 s7, exec_lo
	s_delay_alu instid0(VALU_DEP_1) | instskip(NEXT) | instid1(VALU_DEP_2)
	v_add_co_u32 v8, vcc_lo, s8, v8
	v_add_co_ci_u32_e32 v9, vcc_lo, s9, v9, vcc_lo
	global_load_b64 v[8:9], v[8:9], off
	global_load_b32 v16, v[6:7], off offset:1024
	s_waitcnt vmcnt(1)
	v_sub_co_u32 v8, vcc_lo, v8, s24
	v_subrev_co_ci_u32_e32 v9, vcc_lo, 0, v9, vcc_lo
	s_delay_alu instid0(VALU_DEP_1) | instskip(SKIP_2) | instid1(VALU_DEP_1)
	v_cmp_gt_i64_e32 vcc_lo, v[8:9], v[10:11]
	s_waitcnt vmcnt(0)
	v_subrev_nc_u32_e32 v8, s24, v16
	v_ashrrev_i32_e32 v9, 31, v8
	v_dual_cndmask_b32 v13, v15, v13 :: v_dual_cndmask_b32 v12, v14, v12
	s_delay_alu instid0(VALU_DEP_1)
	v_cmpx_ne_u64_e64 v[12:13], v[8:9]
	s_cbranch_execz .LBB27_120
; %bb.111:
	s_load_b64 s[34:35], s[10:11], 0x0
	s_waitcnt lgkmcnt(0)
	s_sub_u32 s34, s34, s24
	s_subb_u32 s35, s35, 0
	s_delay_alu instid0(SALU_CYCLE_1)
	v_cmp_gt_i64_e32 vcc_lo, s[34:35], v[10:11]
	s_and_b32 exec_lo, exec_lo, vcc_lo
	s_cbranch_execz .LBB27_120
; %bb.112:
	v_cmp_gt_i64_e32 vcc_lo, s[12:13], v[8:9]
	v_cmp_le_i64_e64 s0, s[18:19], v[8:9]
	v_lshlrev_b64 v[10:11], 3, v[12:13]
	s_delay_alu instid0(VALU_DEP_2) | instskip(NEXT) | instid1(SALU_CYCLE_1)
	s_or_b32 s0, vcc_lo, s0
	s_and_saveexec_b32 s25, s0
	s_delay_alu instid0(SALU_CYCLE_1)
	s_xor_b32 s0, exec_lo, s25
	s_cbranch_execz .LBB27_118
; %bb.113:
	s_delay_alu instid0(VALU_DEP_1)
	v_add_co_u32 v10, vcc_lo, s14, v10
	v_add_co_ci_u32_e32 v11, vcc_lo, s15, v11, vcc_lo
	v_lshlrev_b64 v[14:15], 3, v[8:9]
	s_mov_b32 s25, 0
	global_load_b64 v[12:13], v[10:11], off
	v_add_co_u32 v10, vcc_lo, s20, v14
	v_add_co_ci_u32_e32 v11, vcc_lo, s21, v15, vcc_lo
	ds_load_b64 v[14:15], v18 offset:2048
	global_load_b32 v17, v[10:11], off
	s_waitcnt vmcnt(1) lgkmcnt(0)
	v_mul_f32_e64 v20, v13, -v15
	s_delay_alu instid0(VALU_DEP_1)
	v_fmac_f32_e32 v20, v14, v12
.LBB27_114:                             ; =>This Inner Loop Header: Depth=1
	s_waitcnt vmcnt(0)
	s_delay_alu instid0(VALU_DEP_1)
	v_add_f32_e32 v16, v17, v20
	global_atomic_cmpswap_b32 v16, v[10:11], v[16:17], off glc
	s_waitcnt vmcnt(0)
	v_cmp_eq_u32_e32 vcc_lo, v16, v17
	v_mov_b32_e32 v17, v16
	s_or_b32 s25, vcc_lo, s25
	s_delay_alu instid0(SALU_CYCLE_1)
	s_and_not1_b32 exec_lo, exec_lo, s25
	s_cbranch_execnz .LBB27_114
; %bb.115:
	s_or_b32 exec_lo, exec_lo, s25
	global_load_b32 v16, v[10:11], off offset:4
	v_mul_f32_e32 v13, v13, v14
	s_mov_b32 s25, 0
	s_delay_alu instid0(VALU_DEP_1)
	v_fmac_f32_e32 v13, v15, v12
.LBB27_116:                             ; =>This Inner Loop Header: Depth=1
	s_waitcnt vmcnt(0)
	s_delay_alu instid0(VALU_DEP_1)
	v_add_f32_e32 v15, v16, v13
	global_atomic_cmpswap_b32 v12, v[10:11], v[15:16], off offset:4 glc
	s_waitcnt vmcnt(0)
	v_cmp_eq_u32_e32 vcc_lo, v12, v16
	v_mov_b32_e32 v16, v12
	s_or_b32 s25, vcc_lo, s25
	s_delay_alu instid0(SALU_CYCLE_1)
	s_and_not1_b32 exec_lo, exec_lo, s25
	s_cbranch_execnz .LBB27_116
; %bb.117:
	s_or_b32 exec_lo, exec_lo, s25
                                        ; implicit-def: $vgpr10_vgpr11
.LBB27_118:
	s_and_not1_saveexec_b32 s0, s0
	s_cbranch_execz .LBB27_120
; %bb.119:
	v_add_co_u32 v10, vcc_lo, s14, v10
	v_add_co_ci_u32_e32 v11, vcc_lo, s15, v11, vcc_lo
	ds_load_b64 v[12:13], v18 offset:2048
	v_subrev_nc_u32_e32 v14, s12, v8
	global_load_b64 v[10:11], v[10:11], off
	v_lshl_add_u32 v14, v14, 3, 0x2000
	s_waitcnt vmcnt(0) lgkmcnt(0)
	v_mul_f32_e64 v15, v11, -v13
	v_mul_f32_e32 v11, v11, v12
	s_delay_alu instid0(VALU_DEP_2) | instskip(NEXT) | instid1(VALU_DEP_2)
	v_fmac_f32_e32 v15, v12, v10
	v_fmac_f32_e32 v11, v13, v10
	ds_add_f32 v14, v15
	ds_add_f32 v14, v11 offset:4
.LBB27_120:
	s_or_b32 exec_lo, exec_lo, s7
	v_lshlrev_b64 v[8:9], 3, v[8:9]
	ds_load_b64 v[12:13], v18 offset:2048
	v_add_co_u32 v8, vcc_lo, s14, v8
	v_add_co_ci_u32_e32 v9, vcc_lo, s15, v9, vcc_lo
	global_load_b64 v[10:11], v[8:9], off
	v_add_co_u32 v8, vcc_lo, 0x200, v2
	v_add_co_ci_u32_e32 v9, vcc_lo, 0, v3, vcc_lo
	v_cmp_ne_u32_e32 vcc_lo, 1, v19
	s_and_b32 vcc_lo, exec_lo, vcc_lo
	s_waitcnt vmcnt(0) lgkmcnt(0)
	v_mul_f32_e64 v14, v11, -v13
	s_delay_alu instid0(VALU_DEP_1) | instskip(NEXT) | instid1(VALU_DEP_1)
	v_dual_mul_f32 v15, v11, v12 :: v_dual_fmac_f32 v14, v12, v10
	v_dual_fmac_f32 v15, v13, v10 :: v_dual_mov_b32 v10, s16
	v_dual_mov_b32 v11, s17 :: v_dual_mov_b32 v12, s30
	v_mov_b32_e32 v13, s31
	ds_store_b64 v18, v[14:15] offset:2048
	s_cbranch_vccnz .LBB27_124
; %bb.121:
	v_dual_mov_b32 v10, s16 :: v_dual_mov_b32 v11, s17
	v_dual_mov_b32 v12, s30 :: v_dual_mov_b32 v13, s31
	s_mov_b32 s7, 0
	s_set_inst_prefetch_distance 0x1
	.p2align	6
.LBB27_122:                             ; =>This Inner Loop Header: Depth=1
	s_delay_alu instid0(VALU_DEP_1) | instskip(NEXT) | instid1(VALU_DEP_2)
	v_add_co_u32 v2, vcc_lo, v12, v10
	v_add_co_ci_u32_e32 v3, vcc_lo, v13, v11, vcc_lo
	s_delay_alu instid0(VALU_DEP_1) | instskip(NEXT) | instid1(VALU_DEP_1)
	v_lshrrev_b32_e32 v14, 31, v3
	v_add_co_u32 v2, vcc_lo, v2, v14
	v_add_co_ci_u32_e32 v3, vcc_lo, 0, v3, vcc_lo
	s_delay_alu instid0(VALU_DEP_1) | instskip(NEXT) | instid1(VALU_DEP_1)
	v_ashrrev_i64 v[2:3], 1, v[2:3]
	v_lshlrev_b64 v[14:15], 3, v[2:3]
	s_delay_alu instid0(VALU_DEP_1) | instskip(NEXT) | instid1(VALU_DEP_2)
	v_add_co_u32 v14, vcc_lo, s8, v14
	v_add_co_ci_u32_e32 v15, vcc_lo, s9, v15, vcc_lo
	global_load_b64 v[14:15], v[14:15], off
	s_waitcnt vmcnt(0)
	v_sub_co_u32 v14, vcc_lo, v14, s24
	v_subrev_co_ci_u32_e32 v15, vcc_lo, 0, v15, vcc_lo
	s_delay_alu instid0(VALU_DEP_1) | instskip(SKIP_2) | instid1(VALU_DEP_2)
	v_cmp_gt_i64_e32 vcc_lo, v[14:15], v[8:9]
	v_dual_cndmask_b32 v13, v13, v3 :: v_dual_cndmask_b32 v12, v12, v2
	v_dual_cndmask_b32 v11, v3, v11 :: v_dual_cndmask_b32 v10, v2, v10
	v_add_co_u32 v2, vcc_lo, v12, -1
	s_delay_alu instid0(VALU_DEP_3) | instskip(NEXT) | instid1(VALU_DEP_3)
	v_add_co_ci_u32_e32 v3, vcc_lo, -1, v13, vcc_lo
	v_cmp_ge_i64_e32 vcc_lo, v[10:11], v[12:13]
	s_delay_alu instid0(VALU_DEP_2) | instskip(NEXT) | instid1(VALU_DEP_1)
	v_cmp_eq_u64_e64 s0, v[10:11], v[2:3]
	s_or_b32 s0, vcc_lo, s0
	s_delay_alu instid0(SALU_CYCLE_1) | instskip(NEXT) | instid1(SALU_CYCLE_1)
	s_and_b32 s0, exec_lo, s0
	s_or_b32 s7, s0, s7
	s_delay_alu instid0(SALU_CYCLE_1)
	s_and_not1_b32 exec_lo, exec_lo, s7
	s_cbranch_execnz .LBB27_122
; %bb.123:
	s_set_inst_prefetch_distance 0x2
	s_or_b32 exec_lo, exec_lo, s7
.LBB27_124:
	v_lshlrev_b64 v[2:3], 3, v[12:13]
	s_mov_b32 s7, exec_lo
	s_delay_alu instid0(VALU_DEP_1) | instskip(NEXT) | instid1(VALU_DEP_2)
	v_add_co_u32 v2, vcc_lo, s8, v2
	v_add_co_ci_u32_e32 v3, vcc_lo, s9, v3, vcc_lo
	global_load_b64 v[2:3], v[2:3], off
	global_load_b32 v14, v[6:7], off offset:2048
	s_waitcnt vmcnt(1)
	v_sub_co_u32 v2, vcc_lo, v2, s24
	v_subrev_co_ci_u32_e32 v3, vcc_lo, 0, v3, vcc_lo
	s_delay_alu instid0(VALU_DEP_1) | instskip(SKIP_2) | instid1(VALU_DEP_1)
	v_cmp_gt_i64_e32 vcc_lo, v[2:3], v[8:9]
	s_waitcnt vmcnt(0)
	v_subrev_nc_u32_e32 v2, s24, v14
	v_ashrrev_i32_e32 v3, 31, v2
	v_dual_cndmask_b32 v11, v13, v11 :: v_dual_cndmask_b32 v10, v12, v10
	s_delay_alu instid0(VALU_DEP_1)
	v_cmpx_ne_u64_e64 v[10:11], v[2:3]
	s_cbranch_execz .LBB27_134
; %bb.125:
	s_load_b64 s[34:35], s[10:11], 0x0
	s_waitcnt lgkmcnt(0)
	s_sub_u32 s34, s34, s24
	s_subb_u32 s35, s35, 0
	s_delay_alu instid0(SALU_CYCLE_1)
	v_cmp_gt_i64_e32 vcc_lo, s[34:35], v[8:9]
	s_and_b32 exec_lo, exec_lo, vcc_lo
	s_cbranch_execz .LBB27_134
; %bb.126:
	v_cmp_gt_i64_e32 vcc_lo, s[12:13], v[2:3]
	v_cmp_le_i64_e64 s0, s[18:19], v[2:3]
	v_lshlrev_b64 v[8:9], 3, v[10:11]
	s_delay_alu instid0(VALU_DEP_2) | instskip(NEXT) | instid1(SALU_CYCLE_1)
	s_or_b32 s0, vcc_lo, s0
	s_and_saveexec_b32 s25, s0
	s_delay_alu instid0(SALU_CYCLE_1)
	s_xor_b32 s0, exec_lo, s25
	s_cbranch_execz .LBB27_132
; %bb.127:
	s_delay_alu instid0(VALU_DEP_1)
	v_add_co_u32 v8, vcc_lo, s14, v8
	v_add_co_ci_u32_e32 v9, vcc_lo, s15, v9, vcc_lo
	v_lshlrev_b64 v[12:13], 3, v[2:3]
	s_mov_b32 s25, 0
	global_load_b64 v[10:11], v[8:9], off
	v_add_co_u32 v8, vcc_lo, s20, v12
	v_add_co_ci_u32_e32 v9, vcc_lo, s21, v13, vcc_lo
	ds_load_b64 v[12:13], v18 offset:4096
	global_load_b32 v15, v[8:9], off
	s_waitcnt vmcnt(1) lgkmcnt(0)
	v_mul_f32_e64 v16, v11, -v13
	s_delay_alu instid0(VALU_DEP_1)
	v_fmac_f32_e32 v16, v12, v10
.LBB27_128:                             ; =>This Inner Loop Header: Depth=1
	s_waitcnt vmcnt(0)
	s_delay_alu instid0(VALU_DEP_1)
	v_add_f32_e32 v14, v15, v16
	global_atomic_cmpswap_b32 v14, v[8:9], v[14:15], off glc
	s_waitcnt vmcnt(0)
	v_cmp_eq_u32_e32 vcc_lo, v14, v15
	v_mov_b32_e32 v15, v14
	s_or_b32 s25, vcc_lo, s25
	s_delay_alu instid0(SALU_CYCLE_1)
	s_and_not1_b32 exec_lo, exec_lo, s25
	s_cbranch_execnz .LBB27_128
; %bb.129:
	s_or_b32 exec_lo, exec_lo, s25
	global_load_b32 v14, v[8:9], off offset:4
	v_mul_f32_e32 v11, v11, v12
	s_mov_b32 s25, 0
	s_delay_alu instid0(VALU_DEP_1)
	v_fmac_f32_e32 v11, v13, v10
.LBB27_130:                             ; =>This Inner Loop Header: Depth=1
	s_waitcnt vmcnt(0)
	s_delay_alu instid0(VALU_DEP_1)
	v_add_f32_e32 v13, v14, v11
	global_atomic_cmpswap_b32 v10, v[8:9], v[13:14], off offset:4 glc
	s_waitcnt vmcnt(0)
	v_cmp_eq_u32_e32 vcc_lo, v10, v14
	v_mov_b32_e32 v14, v10
	s_or_b32 s25, vcc_lo, s25
	s_delay_alu instid0(SALU_CYCLE_1)
	s_and_not1_b32 exec_lo, exec_lo, s25
	s_cbranch_execnz .LBB27_130
; %bb.131:
	s_or_b32 exec_lo, exec_lo, s25
                                        ; implicit-def: $vgpr8_vgpr9
.LBB27_132:
	s_and_not1_saveexec_b32 s0, s0
	s_cbranch_execz .LBB27_134
; %bb.133:
	v_add_co_u32 v8, vcc_lo, s14, v8
	v_add_co_ci_u32_e32 v9, vcc_lo, s15, v9, vcc_lo
	ds_load_b64 v[10:11], v18 offset:4096
	v_subrev_nc_u32_e32 v12, s12, v2
	global_load_b64 v[8:9], v[8:9], off
	v_lshl_add_u32 v12, v12, 3, 0x2000
	s_waitcnt vmcnt(0) lgkmcnt(0)
	v_mul_f32_e64 v13, v9, -v11
	v_mul_f32_e32 v9, v9, v10
	s_delay_alu instid0(VALU_DEP_2) | instskip(NEXT) | instid1(VALU_DEP_2)
	v_fmac_f32_e32 v13, v10, v8
	v_fmac_f32_e32 v9, v11, v8
	ds_add_f32 v12, v13
	ds_add_f32 v12, v9 offset:4
.LBB27_134:
	s_or_b32 exec_lo, exec_lo, s7
	v_lshlrev_b64 v[2:3], 3, v[2:3]
	ds_load_b64 v[8:9], v18 offset:4096
	v_dual_mov_b32 v10, s30 :: v_dual_mov_b32 v11, s31
	v_add_co_u32 v2, vcc_lo, s14, v2
	v_add_co_ci_u32_e32 v3, vcc_lo, s15, v3, vcc_lo
	v_cmp_ne_u32_e32 vcc_lo, 1, v19
	global_load_b64 v[2:3], v[2:3], off
	s_and_b32 vcc_lo, exec_lo, vcc_lo
	s_waitcnt vmcnt(0) lgkmcnt(0)
	v_mul_f32_e64 v12, v3, -v9
	s_delay_alu instid0(VALU_DEP_1) | instskip(NEXT) | instid1(VALU_DEP_1)
	v_dual_mul_f32 v13, v3, v8 :: v_dual_fmac_f32 v12, v8, v2
	v_dual_fmac_f32 v13, v9, v2 :: v_dual_mov_b32 v8, s16
	v_mov_b32_e32 v9, s17
	ds_store_b64 v18, v[12:13] offset:4096
	s_cbranch_vccnz .LBB27_138
; %bb.135:
	v_dual_mov_b32 v8, s16 :: v_dual_mov_b32 v9, s17
	v_dual_mov_b32 v10, s30 :: v_dual_mov_b32 v11, s31
	s_mov_b32 s7, 0
	s_set_inst_prefetch_distance 0x1
	.p2align	6
.LBB27_136:                             ; =>This Inner Loop Header: Depth=1
	s_delay_alu instid0(VALU_DEP_1) | instskip(NEXT) | instid1(VALU_DEP_2)
	v_add_co_u32 v2, vcc_lo, v10, v8
	v_add_co_ci_u32_e32 v3, vcc_lo, v11, v9, vcc_lo
	s_delay_alu instid0(VALU_DEP_1) | instskip(NEXT) | instid1(VALU_DEP_1)
	v_lshrrev_b32_e32 v12, 31, v3
	v_add_co_u32 v2, vcc_lo, v2, v12
	v_add_co_ci_u32_e32 v3, vcc_lo, 0, v3, vcc_lo
	s_delay_alu instid0(VALU_DEP_1) | instskip(NEXT) | instid1(VALU_DEP_1)
	v_ashrrev_i64 v[2:3], 1, v[2:3]
	v_lshlrev_b64 v[12:13], 3, v[2:3]
	s_delay_alu instid0(VALU_DEP_1) | instskip(NEXT) | instid1(VALU_DEP_2)
	v_add_co_u32 v12, vcc_lo, s8, v12
	v_add_co_ci_u32_e32 v13, vcc_lo, s9, v13, vcc_lo
	global_load_b64 v[12:13], v[12:13], off
	s_waitcnt vmcnt(0)
	v_sub_co_u32 v12, vcc_lo, v12, s24
	v_subrev_co_ci_u32_e32 v13, vcc_lo, 0, v13, vcc_lo
	s_delay_alu instid0(VALU_DEP_1) | instskip(SKIP_2) | instid1(VALU_DEP_2)
	v_cmp_gt_i64_e32 vcc_lo, v[12:13], v[4:5]
	v_dual_cndmask_b32 v11, v11, v3 :: v_dual_cndmask_b32 v10, v10, v2
	v_dual_cndmask_b32 v9, v3, v9 :: v_dual_cndmask_b32 v8, v2, v8
	v_add_co_u32 v2, vcc_lo, v10, -1
	s_delay_alu instid0(VALU_DEP_3) | instskip(NEXT) | instid1(VALU_DEP_3)
	v_add_co_ci_u32_e32 v3, vcc_lo, -1, v11, vcc_lo
	v_cmp_ge_i64_e32 vcc_lo, v[8:9], v[10:11]
	s_delay_alu instid0(VALU_DEP_2) | instskip(NEXT) | instid1(VALU_DEP_1)
	v_cmp_eq_u64_e64 s0, v[8:9], v[2:3]
	s_or_b32 s0, vcc_lo, s0
	s_delay_alu instid0(SALU_CYCLE_1) | instskip(NEXT) | instid1(SALU_CYCLE_1)
	s_and_b32 s0, exec_lo, s0
	s_or_b32 s7, s0, s7
	s_delay_alu instid0(SALU_CYCLE_1)
	s_and_not1_b32 exec_lo, exec_lo, s7
	s_cbranch_execnz .LBB27_136
; %bb.137:
	s_set_inst_prefetch_distance 0x2
	s_or_b32 exec_lo, exec_lo, s7
.LBB27_138:
	v_lshlrev_b64 v[2:3], 3, v[10:11]
	s_mov_b32 s7, exec_lo
	s_delay_alu instid0(VALU_DEP_1) | instskip(NEXT) | instid1(VALU_DEP_2)
	v_add_co_u32 v2, vcc_lo, s8, v2
	v_add_co_ci_u32_e32 v3, vcc_lo, s9, v3, vcc_lo
	global_load_b64 v[2:3], v[2:3], off
	global_load_b32 v6, v[6:7], off offset:3072
	s_waitcnt vmcnt(1)
	v_sub_co_u32 v2, vcc_lo, v2, s24
	v_subrev_co_ci_u32_e32 v3, vcc_lo, 0, v3, vcc_lo
	s_delay_alu instid0(VALU_DEP_1) | instskip(SKIP_2) | instid1(VALU_DEP_1)
	v_cmp_gt_i64_e32 vcc_lo, v[2:3], v[4:5]
	s_waitcnt vmcnt(0)
	v_subrev_nc_u32_e32 v2, s24, v6
	v_ashrrev_i32_e32 v3, 31, v2
	v_dual_cndmask_b32 v7, v11, v9 :: v_dual_cndmask_b32 v6, v10, v8
	s_delay_alu instid0(VALU_DEP_1)
	v_cmpx_ne_u64_e64 v[6:7], v[2:3]
	s_cbranch_execz .LBB27_148
; %bb.139:
	s_load_b64 s[10:11], s[10:11], 0x0
	s_waitcnt lgkmcnt(0)
	s_sub_u32 s10, s10, s24
	s_subb_u32 s11, s11, 0
	s_delay_alu instid0(SALU_CYCLE_1)
	v_cmp_gt_i64_e32 vcc_lo, s[10:11], v[4:5]
	s_and_b32 exec_lo, exec_lo, vcc_lo
	s_cbranch_execz .LBB27_148
; %bb.140:
	v_cmp_gt_i64_e32 vcc_lo, s[12:13], v[2:3]
	v_cmp_le_i64_e64 s0, s[18:19], v[2:3]
	v_lshlrev_b64 v[4:5], 3, v[6:7]
	s_delay_alu instid0(VALU_DEP_2) | instskip(NEXT) | instid1(SALU_CYCLE_1)
	s_or_b32 s0, vcc_lo, s0
	s_and_saveexec_b32 s10, s0
	s_delay_alu instid0(SALU_CYCLE_1)
	s_xor_b32 s0, exec_lo, s10
	s_cbranch_execz .LBB27_146
; %bb.141:
	s_delay_alu instid0(VALU_DEP_1)
	v_add_co_u32 v4, vcc_lo, s14, v4
	v_add_co_ci_u32_e32 v5, vcc_lo, s15, v5, vcc_lo
	v_lshlrev_b64 v[8:9], 3, v[2:3]
	s_mov_b32 s10, 0
	global_load_b64 v[6:7], v[4:5], off
	v_add_co_u32 v4, vcc_lo, s20, v8
	v_add_co_ci_u32_e32 v5, vcc_lo, s21, v9, vcc_lo
	ds_load_b64 v[8:9], v18 offset:6144
	global_load_b32 v11, v[4:5], off
	s_waitcnt vmcnt(1) lgkmcnt(0)
	v_mul_f32_e64 v12, v7, -v9
	s_delay_alu instid0(VALU_DEP_1)
	v_fmac_f32_e32 v12, v8, v6
.LBB27_142:                             ; =>This Inner Loop Header: Depth=1
	s_waitcnt vmcnt(0)
	s_delay_alu instid0(VALU_DEP_1)
	v_add_f32_e32 v10, v11, v12
	global_atomic_cmpswap_b32 v10, v[4:5], v[10:11], off glc
	s_waitcnt vmcnt(0)
	v_cmp_eq_u32_e32 vcc_lo, v10, v11
	v_mov_b32_e32 v11, v10
	s_or_b32 s10, vcc_lo, s10
	s_delay_alu instid0(SALU_CYCLE_1)
	s_and_not1_b32 exec_lo, exec_lo, s10
	s_cbranch_execnz .LBB27_142
; %bb.143:
	s_or_b32 exec_lo, exec_lo, s10
	global_load_b32 v10, v[4:5], off offset:4
	v_mul_f32_e32 v7, v7, v8
	s_mov_b32 s10, 0
	s_delay_alu instid0(VALU_DEP_1)
	v_fmac_f32_e32 v7, v9, v6
.LBB27_144:                             ; =>This Inner Loop Header: Depth=1
	s_waitcnt vmcnt(0)
	s_delay_alu instid0(VALU_DEP_1)
	v_add_f32_e32 v9, v10, v7
	global_atomic_cmpswap_b32 v6, v[4:5], v[9:10], off offset:4 glc
	s_waitcnt vmcnt(0)
	v_cmp_eq_u32_e32 vcc_lo, v6, v10
	v_mov_b32_e32 v10, v6
	s_or_b32 s10, vcc_lo, s10
	s_delay_alu instid0(SALU_CYCLE_1)
	s_and_not1_b32 exec_lo, exec_lo, s10
	s_cbranch_execnz .LBB27_144
; %bb.145:
	s_or_b32 exec_lo, exec_lo, s10
                                        ; implicit-def: $vgpr4_vgpr5
.LBB27_146:
	s_and_not1_saveexec_b32 s0, s0
	s_cbranch_execz .LBB27_148
; %bb.147:
	v_add_co_u32 v4, vcc_lo, s14, v4
	v_add_co_ci_u32_e32 v5, vcc_lo, s15, v5, vcc_lo
	ds_load_b64 v[6:7], v18 offset:6144
	v_subrev_nc_u32_e32 v8, s12, v2
	global_load_b64 v[4:5], v[4:5], off
	v_lshl_add_u32 v8, v8, 3, 0x2000
	s_waitcnt vmcnt(0) lgkmcnt(0)
	v_mul_f32_e64 v9, v5, -v7
	v_mul_f32_e32 v5, v5, v6
	s_delay_alu instid0(VALU_DEP_2) | instskip(NEXT) | instid1(VALU_DEP_2)
	v_fmac_f32_e32 v9, v6, v4
	v_fmac_f32_e32 v5, v7, v4
	ds_add_f32 v8, v9
	ds_add_f32 v8, v5 offset:4
.LBB27_148:
	s_or_b32 exec_lo, exec_lo, s7
	v_lshlrev_b64 v[2:3], 3, v[2:3]
	ds_load_b64 v[4:5], v18 offset:6144
	v_add_co_u32 v2, vcc_lo, s14, v2
	v_add_co_ci_u32_e32 v3, vcc_lo, s15, v3, vcc_lo
	global_load_b64 v[2:3], v[2:3], off
	s_waitcnt vmcnt(0) lgkmcnt(0)
	v_mul_f32_e64 v6, v3, -v5
	s_delay_alu instid0(VALU_DEP_1) | instskip(NEXT) | instid1(VALU_DEP_1)
	v_dual_mul_f32 v7, v3, v4 :: v_dual_fmac_f32 v6, v4, v2
	v_fmac_f32_e32 v7, v5, v2
	ds_store_b64 v18, v[6:7] offset:6144
.LBB27_149:
	s_or_b32 exec_lo, exec_lo, s1
	v_cmp_lt_i64_e64 s0, s[18:19], s[2:3]
	s_waitcnt lgkmcnt(0)
	s_barrier
	buffer_gl0_inv
	s_and_b32 s0, s0, exec_lo
	s_cselect_b32 s1, s18, s2
	s_cselect_b32 s0, s19, s3
	s_sub_u32 s2, s1, s22
	s_subb_u32 s3, s0, s23
	s_mov_b32 s0, exec_lo
	v_cmpx_gt_i64_e64 s[2:3], v[0:1]
	s_cbranch_execz .LBB27_156
; %bb.150:
	s_lshl_b64 s[10:11], s[12:13], 3
	v_dual_mov_b32 v3, v1 :: v_dual_mov_b32 v2, v0
	s_add_u32 s7, s20, s10
	s_addc_u32 s10, s21, s11
	s_mov_b32 s11, 0
	s_set_inst_prefetch_distance 0x1
	.p2align	6
.LBB27_151:                             ; =>This Loop Header: Depth=1
                                        ;     Child Loop BB27_152 Depth 2
                                        ;     Child Loop BB27_154 Depth 2
	v_lshlrev_b64 v[4:5], 3, v[2:3]
	v_lshl_add_u32 v6, v2, 3, 0x2000
	s_mov_b32 s12, 0
	ds_load_2addr_b32 v[6:7], v6 offset1:1
	v_add_co_u32 v4, vcc_lo, s7, v4
	v_add_co_ci_u32_e32 v5, vcc_lo, s10, v5, vcc_lo
	global_load_b32 v9, v[4:5], off
.LBB27_152:                             ;   Parent Loop BB27_151 Depth=1
                                        ; =>  This Inner Loop Header: Depth=2
	s_waitcnt vmcnt(0) lgkmcnt(0)
	v_add_f32_e32 v8, v9, v6
	global_atomic_cmpswap_b32 v8, v[4:5], v[8:9], off glc
	s_waitcnt vmcnt(0)
	v_cmp_eq_u32_e32 vcc_lo, v8, v9
	v_mov_b32_e32 v9, v8
	s_or_b32 s12, vcc_lo, s12
	s_delay_alu instid0(SALU_CYCLE_1)
	s_and_not1_b32 exec_lo, exec_lo, s12
	s_cbranch_execnz .LBB27_152
; %bb.153:                              ;   in Loop: Header=BB27_151 Depth=1
	s_or_b32 exec_lo, exec_lo, s12
	global_load_b32 v9, v[4:5], off offset:4
	s_mov_b32 s12, 0
.LBB27_154:                             ;   Parent Loop BB27_151 Depth=1
                                        ; =>  This Inner Loop Header: Depth=2
	s_waitcnt vmcnt(0)
	v_add_f32_e32 v8, v9, v7
	global_atomic_cmpswap_b32 v6, v[4:5], v[8:9], off offset:4 glc
	s_waitcnt vmcnt(0)
	v_cmp_eq_u32_e32 vcc_lo, v6, v9
	v_mov_b32_e32 v9, v6
	s_or_b32 s12, vcc_lo, s12
	s_delay_alu instid0(SALU_CYCLE_1)
	s_and_not1_b32 exec_lo, exec_lo, s12
	s_cbranch_execnz .LBB27_154
; %bb.155:                              ;   in Loop: Header=BB27_151 Depth=1
	s_or_b32 exec_lo, exec_lo, s12
	v_add_co_u32 v2, vcc_lo, 0x100, v2
	v_add_co_ci_u32_e32 v3, vcc_lo, 0, v3, vcc_lo
	s_delay_alu instid0(VALU_DEP_1) | instskip(SKIP_1) | instid1(SALU_CYCLE_1)
	v_cmp_le_i64_e32 vcc_lo, s[2:3], v[2:3]
	s_or_b32 s11, vcc_lo, s11
	s_and_not1_b32 exec_lo, exec_lo, s11
	s_cbranch_execnz .LBB27_151
.LBB27_156:
	s_set_inst_prefetch_distance 0x2
	s_or_b32 exec_lo, exec_lo, s0
	s_add_i32 s0, s28, -1
	v_add_co_u32 v6, s10, s16, v0
	s_ashr_i32 s3, s0, 1
	v_add_co_ci_u32_e64 v7, null, s17, 0, s10
	s_or_b32 s0, s3, s0
	s_delay_alu instid0(SALU_CYCLE_1) | instskip(SKIP_4) | instid1(SALU_CYCLE_1)
	s_ashr_i32 s3, s0, 2
	s_barrier
	s_or_b32 s0, s3, s0
	buffer_gl0_inv
	s_ashr_i32 s3, s0, 4
	s_or_b32 s0, s3, s0
	s_delay_alu instid0(SALU_CYCLE_1) | instskip(NEXT) | instid1(SALU_CYCLE_1)
	s_ashr_i32 s3, s0, 8
	s_or_b32 s0, s3, s0
	s_delay_alu instid0(SALU_CYCLE_1) | instskip(NEXT) | instid1(SALU_CYCLE_1)
	s_ashr_i32 s3, s0, 16
	s_or_b32 s3, s3, s0
	s_mov_b32 s0, -1
	s_add_i32 s3, s3, 1
	s_delay_alu instid0(SALU_CYCLE_1) | instskip(NEXT) | instid1(SALU_CYCLE_1)
	s_ashr_i32 s7, s3, 1
	s_cmp_gt_i32 s7, 1
	s_cbranch_scc1 .LBB27_169
; %bb.157:
	s_mov_b32 s0, exec_lo
	v_cmpx_gt_i64_e64 s[18:19], v[6:7]
	s_cbranch_execz .LBB27_168
; %bb.158:
	s_sub_i32 s1, s1, s18
	v_dual_mov_b32 v9, v7 :: v_dual_mov_b32 v8, v6
	s_lshl_b32 s11, s4, 3
	s_lshl_b32 s1, s1, 3
	s_mov_b32 s10, 0
	s_addk_i32 s1, 0x2000
	s_sub_i32 s11, 0, s11
.LBB27_159:                             ; =>This Loop Header: Depth=1
                                        ;     Child Loop BB27_161 Depth 2
                                        ;     Child Loop BB27_164 Depth 2
                                        ;     Child Loop BB27_166 Depth 2
	v_lshlrev_b64 v[10:11], 3, v[8:9]
	v_dual_mov_b32 v14, 0 :: v_dual_mov_b32 v15, 0
	s_mov_b32 s12, exec_lo
	s_delay_alu instid0(VALU_DEP_2) | instskip(NEXT) | instid1(VALU_DEP_3)
	v_add_co_u32 v2, vcc_lo, s8, v10
	v_add_co_ci_u32_e32 v3, vcc_lo, s9, v11, vcc_lo
	global_load_b128 v[2:5], v[2:3], off
	s_waitcnt vmcnt(0)
	v_cmpx_lt_i64_e64 v[2:3], v[4:5]
	s_cbranch_execz .LBB27_163
; %bb.160:                              ;   in Loop: Header=BB27_159 Depth=1
	v_sub_co_u32 v4, vcc_lo, v4, s4
	v_subrev_co_ci_u32_e32 v5, vcc_lo, s5, v5, vcc_lo
	v_sub_co_u32 v12, vcc_lo, v2, s4
	v_subrev_co_ci_u32_e32 v13, vcc_lo, s5, v3, vcc_lo
	v_lshl_add_u32 v2, v2, 3, s11
	v_dual_mov_b32 v14, 0 :: v_dual_mov_b32 v15, 0
	s_mov_b32 s13, 0
.LBB27_161:                             ;   Parent Loop BB27_159 Depth=1
                                        ; =>  This Inner Loop Header: Depth=2
	ds_load_b64 v[16:17], v2
	v_add_co_u32 v12, vcc_lo, v12, 1
	v_add_co_ci_u32_e32 v13, vcc_lo, 0, v13, vcc_lo
	v_add_nc_u32_e32 v2, 8, v2
	s_delay_alu instid0(VALU_DEP_2)
	v_cmp_ge_i64_e32 vcc_lo, v[12:13], v[4:5]
	s_or_b32 s13, vcc_lo, s13
	s_waitcnt lgkmcnt(0)
	v_dual_add_f32 v15, v15, v16 :: v_dual_add_f32 v14, v14, v17
	s_and_not1_b32 exec_lo, exec_lo, s13
	s_cbranch_execnz .LBB27_161
; %bb.162:                              ;   in Loop: Header=BB27_159 Depth=1
	s_or_b32 exec_lo, exec_lo, s13
.LBB27_163:                             ;   in Loop: Header=BB27_159 Depth=1
	s_delay_alu instid0(SALU_CYCLE_1)
	s_or_b32 exec_lo, exec_lo, s12
	v_add_co_u32 v2, vcc_lo, s20, v10
	v_add_co_ci_u32_e32 v3, vcc_lo, s21, v11, vcc_lo
	v_lshl_add_u32 v4, v8, 3, s1
	s_mov_b32 s12, 0
	global_load_b32 v11, v[2:3], off
	ds_load_2addr_b32 v[4:5], v4 offset1:1
	s_waitcnt lgkmcnt(0)
	v_add_f32_e32 v4, v15, v4
.LBB27_164:                             ;   Parent Loop BB27_159 Depth=1
                                        ; =>  This Inner Loop Header: Depth=2
	s_waitcnt vmcnt(0)
	s_delay_alu instid0(VALU_DEP_1)
	v_add_f32_e32 v10, v11, v4
	global_atomic_cmpswap_b32 v10, v[2:3], v[10:11], off glc
	s_waitcnt vmcnt(0)
	v_cmp_eq_u32_e32 vcc_lo, v10, v11
	v_mov_b32_e32 v11, v10
	s_or_b32 s12, vcc_lo, s12
	s_delay_alu instid0(SALU_CYCLE_1)
	s_and_not1_b32 exec_lo, exec_lo, s12
	s_cbranch_execnz .LBB27_164
; %bb.165:                              ;   in Loop: Header=BB27_159 Depth=1
	s_or_b32 exec_lo, exec_lo, s12
	global_load_b32 v11, v[2:3], off offset:4
	v_add_f32_e32 v4, v14, v5
	s_mov_b32 s12, 0
.LBB27_166:                             ;   Parent Loop BB27_159 Depth=1
                                        ; =>  This Inner Loop Header: Depth=2
	s_waitcnt vmcnt(0)
	s_delay_alu instid0(VALU_DEP_1)
	v_add_f32_e32 v10, v11, v4
	global_atomic_cmpswap_b32 v5, v[2:3], v[10:11], off offset:4 glc
	s_waitcnt vmcnt(0)
	v_cmp_eq_u32_e32 vcc_lo, v5, v11
	v_mov_b32_e32 v11, v5
	s_or_b32 s12, vcc_lo, s12
	s_delay_alu instid0(SALU_CYCLE_1)
	s_and_not1_b32 exec_lo, exec_lo, s12
	s_cbranch_execnz .LBB27_166
; %bb.167:                              ;   in Loop: Header=BB27_159 Depth=1
	s_or_b32 exec_lo, exec_lo, s12
	v_add_co_u32 v8, vcc_lo, v8, s6
	v_add_co_ci_u32_e32 v9, vcc_lo, 0, v9, vcc_lo
	s_delay_alu instid0(VALU_DEP_1) | instskip(SKIP_1) | instid1(SALU_CYCLE_1)
	v_cmp_le_i64_e32 vcc_lo, s[18:19], v[8:9]
	s_or_b32 s10, vcc_lo, s10
	s_and_not1_b32 exec_lo, exec_lo, s10
	s_cbranch_execnz .LBB27_159
.LBB27_168:
	s_or_b32 exec_lo, exec_lo, s0
	s_mov_b32 s0, 0
.LBB27_169:
	s_delay_alu instid0(SALU_CYCLE_1)
	s_and_not1_b32 vcc_lo, exec_lo, s0
	s_cbranch_vccnz .LBB27_200
; %bb.170:
	v_cvt_f32_u32_e32 v13, s7
	s_sub_i32 s1, 0, s7
	v_mov_b32_e32 v11, 0
	s_delay_alu instid0(VALU_DEP_2) | instskip(SKIP_2) | instid1(VALU_DEP_1)
	v_rcp_iflag_f32_e32 v2, v13
	s_waitcnt_depctr 0xfff
	v_mul_f32_e32 v2, 0x4f7ffffe, v2
	v_cvt_u32_f32_e32 v2, v2
	s_delay_alu instid0(VALU_DEP_1) | instskip(NEXT) | instid1(VALU_DEP_1)
	v_mul_lo_u32 v3, s1, v2
	v_mul_hi_u32 v3, v2, v3
	s_delay_alu instid0(VALU_DEP_1) | instskip(NEXT) | instid1(VALU_DEP_1)
	v_add_nc_u32_e32 v2, v2, v3
	v_mul_hi_u32 v2, v0, v2
	s_delay_alu instid0(VALU_DEP_1) | instskip(SKIP_1) | instid1(VALU_DEP_2)
	v_mul_lo_u32 v3, v2, s7
	v_add_nc_u32_e32 v4, 1, v2
	v_sub_nc_u32_e32 v3, v0, v3
	s_delay_alu instid0(VALU_DEP_1) | instskip(SKIP_1) | instid1(VALU_DEP_2)
	v_subrev_nc_u32_e32 v5, s7, v3
	v_cmp_le_u32_e32 vcc_lo, s7, v3
	v_dual_cndmask_b32 v2, v2, v4 :: v_dual_cndmask_b32 v3, v3, v5
	s_delay_alu instid0(VALU_DEP_1) | instskip(NEXT) | instid1(VALU_DEP_2)
	v_add_nc_u32_e32 v4, 1, v2
	v_cmp_le_u32_e32 vcc_lo, s7, v3
	s_delay_alu instid0(VALU_DEP_2) | instskip(NEXT) | instid1(VALU_DEP_1)
	v_cndmask_b32_e32 v10, v2, v4, vcc_lo
	v_lshlrev_b64 v[2:3], 3, v[10:11]
	s_delay_alu instid0(VALU_DEP_1) | instskip(NEXT) | instid1(VALU_DEP_2)
	v_add_co_u32 v2, vcc_lo, s26, v2
	v_add_co_ci_u32_e32 v3, vcc_lo, s27, v3, vcc_lo
	global_load_b128 v[2:5], v[2:3], off
	s_waitcnt vmcnt(0)
	v_sub_co_u32 v8, vcc_lo, v2, s4
	v_subrev_co_ci_u32_e32 v9, vcc_lo, s5, v3, vcc_lo
	v_sub_co_u32 v16, vcc_lo, v4, s4
	v_subrev_co_ci_u32_e32 v17, vcc_lo, s5, v5, vcc_lo
	v_mov_b32_e32 v4, v11
	s_delay_alu instid0(VALU_DEP_3) | instskip(NEXT) | instid1(VALU_DEP_3)
	v_sub_co_u32 v12, vcc_lo, v16, v8
	v_sub_co_ci_u32_e32 v5, vcc_lo, v17, v9, vcc_lo
	s_delay_alu instid0(VALU_DEP_1) | instskip(SKIP_1) | instid1(SALU_CYCLE_1)
	v_cmp_ne_u64_e32 vcc_lo, 0, v[4:5]
                                        ; implicit-def: $vgpr3_vgpr4
	s_and_saveexec_b32 s0, vcc_lo
	s_xor_b32 s5, exec_lo, s0
	s_cbranch_execz .LBB27_172
; %bb.171:
	v_cvt_f32_ubyte0_e32 v3, 0
	s_sub_u32 s0, 0, s7
	s_subb_u32 s6, 0, 0
	s_delay_alu instid0(VALU_DEP_1) | instskip(NEXT) | instid1(VALU_DEP_1)
	v_fmamk_f32 v3, v3, 0x4f800000, v13
	v_rcp_f32_e32 v3, v3
	s_waitcnt_depctr 0xfff
	v_mul_f32_e32 v3, 0x5f7ffffc, v3
	s_delay_alu instid0(VALU_DEP_1) | instskip(NEXT) | instid1(VALU_DEP_1)
	v_mul_f32_e32 v4, 0x2f800000, v3
	v_trunc_f32_e32 v4, v4
	s_delay_alu instid0(VALU_DEP_1) | instskip(SKIP_1) | instid1(VALU_DEP_2)
	v_fmamk_f32 v3, v4, 0xcf800000, v3
	v_cvt_u32_f32_e32 v4, v4
	v_cvt_u32_f32_e32 v3, v3
	s_delay_alu instid0(VALU_DEP_2) | instskip(NEXT) | instid1(VALU_DEP_2)
	v_mul_lo_u32 v13, s0, v4
	v_mul_hi_u32 v14, s0, v3
	v_mul_lo_u32 v15, s6, v3
	s_delay_alu instid0(VALU_DEP_2) | instskip(SKIP_1) | instid1(VALU_DEP_2)
	v_add_nc_u32_e32 v13, v14, v13
	v_mul_lo_u32 v14, s0, v3
	v_add_nc_u32_e32 v13, v13, v15
	s_delay_alu instid0(VALU_DEP_2) | instskip(NEXT) | instid1(VALU_DEP_2)
	v_mul_hi_u32 v15, v3, v14
	v_mul_lo_u32 v19, v3, v13
	v_mul_hi_u32 v20, v3, v13
	v_mul_hi_u32 v21, v4, v14
	v_mul_lo_u32 v14, v4, v14
	v_mul_hi_u32 v22, v4, v13
	v_mul_lo_u32 v13, v4, v13
	v_add_co_u32 v15, vcc_lo, v15, v19
	v_add_co_ci_u32_e32 v19, vcc_lo, 0, v20, vcc_lo
	s_delay_alu instid0(VALU_DEP_2) | instskip(NEXT) | instid1(VALU_DEP_2)
	v_add_co_u32 v14, vcc_lo, v15, v14
	v_add_co_ci_u32_e32 v14, vcc_lo, v19, v21, vcc_lo
	v_add_co_ci_u32_e32 v15, vcc_lo, 0, v22, vcc_lo
	v_ashrrev_i32_e32 v21, 31, v5
	s_delay_alu instid0(VALU_DEP_3) | instskip(NEXT) | instid1(VALU_DEP_3)
	v_add_co_u32 v13, vcc_lo, v14, v13
	v_add_co_ci_u32_e32 v14, vcc_lo, 0, v15, vcc_lo
	s_delay_alu instid0(VALU_DEP_2) | instskip(NEXT) | instid1(VALU_DEP_2)
	v_add_co_u32 v3, vcc_lo, v3, v13
	v_add_co_ci_u32_e32 v4, vcc_lo, v4, v14, vcc_lo
	s_delay_alu instid0(VALU_DEP_2) | instskip(SKIP_1) | instid1(VALU_DEP_3)
	v_mul_hi_u32 v13, s0, v3
	v_mul_lo_u32 v15, s6, v3
	v_mul_lo_u32 v14, s0, v4
	s_delay_alu instid0(VALU_DEP_1) | instskip(SKIP_1) | instid1(VALU_DEP_2)
	v_add_nc_u32_e32 v13, v13, v14
	v_mul_lo_u32 v14, s0, v3
	v_add_nc_u32_e32 v13, v13, v15
	s_delay_alu instid0(VALU_DEP_2) | instskip(NEXT) | instid1(VALU_DEP_2)
	v_mul_hi_u32 v15, v3, v14
	v_mul_lo_u32 v19, v3, v13
	v_mul_hi_u32 v20, v3, v13
	v_mul_hi_u32 v22, v4, v14
	v_mul_lo_u32 v14, v4, v14
	v_mul_hi_u32 v23, v4, v13
	v_mul_lo_u32 v13, v4, v13
	v_add_co_u32 v15, vcc_lo, v15, v19
	v_add_co_ci_u32_e32 v19, vcc_lo, 0, v20, vcc_lo
	s_delay_alu instid0(VALU_DEP_2) | instskip(NEXT) | instid1(VALU_DEP_2)
	v_add_co_u32 v14, vcc_lo, v15, v14
	v_add_co_ci_u32_e32 v14, vcc_lo, v19, v22, vcc_lo
	v_add_co_ci_u32_e32 v15, vcc_lo, 0, v23, vcc_lo
	v_add_co_u32 v12, vcc_lo, v12, v21
	v_add_co_ci_u32_e32 v5, vcc_lo, v5, v21, vcc_lo
	s_delay_alu instid0(VALU_DEP_4) | instskip(NEXT) | instid1(VALU_DEP_4)
	v_add_co_u32 v13, vcc_lo, v14, v13
	v_add_co_ci_u32_e32 v14, vcc_lo, 0, v15, vcc_lo
	s_delay_alu instid0(VALU_DEP_4) | instskip(NEXT) | instid1(VALU_DEP_3)
	v_xor_b32_e32 v19, v12, v21
	v_add_co_u32 v15, vcc_lo, v3, v13
	s_delay_alu instid0(VALU_DEP_3) | instskip(SKIP_1) | instid1(VALU_DEP_3)
	v_add_co_ci_u32_e32 v20, vcc_lo, v4, v14, vcc_lo
	v_xor_b32_e32 v5, v5, v21
	v_mul_hi_u32 v22, v19, v15
	s_delay_alu instid0(VALU_DEP_3) | instskip(NEXT) | instid1(VALU_DEP_3)
	v_mad_u64_u32 v[3:4], null, v19, v20, 0
	v_mad_u64_u32 v[12:13], null, v5, v15, 0
	;; [unrolled: 1-line block ×3, first 2 shown]
	s_delay_alu instid0(VALU_DEP_3) | instskip(NEXT) | instid1(VALU_DEP_4)
	v_add_co_u32 v3, vcc_lo, v22, v3
	v_add_co_ci_u32_e32 v4, vcc_lo, 0, v4, vcc_lo
	s_delay_alu instid0(VALU_DEP_2) | instskip(NEXT) | instid1(VALU_DEP_2)
	v_add_co_u32 v3, vcc_lo, v3, v12
	v_add_co_ci_u32_e32 v3, vcc_lo, v4, v13, vcc_lo
	v_add_co_ci_u32_e32 v4, vcc_lo, 0, v15, vcc_lo
	s_delay_alu instid0(VALU_DEP_2) | instskip(NEXT) | instid1(VALU_DEP_2)
	v_add_co_u32 v14, vcc_lo, v3, v14
	v_add_co_ci_u32_e32 v15, vcc_lo, 0, v4, vcc_lo
	s_delay_alu instid0(VALU_DEP_2) | instskip(NEXT) | instid1(VALU_DEP_1)
	v_mad_u64_u32 v[3:4], null, s7, v14, 0
	v_mad_u64_u32 v[12:13], null, s7, v15, v[4:5]
	s_delay_alu instid0(VALU_DEP_2) | instskip(NEXT) | instid1(VALU_DEP_2)
	v_sub_co_u32 v3, vcc_lo, v19, v3
	v_sub_co_ci_u32_e32 v4, vcc_lo, v5, v12, vcc_lo
	s_delay_alu instid0(VALU_DEP_2) | instskip(NEXT) | instid1(VALU_DEP_2)
	v_sub_co_u32 v5, vcc_lo, v3, s7
	v_subrev_co_ci_u32_e32 v12, vcc_lo, 0, v4, vcc_lo
	s_delay_alu instid0(VALU_DEP_2)
	v_cmp_le_u32_e32 vcc_lo, s7, v5
	v_cmp_eq_u32_e64 s0, 0, v4
	v_cndmask_b32_e64 v5, 0, -1, vcc_lo
	v_add_co_u32 v13, vcc_lo, v14, 2
	v_add_co_ci_u32_e32 v19, vcc_lo, 0, v15, vcc_lo
	v_cmp_le_u32_e32 vcc_lo, s7, v3
	v_cndmask_b32_e64 v3, 0, -1, vcc_lo
	v_cmp_eq_u32_e32 vcc_lo, 0, v12
	s_delay_alu instid0(VALU_DEP_2) | instskip(SKIP_3) | instid1(VALU_DEP_3)
	v_cndmask_b32_e64 v3, -1, v3, s0
	v_cndmask_b32_e32 v5, -1, v5, vcc_lo
	v_add_co_u32 v12, vcc_lo, v14, 1
	v_add_co_ci_u32_e32 v20, vcc_lo, 0, v15, vcc_lo
	v_cmp_ne_u32_e32 vcc_lo, 0, v5
	s_delay_alu instid0(VALU_DEP_2) | instskip(NEXT) | instid1(VALU_DEP_4)
	v_cndmask_b32_e32 v4, v20, v19, vcc_lo
	v_cndmask_b32_e32 v5, v12, v13, vcc_lo
	v_cmp_ne_u32_e32 vcc_lo, 0, v3
                                        ; implicit-def: $vgpr12
	s_delay_alu instid0(VALU_DEP_2) | instskip(NEXT) | instid1(VALU_DEP_1)
	v_dual_cndmask_b32 v3, v15, v4 :: v_dual_cndmask_b32 v4, v14, v5
	v_xor_b32_e32 v5, v3, v21
	s_delay_alu instid0(VALU_DEP_2) | instskip(NEXT) | instid1(VALU_DEP_1)
	v_xor_b32_e32 v4, v4, v21
	v_sub_co_u32 v3, vcc_lo, v4, v21
	s_delay_alu instid0(VALU_DEP_3)
	v_sub_co_ci_u32_e32 v4, vcc_lo, v5, v21, vcc_lo
.LBB27_172:
	s_and_not1_saveexec_b32 s0, s5
	s_cbranch_execz .LBB27_174
; %bb.173:
	v_cvt_f32_u32_e32 v3, s7
	s_delay_alu instid0(VALU_DEP_1) | instskip(SKIP_2) | instid1(VALU_DEP_1)
	v_rcp_iflag_f32_e32 v3, v3
	s_waitcnt_depctr 0xfff
	v_mul_f32_e32 v3, 0x4f7ffffe, v3
	v_cvt_u32_f32_e32 v3, v3
	s_delay_alu instid0(VALU_DEP_1) | instskip(NEXT) | instid1(VALU_DEP_1)
	v_mul_lo_u32 v4, s1, v3
	v_mul_hi_u32 v4, v3, v4
	s_delay_alu instid0(VALU_DEP_1) | instskip(NEXT) | instid1(VALU_DEP_1)
	v_add_nc_u32_e32 v3, v3, v4
	v_mul_hi_u32 v3, v12, v3
	s_delay_alu instid0(VALU_DEP_1) | instskip(SKIP_1) | instid1(VALU_DEP_2)
	v_mul_lo_u32 v4, v3, s7
	v_add_nc_u32_e32 v5, 1, v3
	v_sub_nc_u32_e32 v4, v12, v4
	s_delay_alu instid0(VALU_DEP_1) | instskip(SKIP_1) | instid1(VALU_DEP_2)
	v_subrev_nc_u32_e32 v12, s7, v4
	v_cmp_le_u32_e32 vcc_lo, s7, v4
	v_dual_cndmask_b32 v4, v4, v12 :: v_dual_cndmask_b32 v3, v3, v5
	s_delay_alu instid0(VALU_DEP_1) | instskip(NEXT) | instid1(VALU_DEP_2)
	v_cmp_le_u32_e32 vcc_lo, s7, v4
	v_dual_mov_b32 v4, 0 :: v_dual_add_nc_u32 v5, 1, v3
	s_delay_alu instid0(VALU_DEP_1)
	v_cndmask_b32_e32 v3, v3, v5, vcc_lo
.LBB27_174:
	s_or_b32 exec_lo, exec_lo, s0
	v_cmp_gt_i64_e32 vcc_lo, s[22:23], v[10:11]
	v_dual_mov_b32 v11, 0 :: v_dual_mov_b32 v10, 0
	s_and_saveexec_b32 s5, vcc_lo
	s_cbranch_execz .LBB27_188
; %bb.175:
	s_add_i32 s0, s7, -1
	v_mov_b32_e32 v10, 0
	v_dual_mov_b32 v11, 0 :: v_dual_and_b32 v12, s0, v0
	s_mov_b32 s6, exec_lo
	v_cmpx_lt_i64_e32 0, v[3:4]
	s_cbranch_execz .LBB27_185
; %bb.176:
	v_dual_mov_b32 v10, 0 :: v_dual_mov_b32 v13, 0
	v_dual_mov_b32 v14, 0 :: v_dual_mov_b32 v11, 0
	s_mov_b32 s8, exec_lo
	v_cmpx_lt_u64_e32 3, v[3:4]
	s_cbranch_execz .LBB27_180
; %bb.177:
	v_dual_mov_b32 v11, 0 :: v_dual_and_b32 v14, 0x7fffffff, v4
	v_add_nc_u32_e32 v5, v12, v2
	v_and_b32_e32 v13, -4, v3
	s_lshl_b32 s9, s7, 5
	s_delay_alu instid0(VALU_DEP_3) | instskip(SKIP_4) | instid1(VALU_DEP_1)
	v_mov_b32_e32 v10, v11
	s_lshl_b32 s11, s7, 3
	v_subrev_nc_u32_e32 v5, s4, v5
	s_mov_b32 s10, 0
	s_mov_b64 s[0:1], 0
	v_lshlrev_b32_e32 v5, 3, v5
	.p2align	6
.LBB27_178:                             ; =>This Inner Loop Header: Depth=1
	ds_load_b64 v[19:20], v5
	v_add_nc_u32_e32 v15, s11, v5
	s_add_u32 s0, s0, 4
	s_addc_u32 s1, s1, 0
	v_add_nc_u32_e32 v5, s9, v5
	v_cmp_eq_u64_e32 vcc_lo, s[0:1], v[13:14]
	s_or_b32 s10, vcc_lo, s10
	s_waitcnt lgkmcnt(0)
	v_add_f32_e32 v10, v10, v19
	v_add_nc_u32_e32 v25, s11, v15
	ds_load_b64 v[21:22], v15
	ds_load_b64 v[23:24], v25
	s_waitcnt lgkmcnt(1)
	v_add_f32_e32 v10, v10, v21
	s_waitcnt lgkmcnt(0)
	s_delay_alu instid0(VALU_DEP_1) | instskip(SKIP_3) | instid1(VALU_DEP_1)
	v_dual_add_f32 v10, v10, v23 :: v_dual_add_nc_u32 v15, s11, v25
	ds_load_b64 v[25:26], v15
	s_waitcnt lgkmcnt(0)
	v_dual_add_f32 v11, v11, v20 :: v_dual_add_f32 v10, v10, v25
	v_add_f32_e32 v11, v11, v22
	s_delay_alu instid0(VALU_DEP_1) | instskip(NEXT) | instid1(VALU_DEP_1)
	v_add_f32_e32 v11, v11, v24
	v_add_f32_e32 v11, v11, v26
	s_and_not1_b32 exec_lo, exec_lo, s10
	s_cbranch_execnz .LBB27_178
; %bb.179:
	s_or_b32 exec_lo, exec_lo, s10
.LBB27_180:
	s_delay_alu instid0(SALU_CYCLE_1) | instskip(SKIP_2) | instid1(VALU_DEP_1)
	s_or_b32 exec_lo, exec_lo, s8
	v_dual_mov_b32 v15, 0 :: v_dual_and_b32 v14, 3, v3
	s_mov_b32 s0, exec_lo
	v_cmpx_ne_u64_e32 0, v[14:15]
	s_cbranch_execz .LBB27_184
; %bb.181:
	v_mul_lo_u32 v5, s7, v13
	s_mov_b32 s1, 0
	s_delay_alu instid0(VALU_DEP_1) | instskip(NEXT) | instid1(VALU_DEP_1)
	v_add3_u32 v2, v12, v5, v2
	v_subrev_nc_u32_e32 v2, s4, v2
	s_lshl_b32 s4, s7, 3
	s_delay_alu instid0(VALU_DEP_1)
	v_lshlrev_b32_e32 v2, 3, v2
.LBB27_182:                             ; =>This Inner Loop Header: Depth=1
	ds_load_b64 v[19:20], v2
	v_add_co_u32 v14, vcc_lo, v14, -1
	v_add_co_ci_u32_e32 v15, vcc_lo, -1, v15, vcc_lo
	v_add_nc_u32_e32 v2, s4, v2
	s_delay_alu instid0(VALU_DEP_2)
	v_cmp_eq_u64_e32 vcc_lo, 0, v[14:15]
	s_or_b32 s1, vcc_lo, s1
	s_waitcnt lgkmcnt(0)
	v_dual_add_f32 v11, v11, v20 :: v_dual_add_f32 v10, v10, v19
	s_and_not1_b32 exec_lo, exec_lo, s1
	s_cbranch_execnz .LBB27_182
; %bb.183:
	s_or_b32 exec_lo, exec_lo, s1
.LBB27_184:
	s_delay_alu instid0(SALU_CYCLE_1)
	s_or_b32 exec_lo, exec_lo, s0
.LBB27_185:
	s_delay_alu instid0(SALU_CYCLE_1) | instskip(SKIP_3) | instid1(VALU_DEP_2)
	s_or_b32 exec_lo, exec_lo, s6
	v_mad_u64_u32 v[14:15], null, v3, s7, v[8:9]
	v_mov_b32_e32 v13, 0
	s_mov_b32 s0, exec_lo
	v_mov_b32_e32 v2, v15
	s_delay_alu instid0(VALU_DEP_1) | instskip(NEXT) | instid1(VALU_DEP_4)
	v_mad_u64_u32 v[8:9], null, v4, s7, v[2:3]
	v_sub_co_u32 v2, vcc_lo, v16, v14
	s_delay_alu instid0(VALU_DEP_2) | instskip(NEXT) | instid1(VALU_DEP_1)
	v_mov_b32_e32 v3, v8
	v_sub_co_ci_u32_e32 v3, vcc_lo, v17, v3, vcc_lo
	s_delay_alu instid0(VALU_DEP_1)
	v_cmpx_gt_i64_e64 v[2:3], v[12:13]
	s_cbranch_execz .LBB27_187
; %bb.186:
	v_add_lshl_u32 v2, v12, v14, 3
	ds_load_b64 v[2:3], v2
	s_waitcnt lgkmcnt(0)
	v_dual_add_f32 v10, v10, v2 :: v_dual_add_f32 v11, v11, v3
.LBB27_187:
	s_or_b32 exec_lo, exec_lo, s0
.LBB27_188:
	s_delay_alu instid0(SALU_CYCLE_1)
	s_or_b32 exec_lo, exec_lo, s5
	v_cmp_gt_i64_e32 vcc_lo, s[22:23], v[0:1]
	s_barrier
	buffer_gl0_inv
	ds_store_b64 v18, v[10:11]
	s_waitcnt lgkmcnt(0)
	s_barrier
	buffer_gl0_inv
	s_and_b32 exec_lo, exec_lo, vcc_lo
	s_cbranch_execz .LBB27_200
; %bb.189:
	v_mul_lo_u32 v1, s7, v0
	v_mov_b32_e32 v5, 0
	s_cmp_lt_u32 s7, 8
	s_cbranch_scc1 .LBB27_192
; %bb.190:
	s_delay_alu instid0(VALU_DEP_2)
	v_dual_mov_b32 v5, 0 :: v_dual_lshlrev_b32 v2, 3, v1
	v_mov_b32_e32 v8, 0
	s_and_b32 s0, s7, 0x7ffffff8
	s_mov_b32 s1, 0
	.p2align	6
.LBB27_191:                             ; =>This Inner Loop Header: Depth=1
	ds_load_2addr_b64 v[9:12], v2 offset1:1
	ds_load_2addr_b64 v[13:16], v2 offset0:2 offset1:3
	ds_load_2addr_b64 v[17:20], v2 offset0:4 offset1:5
	s_add_i32 s1, s1, 8
	s_delay_alu instid0(SALU_CYCLE_1) | instskip(SKIP_2) | instid1(VALU_DEP_1)
	s_cmp_eq_u32 s0, s1
	s_waitcnt lgkmcnt(2)
	v_dual_add_f32 v3, v5, v9 :: v_dual_add_f32 v4, v8, v10
	v_dual_add_f32 v3, v3, v11 :: v_dual_add_f32 v4, v4, v12
	ds_load_2addr_b64 v[8:11], v2 offset0:6 offset1:7
	s_waitcnt lgkmcnt(2)
	v_dual_add_f32 v3, v3, v13 :: v_dual_add_nc_u32 v2, 64, v2
	s_delay_alu instid0(VALU_DEP_1) | instskip(SKIP_1) | instid1(VALU_DEP_1)
	v_dual_add_f32 v4, v4, v14 :: v_dual_add_f32 v3, v3, v15
	s_waitcnt lgkmcnt(1)
	v_dual_add_f32 v4, v4, v16 :: v_dual_add_f32 v3, v3, v17
	s_delay_alu instid0(VALU_DEP_1) | instskip(NEXT) | instid1(VALU_DEP_1)
	v_dual_add_f32 v4, v4, v18 :: v_dual_add_f32 v3, v3, v19
	v_add_f32_e32 v4, v4, v20
	s_waitcnt lgkmcnt(0)
	s_delay_alu instid0(VALU_DEP_1) | instskip(NEXT) | instid1(VALU_DEP_1)
	v_dual_add_f32 v3, v3, v8 :: v_dual_add_f32 v4, v4, v9
	v_dual_add_f32 v5, v3, v10 :: v_dual_add_f32 v8, v4, v11
	s_cbranch_scc0 .LBB27_191
	s_branch .LBB27_193
.LBB27_192:
	v_mov_b32_e32 v8, 0
	s_mov_b32 s0, 0
.LBB27_193:
	s_bfe_u32 s1, s3, 0x30001
	s_delay_alu instid0(SALU_CYCLE_1)
	s_cmp_eq_u32 s1, 0
	s_cbranch_scc1 .LBB27_196
; %bb.194:
	v_add_lshl_u32 v1, s0, v1, 3
.LBB27_195:                             ; =>This Inner Loop Header: Depth=1
	ds_load_b64 v[2:3], v1
	v_add_nc_u32_e32 v1, 8, v1
	s_add_i32 s1, s1, -1
	s_delay_alu instid0(SALU_CYCLE_1)
	s_cmp_lg_u32 s1, 0
	s_waitcnt lgkmcnt(0)
	v_dual_add_f32 v8, v8, v3 :: v_dual_add_f32 v5, v5, v2
	s_cbranch_scc1 .LBB27_195
.LBB27_196:
	v_lshlrev_b64 v[1:2], 3, v[6:7]
	v_lshlrev_b32_e32 v0, 3, v0
	s_lshl_b32 s0, s2, 3
	s_delay_alu instid0(VALU_DEP_1) | instid1(SALU_CYCLE_1)
	v_add3_u32 v0, 0x2000, s0, v0
	s_delay_alu instid0(VALU_DEP_3) | instskip(NEXT) | instid1(VALU_DEP_4)
	v_add_co_u32 v1, vcc_lo, s20, v1
	v_add_co_ci_u32_e32 v2, vcc_lo, s21, v2, vcc_lo
	ds_load_2addr_b32 v[3:4], v0 offset1:1
	s_mov_b32 s0, 0
	global_load_b32 v6, v[1:2], off
	s_waitcnt lgkmcnt(0)
	v_add_f32_e32 v0, v5, v3
.LBB27_197:                             ; =>This Inner Loop Header: Depth=1
	s_waitcnt vmcnt(0)
	s_delay_alu instid0(VALU_DEP_1)
	v_add_f32_e32 v5, v6, v0
	global_atomic_cmpswap_b32 v3, v[1:2], v[5:6], off glc
	s_waitcnt vmcnt(0)
	v_cmp_eq_u32_e32 vcc_lo, v3, v6
	v_mov_b32_e32 v6, v3
	s_or_b32 s0, vcc_lo, s0
	s_delay_alu instid0(SALU_CYCLE_1)
	s_and_not1_b32 exec_lo, exec_lo, s0
	s_cbranch_execnz .LBB27_197
; %bb.198:
	s_or_b32 exec_lo, exec_lo, s0
	global_load_b32 v5, v[1:2], off offset:4
	v_add_f32_e32 v0, v8, v4
	s_mov_b32 s0, 0
.LBB27_199:                             ; =>This Inner Loop Header: Depth=1
	s_waitcnt vmcnt(0)
	s_delay_alu instid0(VALU_DEP_1)
	v_add_f32_e32 v4, v5, v0
	global_atomic_cmpswap_b32 v3, v[1:2], v[4:5], off offset:4 glc
	s_waitcnt vmcnt(0)
	v_cmp_eq_u32_e32 vcc_lo, v3, v5
	v_mov_b32_e32 v5, v3
	s_or_b32 s0, vcc_lo, s0
	s_delay_alu instid0(SALU_CYCLE_1)
	s_and_not1_b32 exec_lo, exec_lo, s0
	s_cbranch_execnz .LBB27_199
.LBB27_200:
	s_endpgm
	.section	.rodata,"a",@progbits
	.p2align	6, 0x0
	.amdhsa_kernel _ZN9rocsparseL27csrmvn_symm_adaptive_kernelIli21rocsparse_complex_numIfES2_S2_S2_EEvbT_S3_PKS3_NS_24const_host_device_scalarIT4_EES5_PKT0_PKT1_PKT2_S8_PT3_21rocsparse_index_base_b
		.amdhsa_group_segment_fixed_size 8192
		.amdhsa_private_segment_fixed_size 0
		.amdhsa_kernarg_size 352
		.amdhsa_user_sgpr_count 15
		.amdhsa_user_sgpr_dispatch_ptr 0
		.amdhsa_user_sgpr_queue_ptr 0
		.amdhsa_user_sgpr_kernarg_segment_ptr 1
		.amdhsa_user_sgpr_dispatch_id 0
		.amdhsa_user_sgpr_private_segment_size 0
		.amdhsa_wavefront_size32 1
		.amdhsa_uses_dynamic_stack 0
		.amdhsa_enable_private_segment 0
		.amdhsa_system_sgpr_workgroup_id_x 1
		.amdhsa_system_sgpr_workgroup_id_y 0
		.amdhsa_system_sgpr_workgroup_id_z 0
		.amdhsa_system_sgpr_workgroup_info 0
		.amdhsa_system_vgpr_workitem_id 0
		.amdhsa_next_free_vgpr 27
		.amdhsa_next_free_sgpr 44
		.amdhsa_reserve_vcc 1
		.amdhsa_float_round_mode_32 0
		.amdhsa_float_round_mode_16_64 0
		.amdhsa_float_denorm_mode_32 3
		.amdhsa_float_denorm_mode_16_64 3
		.amdhsa_dx10_clamp 1
		.amdhsa_ieee_mode 1
		.amdhsa_fp16_overflow 0
		.amdhsa_workgroup_processor_mode 1
		.amdhsa_memory_ordered 1
		.amdhsa_forward_progress 0
		.amdhsa_shared_vgpr_count 0
		.amdhsa_exception_fp_ieee_invalid_op 0
		.amdhsa_exception_fp_denorm_src 0
		.amdhsa_exception_fp_ieee_div_zero 0
		.amdhsa_exception_fp_ieee_overflow 0
		.amdhsa_exception_fp_ieee_underflow 0
		.amdhsa_exception_fp_ieee_inexact 0
		.amdhsa_exception_int_div_zero 0
	.end_amdhsa_kernel
	.section	.text._ZN9rocsparseL27csrmvn_symm_adaptive_kernelIli21rocsparse_complex_numIfES2_S2_S2_EEvbT_S3_PKS3_NS_24const_host_device_scalarIT4_EES5_PKT0_PKT1_PKT2_S8_PT3_21rocsparse_index_base_b,"axG",@progbits,_ZN9rocsparseL27csrmvn_symm_adaptive_kernelIli21rocsparse_complex_numIfES2_S2_S2_EEvbT_S3_PKS3_NS_24const_host_device_scalarIT4_EES5_PKT0_PKT1_PKT2_S8_PT3_21rocsparse_index_base_b,comdat
.Lfunc_end27:
	.size	_ZN9rocsparseL27csrmvn_symm_adaptive_kernelIli21rocsparse_complex_numIfES2_S2_S2_EEvbT_S3_PKS3_NS_24const_host_device_scalarIT4_EES5_PKT0_PKT1_PKT2_S8_PT3_21rocsparse_index_base_b, .Lfunc_end27-_ZN9rocsparseL27csrmvn_symm_adaptive_kernelIli21rocsparse_complex_numIfES2_S2_S2_EEvbT_S3_PKS3_NS_24const_host_device_scalarIT4_EES5_PKT0_PKT1_PKT2_S8_PT3_21rocsparse_index_base_b
                                        ; -- End function
	.section	.AMDGPU.csdata,"",@progbits
; Kernel info:
; codeLenInByte = 10980
; NumSgprs: 46
; NumVgprs: 27
; ScratchSize: 0
; MemoryBound: 0
; FloatMode: 240
; IeeeMode: 1
; LDSByteSize: 8192 bytes/workgroup (compile time only)
; SGPRBlocks: 5
; VGPRBlocks: 3
; NumSGPRsForWavesPerEU: 46
; NumVGPRsForWavesPerEU: 27
; Occupancy: 16
; WaveLimiterHint : 1
; COMPUTE_PGM_RSRC2:SCRATCH_EN: 0
; COMPUTE_PGM_RSRC2:USER_SGPR: 15
; COMPUTE_PGM_RSRC2:TRAP_HANDLER: 0
; COMPUTE_PGM_RSRC2:TGID_X_EN: 1
; COMPUTE_PGM_RSRC2:TGID_Y_EN: 0
; COMPUTE_PGM_RSRC2:TGID_Z_EN: 0
; COMPUTE_PGM_RSRC2:TIDIG_COMP_CNT: 0
	.section	.text._ZL33csrmvn_symm_large_adaptive_kernelIli21rocsparse_complex_numIfES1_S1_S1_EvbT_PKS2_N9rocsparse24const_host_device_scalarIT4_EES4_PKT0_PKT1_PKT2_S8_PT3_21rocsparse_index_base_b,"axG",@progbits,_ZL33csrmvn_symm_large_adaptive_kernelIli21rocsparse_complex_numIfES1_S1_S1_EvbT_PKS2_N9rocsparse24const_host_device_scalarIT4_EES4_PKT0_PKT1_PKT2_S8_PT3_21rocsparse_index_base_b,comdat
	.globl	_ZL33csrmvn_symm_large_adaptive_kernelIli21rocsparse_complex_numIfES1_S1_S1_EvbT_PKS2_N9rocsparse24const_host_device_scalarIT4_EES4_PKT0_PKT1_PKT2_S8_PT3_21rocsparse_index_base_b ; -- Begin function _ZL33csrmvn_symm_large_adaptive_kernelIli21rocsparse_complex_numIfES1_S1_S1_EvbT_PKS2_N9rocsparse24const_host_device_scalarIT4_EES4_PKT0_PKT1_PKT2_S8_PT3_21rocsparse_index_base_b
	.p2align	8
	.type	_ZL33csrmvn_symm_large_adaptive_kernelIli21rocsparse_complex_numIfES1_S1_S1_EvbT_PKS2_N9rocsparse24const_host_device_scalarIT4_EES4_PKT0_PKT1_PKT2_S8_PT3_21rocsparse_index_base_b,@function
_ZL33csrmvn_symm_large_adaptive_kernelIli21rocsparse_complex_numIfES1_S1_S1_EvbT_PKS2_N9rocsparse24const_host_device_scalarIT4_EES4_PKT0_PKT1_PKT2_S8_PT3_21rocsparse_index_base_b: ; @_ZL33csrmvn_symm_large_adaptive_kernelIli21rocsparse_complex_numIfES1_S1_S1_EvbT_PKS2_N9rocsparse24const_host_device_scalarIT4_EES4_PKT0_PKT1_PKT2_S8_PT3_21rocsparse_index_base_b
; %bb.0:
	s_clause 0x2
	s_load_b64 s[6:7], s[0:1], 0x50
	s_load_b64 s[8:9], s[0:1], 0x18
	s_load_b64 s[2:3], s[0:1], 0x40
	s_mov_b32 s4, s15
	s_waitcnt lgkmcnt(0)
	s_bitcmp1_b32 s7, 0
	v_mov_b32_e32 v8, s8
	s_cselect_b32 s5, -1, 0
	s_delay_alu instid0(SALU_CYCLE_1)
	s_and_b32 vcc_lo, exec_lo, s5
	s_xor_b32 s5, s5, -1
	s_cbranch_vccz .LBB28_10
; %bb.1:
	v_cndmask_b32_e64 v2, 0, 1, s5
	v_mov_b32_e32 v9, s9
	s_and_not1_b32 vcc_lo, exec_lo, s5
	s_cbranch_vccz .LBB28_11
.LBB28_2:
	s_delay_alu instid0(VALU_DEP_2)
	v_cmp_ne_u32_e32 vcc_lo, 1, v2
	v_mov_b32_e32 v1, s2
	s_cbranch_vccz .LBB28_12
.LBB28_3:
	v_cmp_ne_u32_e32 vcc_lo, 1, v2
	v_mov_b32_e32 v2, s3
	s_cbranch_vccnz .LBB28_5
.LBB28_4:
	v_dual_mov_b32 v2, s2 :: v_dual_mov_b32 v3, s3
	flat_load_b32 v2, v[2:3] offset:4
.LBB28_5:
	s_waitcnt vmcnt(0) lgkmcnt(0)
	v_cmp_eq_f32_e32 vcc_lo, 0, v8
	v_cmp_eq_f32_e64 s2, 0, v9
	s_delay_alu instid0(VALU_DEP_1)
	s_and_b32 s5, vcc_lo, s2
	s_mov_b32 s2, -1
	s_and_saveexec_b32 s3, s5
; %bb.6:
	v_and_b32_e32 v2, 0x7fffffff, v2
	v_cmp_neq_f32_e32 vcc_lo, 1.0, v1
	s_delay_alu instid0(VALU_DEP_2) | instskip(NEXT) | instid1(VALU_DEP_1)
	v_cmp_ne_u32_e64 s2, 0, v2
	s_or_b32 s2, vcc_lo, s2
	s_delay_alu instid0(SALU_CYCLE_1)
	s_or_not1_b32 s2, s2, exec_lo
; %bb.7:
	s_or_b32 exec_lo, exec_lo, s3
	s_and_saveexec_b32 s3, s2
	s_cbranch_execz .LBB28_55
; %bb.8:
	s_clause 0x1
	s_load_b32 s5, s[0:1], 0x0
	s_load_b64 s[8:9], s[0:1], 0x10
	s_mov_b32 s2, 0
	s_delay_alu instid0(SALU_CYCLE_1)
	s_mov_b32 s3, s2
	v_dual_mov_b32 v1, s2 :: v_dual_lshlrev_b32 v10, 3, v0
	v_mov_b32_e32 v2, s3
	ds_store_2addr_stride64_b64 v10, v[1:2], v[1:2] offset1:4
	ds_store_2addr_stride64_b64 v10, v[1:2], v[1:2] offset0:8 offset1:12
	s_waitcnt lgkmcnt(0)
	s_barrier
	buffer_gl0_inv
	s_bitcmp1_b32 s5, 0
	s_cselect_b32 s7, -1, 0
	s_ashr_i32 s5, s4, 31
	s_delay_alu instid0(SALU_CYCLE_1) | instskip(NEXT) | instid1(SALU_CYCLE_1)
	s_lshl_b64 s[4:5], s[4:5], 3
	s_add_u32 s4, s8, s4
	s_addc_u32 s5, s9, s5
	s_load_b128 s[16:19], s[4:5], 0x0
	s_clause 0x1
	s_load_b256 s[8:15], s[0:1], 0x20
	s_load_b64 s[20:21], s[0:1], 0x48
	v_sub_co_u32 v11, s1, v0, s6
	s_delay_alu instid0(VALU_DEP_1) | instskip(SKIP_2) | instid1(VALU_DEP_1)
	v_sub_co_ci_u32_e64 v12, null, 0, 0, s1
	s_waitcnt lgkmcnt(0)
	v_cmp_lt_i64_e64 s0, s[16:17], s[18:19]
	s_and_b32 vcc_lo, exec_lo, s0
	s_cbranch_vccnz .LBB28_13
; %bb.9:
	s_lshl_b64 s[0:1], s[16:17], 3
	s_delay_alu instid0(SALU_CYCLE_1)
	s_add_u32 s0, s8, s0
	s_addc_u32 s1, s9, s1
	s_load_b64 s[22:23], s[0:1], 0x0
	s_and_not1_b32 vcc_lo, exec_lo, s2
	s_cbranch_vccz .LBB28_14
	s_branch .LBB28_43
.LBB28_10:
	v_dual_mov_b32 v1, s8 :: v_dual_mov_b32 v2, s9
	flat_load_b32 v8, v[1:2]
	v_cndmask_b32_e64 v2, 0, 1, s5
	v_mov_b32_e32 v9, s9
	s_and_not1_b32 vcc_lo, exec_lo, s5
	s_cbranch_vccnz .LBB28_2
.LBB28_11:
	v_dual_mov_b32 v3, s8 :: v_dual_mov_b32 v4, s9
	flat_load_b32 v9, v[3:4] offset:4
	v_cmp_ne_u32_e32 vcc_lo, 1, v2
	v_mov_b32_e32 v1, s2
	s_cbranch_vccnz .LBB28_3
.LBB28_12:
	v_dual_mov_b32 v4, s3 :: v_dual_mov_b32 v3, s2
	flat_load_b32 v1, v[3:4]
	v_cmp_ne_u32_e32 vcc_lo, 1, v2
	v_mov_b32_e32 v2, s3
	s_cbranch_vccz .LBB28_4
	s_branch .LBB28_5
.LBB28_13:
                                        ; implicit-def: $sgpr22_sgpr23
.LBB28_14:
	s_lshl_b64 s[0:1], s[16:17], 3
	v_cmp_gt_u32_e64 s2, 16, v0
	s_add_u32 s0, s8, s0
	s_addc_u32 s1, s9, s1
	v_cmp_gt_u32_e64 s3, 4, v0
	s_waitcnt lgkmcnt(0)
	s_load_b64 s[22:23], s[0:1], 0x0
	v_cmp_gt_u32_e64 s0, 0x100, v0
	v_cmp_gt_u32_e64 s1, 64, v0
	v_cmp_eq_u32_e64 s4, 0, v0
	v_mov_b32_e32 v13, 0
	s_add_u32 s33, s8, 8
	s_addc_u32 s34, s9, 0
	s_add_u32 s35, s12, 4
	s_addc_u32 s36, s13, 0
	s_mov_b64 s[24:25], s[16:17]
	s_waitcnt lgkmcnt(0)
	s_mov_b64 s[26:27], s[22:23]
	s_branch .LBB28_16
.LBB28_15:                              ;   in Loop: Header=BB28_16 Depth=1
	s_or_b32 exec_lo, exec_lo, s5
	s_add_u32 s24, s24, 1
	s_addc_u32 s25, s25, 0
	s_delay_alu instid0(SALU_CYCLE_1) | instskip(NEXT) | instid1(VALU_DEP_1)
	v_cmp_ge_i64_e64 s5, s[24:25], s[18:19]
	s_and_b32 vcc_lo, exec_lo, s5
	s_cbranch_vccnz .LBB28_43
.LBB28_16:                              ; =>This Loop Header: Depth=1
                                        ;     Child Loop BB28_18 Depth 2
                                        ;     Child Loop BB28_32 Depth 2
                                        ;     Child Loop BB28_35 Depth 2
                                        ;     Child Loop BB28_38 Depth 2
                                        ;     Child Loop BB28_41 Depth 2
	s_lshl_b64 s[28:29], s[24:25], 3
	s_mov_b64 s[38:39], s[26:27]
	s_add_u32 s30, s33, s28
	s_addc_u32 s31, s34, s29
	v_add_co_u32 v0, vcc_lo, s38, v11
	s_load_b64 s[26:27], s[30:31], 0x0
	v_add_co_ci_u32_e32 v1, vcc_lo, s39, v12, vcc_lo
	v_dual_mov_b32 v3, 0 :: v_dual_mov_b32 v2, 0
	s_mov_b32 s37, exec_lo
	s_waitcnt lgkmcnt(0)
	s_sub_u32 s30, s26, s6
	s_subb_u32 s31, s27, 0
	s_delay_alu instid0(SALU_CYCLE_1)
	v_cmpx_gt_i64_e64 s[30:31], v[0:1]
	s_cbranch_execz .LBB28_20
; %bb.17:                               ;   in Loop: Header=BB28_16 Depth=1
	v_lshlrev_b64 v[4:5], 2, v[0:1]
	v_lshlrev_b64 v[6:7], 3, v[0:1]
	v_mov_b32_e32 v3, 0
	s_mov_b32 s38, 0
	s_delay_alu instid0(VALU_DEP_3) | instskip(NEXT) | instid1(VALU_DEP_4)
	v_add_co_u32 v4, vcc_lo, s10, v4
	v_add_co_ci_u32_e32 v5, vcc_lo, s11, v5, vcc_lo
	s_delay_alu instid0(VALU_DEP_4)
	v_add_co_u32 v6, vcc_lo, s35, v6
	v_add_co_ci_u32_e32 v7, vcc_lo, s36, v7, vcc_lo
	v_mov_b32_e32 v2, v3
	s_set_inst_prefetch_distance 0x1
	.p2align	6
.LBB28_18:                              ;   Parent Loop BB28_16 Depth=1
                                        ; =>  This Inner Loop Header: Depth=2
	global_load_b32 v14, v[4:5], off
	global_load_b64 v[16:17], v[6:7], off offset:-4
	s_waitcnt vmcnt(1)
	v_subrev_nc_u32_e32 v14, s6, v14
	s_waitcnt vmcnt(0)
	v_cndmask_b32_e64 v17, v17, -v17, s7
	s_delay_alu instid0(VALU_DEP_2) | instskip(NEXT) | instid1(VALU_DEP_1)
	v_ashrrev_i32_e32 v15, 31, v14
	v_lshlrev_b64 v[14:15], 3, v[14:15]
	s_delay_alu instid0(VALU_DEP_1) | instskip(NEXT) | instid1(VALU_DEP_2)
	v_add_co_u32 v14, vcc_lo, s14, v14
	v_add_co_ci_u32_e32 v15, vcc_lo, s15, v15, vcc_lo
	v_add_co_u32 v0, vcc_lo, 0x100, v0
	v_add_co_ci_u32_e32 v1, vcc_lo, 0, v1, vcc_lo
	global_load_b64 v[14:15], v[14:15], off
	v_add_co_u32 v4, vcc_lo, 0x400, v4
	v_add_co_ci_u32_e32 v5, vcc_lo, 0, v5, vcc_lo
	v_cmp_le_i64_e64 s5, s[30:31], v[0:1]
	v_add_co_u32 v6, vcc_lo, 0x800, v6
	v_add_co_ci_u32_e32 v7, vcc_lo, 0, v7, vcc_lo
	s_delay_alu instid0(VALU_DEP_3) | instskip(SKIP_3) | instid1(VALU_DEP_2)
	s_or_b32 s38, s5, s38
	s_waitcnt vmcnt(0)
	v_fmac_f32_e32 v2, v16, v14
	v_fmac_f32_e32 v3, v17, v14
	v_fma_f32 v2, -v17, v15, v2
	s_delay_alu instid0(VALU_DEP_2)
	v_fmac_f32_e32 v3, v16, v15
	s_and_not1_b32 exec_lo, exec_lo, s38
	s_cbranch_execnz .LBB28_18
; %bb.19:                               ;   in Loop: Header=BB28_16 Depth=1
	s_set_inst_prefetch_distance 0x2
	s_or_b32 exec_lo, exec_lo, s38
.LBB28_20:                              ;   in Loop: Header=BB28_16 Depth=1
	s_delay_alu instid0(SALU_CYCLE_1)
	s_or_b32 exec_lo, exec_lo, s37
	ds_store_b64 v10, v[2:3]
	s_waitcnt lgkmcnt(0)
	s_barrier
	buffer_gl0_inv
	s_and_saveexec_b32 s5, s0
	s_cbranch_execz .LBB28_22
; %bb.21:                               ;   in Loop: Header=BB28_16 Depth=1
	ds_load_2addr_stride64_b64 v[0:3], v10 offset1:4
	ds_load_2addr_stride64_b64 v[4:7], v10 offset0:8 offset1:12
	s_waitcnt lgkmcnt(0)
	v_dual_add_f32 v2, v4, v2 :: v_dual_add_f32 v3, v5, v3
	s_delay_alu instid0(VALU_DEP_1) | instskip(NEXT) | instid1(VALU_DEP_1)
	v_dual_add_f32 v2, v2, v6 :: v_dual_add_f32 v3, v3, v7
	v_dual_add_f32 v0, v2, v0 :: v_dual_add_f32 v1, v3, v1
	ds_store_b64 v10, v[0:1]
.LBB28_22:                              ;   in Loop: Header=BB28_16 Depth=1
	s_or_b32 exec_lo, exec_lo, s5
	s_waitcnt lgkmcnt(0)
	s_barrier
	buffer_gl0_inv
	s_and_saveexec_b32 s5, s1
	s_cbranch_execz .LBB28_24
; %bb.23:                               ;   in Loop: Header=BB28_16 Depth=1
	ds_load_2addr_stride64_b64 v[0:3], v10 offset1:1
	ds_load_2addr_stride64_b64 v[4:7], v10 offset0:2 offset1:3
	s_waitcnt lgkmcnt(0)
	v_dual_add_f32 v2, v4, v2 :: v_dual_add_f32 v3, v5, v3
	s_delay_alu instid0(VALU_DEP_1) | instskip(NEXT) | instid1(VALU_DEP_1)
	v_dual_add_f32 v2, v2, v6 :: v_dual_add_f32 v3, v3, v7
	v_dual_add_f32 v0, v2, v0 :: v_dual_add_f32 v1, v3, v1
	ds_store_b64 v10, v[0:1]
.LBB28_24:                              ;   in Loop: Header=BB28_16 Depth=1
	s_or_b32 exec_lo, exec_lo, s5
	s_waitcnt lgkmcnt(0)
	s_barrier
	buffer_gl0_inv
	s_and_saveexec_b32 s5, s2
	s_cbranch_execz .LBB28_26
; %bb.25:                               ;   in Loop: Header=BB28_16 Depth=1
	ds_load_2addr_b64 v[0:3], v10 offset1:16
	ds_load_2addr_b64 v[4:7], v10 offset0:32 offset1:48
	s_waitcnt lgkmcnt(0)
	v_dual_add_f32 v2, v4, v2 :: v_dual_add_f32 v3, v5, v3
	s_delay_alu instid0(VALU_DEP_1) | instskip(NEXT) | instid1(VALU_DEP_1)
	v_dual_add_f32 v2, v2, v6 :: v_dual_add_f32 v3, v3, v7
	v_dual_add_f32 v0, v2, v0 :: v_dual_add_f32 v1, v3, v1
	ds_store_b64 v10, v[0:1]
.LBB28_26:                              ;   in Loop: Header=BB28_16 Depth=1
	s_or_b32 exec_lo, exec_lo, s5
	s_waitcnt lgkmcnt(0)
	s_barrier
	buffer_gl0_inv
	s_and_saveexec_b32 s5, s3
	s_cbranch_execz .LBB28_28
; %bb.27:                               ;   in Loop: Header=BB28_16 Depth=1
	ds_load_2addr_b64 v[0:3], v10 offset1:4
	ds_load_2addr_b64 v[4:7], v10 offset0:8 offset1:12
	s_waitcnt lgkmcnt(0)
	v_dual_add_f32 v2, v4, v2 :: v_dual_add_f32 v3, v5, v3
	s_delay_alu instid0(VALU_DEP_1) | instskip(NEXT) | instid1(VALU_DEP_1)
	v_dual_add_f32 v2, v2, v6 :: v_dual_add_f32 v3, v3, v7
	v_dual_add_f32 v0, v2, v0 :: v_dual_add_f32 v1, v3, v1
	ds_store_b64 v10, v[0:1]
.LBB28_28:                              ;   in Loop: Header=BB28_16 Depth=1
	s_or_b32 exec_lo, exec_lo, s5
	s_waitcnt lgkmcnt(0)
	s_barrier
	buffer_gl0_inv
	s_and_saveexec_b32 s5, s4
	s_cbranch_execz .LBB28_30
; %bb.29:                               ;   in Loop: Header=BB28_16 Depth=1
	ds_load_b128 v[0:3], v13 offset:16
	ds_load_b64 v[4:5], v13 offset:8
	ds_load_b64 v[6:7], v10
	s_waitcnt lgkmcnt(1)
	v_dual_add_f32 v0, v0, v4 :: v_dual_add_f32 v1, v1, v5
	s_delay_alu instid0(VALU_DEP_1) | instskip(SKIP_1) | instid1(VALU_DEP_1)
	v_dual_add_f32 v0, v0, v2 :: v_dual_add_f32 v1, v1, v3
	s_waitcnt lgkmcnt(0)
	v_dual_add_f32 v0, v0, v6 :: v_dual_add_f32 v1, v1, v7
	ds_store_b64 v10, v[0:1]
.LBB28_30:                              ;   in Loop: Header=BB28_16 Depth=1
	s_or_b32 exec_lo, exec_lo, s5
	s_waitcnt lgkmcnt(0)
	s_barrier
	buffer_gl0_inv
	s_and_saveexec_b32 s5, s4
	s_cbranch_execz .LBB28_15
; %bb.31:                               ;   in Loop: Header=BB28_16 Depth=1
	ds_load_b64 v[0:1], v13
	v_bfrev_b32_e32 v4, 1
	s_mov_b32 s30, exec_lo
	s_waitcnt lgkmcnt(0)
	v_mul_f32_e64 v2, v1, -v9
	s_delay_alu instid0(VALU_DEP_1)
	v_fmac_f32_e32 v2, v8, v0
.LBB28_32:                              ;   Parent Loop BB28_16 Depth=1
                                        ; =>  This Inner Loop Header: Depth=2
	s_ctz_i32_b32 s31, s30
	s_delay_alu instid0(VALU_DEP_1) | instid1(SALU_CYCLE_1)
	v_readlane_b32 s37, v2, s31
	s_lshl_b32 s31, 1, s31
	s_delay_alu instid0(SALU_CYCLE_1) | instskip(NEXT) | instid1(SALU_CYCLE_1)
	s_and_not1_b32 s30, s30, s31
	s_cmp_lg_u32 s30, 0
	s_delay_alu instid0(VALU_DEP_1)
	v_add_f32_e32 v4, s37, v4
	s_cbranch_scc1 .LBB28_32
; %bb.33:                               ;   in Loop: Header=BB28_16 Depth=1
	v_mbcnt_lo_u32_b32 v2, exec_lo, 0
	s_add_u32 s28, s20, s28
	s_addc_u32 s29, s21, s29
	s_mov_b32 s30, exec_lo
	s_delay_alu instid0(VALU_DEP_1)
	v_cmpx_eq_u32_e32 0, v2
	s_xor_b32 s30, exec_lo, s30
	s_cbranch_execz .LBB28_37
; %bb.34:                               ;   in Loop: Header=BB28_16 Depth=1
	global_load_b32 v3, v13, s[28:29]
	s_mov_b32 s31, 0
.LBB28_35:                              ;   Parent Loop BB28_16 Depth=1
                                        ; =>  This Inner Loop Header: Depth=2
	s_waitcnt vmcnt(0)
	v_add_f32_e32 v2, v3, v4
	global_atomic_cmpswap_b32 v2, v13, v[2:3], s[28:29] glc
	s_waitcnt vmcnt(0)
	v_cmp_eq_u32_e32 vcc_lo, v2, v3
	v_mov_b32_e32 v3, v2
	s_or_b32 s31, vcc_lo, s31
	s_delay_alu instid0(SALU_CYCLE_1)
	s_and_not1_b32 exec_lo, exec_lo, s31
	s_cbranch_execnz .LBB28_35
; %bb.36:                               ;   in Loop: Header=BB28_16 Depth=1
	s_or_b32 exec_lo, exec_lo, s31
.LBB28_37:                              ;   in Loop: Header=BB28_16 Depth=1
	s_delay_alu instid0(SALU_CYCLE_1) | instskip(SKIP_3) | instid1(VALU_DEP_2)
	s_or_b32 exec_lo, exec_lo, s30
	v_mul_f32_e32 v1, v1, v8
	v_bfrev_b32_e32 v2, 1
	s_mov_b32 s30, exec_lo
	v_fmac_f32_e32 v1, v9, v0
.LBB28_38:                              ;   Parent Loop BB28_16 Depth=1
                                        ; =>  This Inner Loop Header: Depth=2
	s_ctz_i32_b32 s31, s30
	s_delay_alu instid0(VALU_DEP_1) | instid1(SALU_CYCLE_1)
	v_readlane_b32 s37, v1, s31
	s_lshl_b32 s31, 1, s31
	s_delay_alu instid0(SALU_CYCLE_1) | instskip(NEXT) | instid1(SALU_CYCLE_1)
	s_and_not1_b32 s30, s30, s31
	s_cmp_lg_u32 s30, 0
	s_delay_alu instid0(VALU_DEP_1)
	v_add_f32_e32 v2, s37, v2
	s_cbranch_scc1 .LBB28_38
; %bb.39:                               ;   in Loop: Header=BB28_16 Depth=1
	v_mbcnt_lo_u32_b32 v0, exec_lo, 0
	s_mov_b32 s30, exec_lo
	s_delay_alu instid0(VALU_DEP_1)
	v_cmpx_eq_u32_e32 0, v0
	s_xor_b32 s30, exec_lo, s30
	s_cbranch_execz .LBB28_15
; %bb.40:                               ;   in Loop: Header=BB28_16 Depth=1
	global_load_b32 v1, v13, s[28:29] offset:4
	s_mov_b32 s30, 0
.LBB28_41:                              ;   Parent Loop BB28_16 Depth=1
                                        ; =>  This Inner Loop Header: Depth=2
	s_waitcnt vmcnt(0)
	v_add_f32_e32 v0, v1, v2
	global_atomic_cmpswap_b32 v0, v13, v[0:1], s[28:29] offset:4 glc
	s_waitcnt vmcnt(0)
	v_cmp_eq_u32_e32 vcc_lo, v0, v1
	v_mov_b32_e32 v1, v0
	s_or_b32 s30, vcc_lo, s30
	s_delay_alu instid0(SALU_CYCLE_1)
	s_and_not1_b32 exec_lo, exec_lo, s30
	s_cbranch_execnz .LBB28_41
; %bb.42:                               ;   in Loop: Header=BB28_16 Depth=1
	s_or_b32 exec_lo, exec_lo, s30
	s_branch .LBB28_15
.LBB28_43:
	s_lshl_b64 s[0:1], s[18:19], 3
	s_waitcnt lgkmcnt(0)
	v_add_co_u32 v0, vcc_lo, s22, v11
	s_add_u32 s0, s8, s0
	s_addc_u32 s1, s9, s1
	v_add_co_ci_u32_e32 v1, vcc_lo, s23, v12, vcc_lo
	s_load_b64 s[0:1], s[0:1], 0x0
	s_waitcnt lgkmcnt(0)
	s_sub_u32 s2, s0, s6
	s_subb_u32 s3, s1, 0
	s_delay_alu instid0(SALU_CYCLE_1)
	v_cmp_gt_i64_e32 vcc_lo, s[2:3], v[0:1]
	s_and_b32 exec_lo, exec_lo, vcc_lo
	s_cbranch_execz .LBB28_55
; %bb.44:
	s_add_u32 s4, s18, -1
	s_addc_u32 s5, s19, -1
	s_add_u32 s0, s18, -2
	v_cmp_gt_i64_e64 s18, s[4:5], s[16:17]
	s_addc_u32 s1, s19, -1
	s_delay_alu instid0(SALU_CYCLE_1)
	s_cmp_lg_u64 s[0:1], s[16:17]
	s_cselect_b32 s0, -1, 0
	s_delay_alu instid0(VALU_DEP_1) | instid1(SALU_CYCLE_1)
	s_and_b32 s1, s18, s0
	s_mov_b32 s18, 0
	s_branch .LBB28_46
.LBB28_45:                              ;   in Loop: Header=BB28_46 Depth=1
	s_or_b32 exec_lo, exec_lo, s0
	v_add_co_u32 v0, vcc_lo, 0x100, v0
	v_add_co_ci_u32_e32 v1, vcc_lo, 0, v1, vcc_lo
	s_delay_alu instid0(VALU_DEP_1) | instskip(SKIP_1) | instid1(SALU_CYCLE_1)
	v_cmp_le_i64_e32 vcc_lo, s[2:3], v[0:1]
	s_or_b32 s18, vcc_lo, s18
	s_and_not1_b32 exec_lo, exec_lo, s18
	s_cbranch_execz .LBB28_55
.LBB28_46:                              ; =>This Loop Header: Depth=1
                                        ;     Child Loop BB28_48 Depth 2
                                        ;     Child Loop BB28_52 Depth 2
	;; [unrolled: 1-line block ×3, first 2 shown]
	v_dual_mov_b32 v2, s16 :: v_dual_mov_b32 v3, s17
	v_dual_mov_b32 v4, s4 :: v_dual_mov_b32 v5, s5
	s_and_not1_b32 vcc_lo, exec_lo, s1
	s_cbranch_vccnz .LBB28_50
; %bb.47:                               ;   in Loop: Header=BB28_46 Depth=1
	v_dual_mov_b32 v2, s16 :: v_dual_mov_b32 v3, s17
	v_dual_mov_b32 v4, s4 :: v_dual_mov_b32 v5, s5
	s_mov_b32 s19, 0
	s_set_inst_prefetch_distance 0x1
	.p2align	6
.LBB28_48:                              ;   Parent Loop BB28_46 Depth=1
                                        ; =>  This Inner Loop Header: Depth=2
	s_delay_alu instid0(VALU_DEP_1) | instskip(NEXT) | instid1(VALU_DEP_2)
	v_add_co_u32 v6, vcc_lo, v4, v2
	v_add_co_ci_u32_e32 v7, vcc_lo, v5, v3, vcc_lo
	s_delay_alu instid0(VALU_DEP_1) | instskip(NEXT) | instid1(VALU_DEP_1)
	v_lshrrev_b32_e32 v10, 31, v7
	v_add_co_u32 v6, vcc_lo, v6, v10
	v_add_co_ci_u32_e32 v7, vcc_lo, 0, v7, vcc_lo
	s_delay_alu instid0(VALU_DEP_1) | instskip(NEXT) | instid1(VALU_DEP_1)
	v_ashrrev_i64 v[6:7], 1, v[6:7]
	v_lshlrev_b64 v[10:11], 3, v[6:7]
	s_delay_alu instid0(VALU_DEP_1) | instskip(NEXT) | instid1(VALU_DEP_2)
	v_add_co_u32 v10, vcc_lo, s8, v10
	v_add_co_ci_u32_e32 v11, vcc_lo, s9, v11, vcc_lo
	global_load_b64 v[10:11], v[10:11], off
	s_waitcnt vmcnt(0)
	v_sub_co_u32 v10, vcc_lo, v10, s6
	v_subrev_co_ci_u32_e32 v11, vcc_lo, 0, v11, vcc_lo
	s_delay_alu instid0(VALU_DEP_1) | instskip(SKIP_2) | instid1(VALU_DEP_2)
	v_cmp_gt_i64_e32 vcc_lo, v[10:11], v[0:1]
	v_dual_cndmask_b32 v5, v5, v7 :: v_dual_cndmask_b32 v4, v4, v6
	v_dual_cndmask_b32 v3, v7, v3 :: v_dual_cndmask_b32 v2, v6, v2
	v_add_co_u32 v6, vcc_lo, v4, -1
	s_delay_alu instid0(VALU_DEP_3) | instskip(NEXT) | instid1(VALU_DEP_3)
	v_add_co_ci_u32_e32 v7, vcc_lo, -1, v5, vcc_lo
	v_cmp_ge_i64_e32 vcc_lo, v[2:3], v[4:5]
	s_delay_alu instid0(VALU_DEP_2) | instskip(NEXT) | instid1(VALU_DEP_1)
	v_cmp_eq_u64_e64 s0, v[2:3], v[6:7]
	s_or_b32 s0, vcc_lo, s0
	s_delay_alu instid0(SALU_CYCLE_1) | instskip(NEXT) | instid1(SALU_CYCLE_1)
	s_and_b32 s0, exec_lo, s0
	s_or_b32 s19, s0, s19
	s_delay_alu instid0(SALU_CYCLE_1)
	s_and_not1_b32 exec_lo, exec_lo, s19
	s_cbranch_execnz .LBB28_48
; %bb.49:                               ;   in Loop: Header=BB28_46 Depth=1
	s_set_inst_prefetch_distance 0x2
	s_or_b32 exec_lo, exec_lo, s19
.LBB28_50:                              ;   in Loop: Header=BB28_46 Depth=1
	s_delay_alu instid0(VALU_DEP_1) | instskip(SKIP_2) | instid1(VALU_DEP_2)
	v_lshlrev_b64 v[6:7], 3, v[4:5]
	v_lshlrev_b64 v[10:11], 2, v[0:1]
	s_mov_b32 s0, exec_lo
	v_add_co_u32 v6, vcc_lo, s8, v6
	s_delay_alu instid0(VALU_DEP_3) | instskip(NEXT) | instid1(VALU_DEP_3)
	v_add_co_ci_u32_e32 v7, vcc_lo, s9, v7, vcc_lo
	v_add_co_u32 v10, vcc_lo, s10, v10
	s_delay_alu instid0(VALU_DEP_4)
	v_add_co_ci_u32_e32 v11, vcc_lo, s11, v11, vcc_lo
	global_load_b64 v[6:7], v[6:7], off
	global_load_b32 v10, v[10:11], off
	s_waitcnt vmcnt(1)
	v_sub_co_u32 v6, vcc_lo, v6, s6
	v_subrev_co_ci_u32_e32 v7, vcc_lo, 0, v7, vcc_lo
	s_delay_alu instid0(VALU_DEP_1) | instskip(SKIP_2) | instid1(VALU_DEP_1)
	v_cmp_gt_i64_e32 vcc_lo, v[6:7], v[0:1]
	s_waitcnt vmcnt(0)
	v_subrev_nc_u32_e32 v6, s6, v10
	v_ashrrev_i32_e32 v7, 31, v6
	v_dual_cndmask_b32 v3, v5, v3 :: v_dual_cndmask_b32 v2, v4, v2
	s_delay_alu instid0(VALU_DEP_1)
	v_cmpx_ne_u64_e64 v[2:3], v[6:7]
	s_cbranch_execz .LBB28_45
; %bb.51:                               ;   in Loop: Header=BB28_46 Depth=1
	v_lshlrev_b64 v[4:5], 3, v[0:1]
	v_lshlrev_b64 v[2:3], 3, v[2:3]
	;; [unrolled: 1-line block ×3, first 2 shown]
	s_mov_b32 s19, 0
	s_delay_alu instid0(VALU_DEP_3) | instskip(NEXT) | instid1(VALU_DEP_4)
	v_add_co_u32 v4, vcc_lo, s12, v4
	v_add_co_ci_u32_e32 v5, vcc_lo, s13, v5, vcc_lo
	s_delay_alu instid0(VALU_DEP_4)
	v_add_co_u32 v2, vcc_lo, s14, v2
	v_add_co_ci_u32_e32 v3, vcc_lo, s15, v3, vcc_lo
	global_load_b64 v[12:13], v[4:5], off
	global_load_b64 v[4:5], v[2:3], off
	v_add_co_u32 v2, vcc_lo, s20, v6
	v_add_co_ci_u32_e32 v3, vcc_lo, s21, v7, vcc_lo
	global_load_b32 v7, v[2:3], off
	s_waitcnt vmcnt(2)
	v_cndmask_b32_e64 v6, v13, -v13, s7
	s_delay_alu instid0(VALU_DEP_1) | instskip(SKIP_1) | instid1(VALU_DEP_2)
	v_mul_f32_e32 v10, v6, v8
	v_mul_f32_e64 v11, v6, -v9
	v_fmac_f32_e32 v10, v9, v12
	s_delay_alu instid0(VALU_DEP_2) | instskip(SKIP_1) | instid1(VALU_DEP_2)
	v_fmac_f32_e32 v11, v8, v12
	s_waitcnt vmcnt(1)
	v_mul_f32_e64 v12, v5, -v10
	s_delay_alu instid0(VALU_DEP_1)
	v_fmac_f32_e32 v12, v11, v4
.LBB28_52:                              ;   Parent Loop BB28_46 Depth=1
                                        ; =>  This Inner Loop Header: Depth=2
	s_waitcnt vmcnt(0)
	s_delay_alu instid0(VALU_DEP_1)
	v_add_f32_e32 v6, v7, v12
	global_atomic_cmpswap_b32 v6, v[2:3], v[6:7], off glc
	s_waitcnt vmcnt(0)
	v_cmp_eq_u32_e32 vcc_lo, v6, v7
	v_mov_b32_e32 v7, v6
	s_or_b32 s19, vcc_lo, s19
	s_delay_alu instid0(SALU_CYCLE_1)
	s_and_not1_b32 exec_lo, exec_lo, s19
	s_cbranch_execnz .LBB28_52
; %bb.53:                               ;   in Loop: Header=BB28_46 Depth=1
	s_or_b32 exec_lo, exec_lo, s19
	global_load_b32 v6, v[2:3], off offset:4
	v_mul_f32_e32 v7, v5, v11
	s_mov_b32 s19, 0
	s_delay_alu instid0(VALU_DEP_1)
	v_fmac_f32_e32 v7, v10, v4
.LBB28_54:                              ;   Parent Loop BB28_46 Depth=1
                                        ; =>  This Inner Loop Header: Depth=2
	s_waitcnt vmcnt(0)
	s_delay_alu instid0(VALU_DEP_1)
	v_add_f32_e32 v5, v6, v7
	global_atomic_cmpswap_b32 v4, v[2:3], v[5:6], off offset:4 glc
	s_waitcnt vmcnt(0)
	v_cmp_eq_u32_e32 vcc_lo, v4, v6
	v_mov_b32_e32 v6, v4
	s_or_b32 s19, vcc_lo, s19
	s_delay_alu instid0(SALU_CYCLE_1)
	s_and_not1_b32 exec_lo, exec_lo, s19
	s_cbranch_execnz .LBB28_54
	s_branch .LBB28_45
.LBB28_55:
	s_endpgm
	.section	.rodata,"a",@progbits
	.p2align	6, 0x0
	.amdhsa_kernel _ZL33csrmvn_symm_large_adaptive_kernelIli21rocsparse_complex_numIfES1_S1_S1_EvbT_PKS2_N9rocsparse24const_host_device_scalarIT4_EES4_PKT0_PKT1_PKT2_S8_PT3_21rocsparse_index_base_b
		.amdhsa_group_segment_fixed_size 8192
		.amdhsa_private_segment_fixed_size 0
		.amdhsa_kernarg_size 88
		.amdhsa_user_sgpr_count 15
		.amdhsa_user_sgpr_dispatch_ptr 0
		.amdhsa_user_sgpr_queue_ptr 0
		.amdhsa_user_sgpr_kernarg_segment_ptr 1
		.amdhsa_user_sgpr_dispatch_id 0
		.amdhsa_user_sgpr_private_segment_size 0
		.amdhsa_wavefront_size32 1
		.amdhsa_uses_dynamic_stack 0
		.amdhsa_enable_private_segment 0
		.amdhsa_system_sgpr_workgroup_id_x 1
		.amdhsa_system_sgpr_workgroup_id_y 0
		.amdhsa_system_sgpr_workgroup_id_z 0
		.amdhsa_system_sgpr_workgroup_info 0
		.amdhsa_system_vgpr_workitem_id 0
		.amdhsa_next_free_vgpr 18
		.amdhsa_next_free_sgpr 40
		.amdhsa_reserve_vcc 1
		.amdhsa_float_round_mode_32 0
		.amdhsa_float_round_mode_16_64 0
		.amdhsa_float_denorm_mode_32 3
		.amdhsa_float_denorm_mode_16_64 3
		.amdhsa_dx10_clamp 1
		.amdhsa_ieee_mode 1
		.amdhsa_fp16_overflow 0
		.amdhsa_workgroup_processor_mode 1
		.amdhsa_memory_ordered 1
		.amdhsa_forward_progress 0
		.amdhsa_shared_vgpr_count 0
		.amdhsa_exception_fp_ieee_invalid_op 0
		.amdhsa_exception_fp_denorm_src 0
		.amdhsa_exception_fp_ieee_div_zero 0
		.amdhsa_exception_fp_ieee_overflow 0
		.amdhsa_exception_fp_ieee_underflow 0
		.amdhsa_exception_fp_ieee_inexact 0
		.amdhsa_exception_int_div_zero 0
	.end_amdhsa_kernel
	.section	.text._ZL33csrmvn_symm_large_adaptive_kernelIli21rocsparse_complex_numIfES1_S1_S1_EvbT_PKS2_N9rocsparse24const_host_device_scalarIT4_EES4_PKT0_PKT1_PKT2_S8_PT3_21rocsparse_index_base_b,"axG",@progbits,_ZL33csrmvn_symm_large_adaptive_kernelIli21rocsparse_complex_numIfES1_S1_S1_EvbT_PKS2_N9rocsparse24const_host_device_scalarIT4_EES4_PKT0_PKT1_PKT2_S8_PT3_21rocsparse_index_base_b,comdat
.Lfunc_end28:
	.size	_ZL33csrmvn_symm_large_adaptive_kernelIli21rocsparse_complex_numIfES1_S1_S1_EvbT_PKS2_N9rocsparse24const_host_device_scalarIT4_EES4_PKT0_PKT1_PKT2_S8_PT3_21rocsparse_index_base_b, .Lfunc_end28-_ZL33csrmvn_symm_large_adaptive_kernelIli21rocsparse_complex_numIfES1_S1_S1_EvbT_PKS2_N9rocsparse24const_host_device_scalarIT4_EES4_PKT0_PKT1_PKT2_S8_PT3_21rocsparse_index_base_b
                                        ; -- End function
	.section	.AMDGPU.csdata,"",@progbits
; Kernel info:
; codeLenInByte = 2592
; NumSgprs: 42
; NumVgprs: 18
; ScratchSize: 0
; MemoryBound: 0
; FloatMode: 240
; IeeeMode: 1
; LDSByteSize: 8192 bytes/workgroup (compile time only)
; SGPRBlocks: 5
; VGPRBlocks: 2
; NumSGPRsForWavesPerEU: 42
; NumVGPRsForWavesPerEU: 18
; Occupancy: 16
; WaveLimiterHint : 1
; COMPUTE_PGM_RSRC2:SCRATCH_EN: 0
; COMPUTE_PGM_RSRC2:USER_SGPR: 15
; COMPUTE_PGM_RSRC2:TRAP_HANDLER: 0
; COMPUTE_PGM_RSRC2:TGID_X_EN: 1
; COMPUTE_PGM_RSRC2:TGID_Y_EN: 0
; COMPUTE_PGM_RSRC2:TGID_Z_EN: 0
; COMPUTE_PGM_RSRC2:TIDIG_COMP_CNT: 0
	.section	.text._ZN9rocsparseL22csrmvn_adaptive_kernelIll21rocsparse_complex_numIfES2_S2_S2_EEvbT_PKS3_PjPKT0_NS_24const_host_device_scalarIT4_EES5_S9_PKT1_PKT2_SC_PT3_21rocsparse_index_base_b,"axG",@progbits,_ZN9rocsparseL22csrmvn_adaptive_kernelIll21rocsparse_complex_numIfES2_S2_S2_EEvbT_PKS3_PjPKT0_NS_24const_host_device_scalarIT4_EES5_S9_PKT1_PKT2_SC_PT3_21rocsparse_index_base_b,comdat
	.globl	_ZN9rocsparseL22csrmvn_adaptive_kernelIll21rocsparse_complex_numIfES2_S2_S2_EEvbT_PKS3_PjPKT0_NS_24const_host_device_scalarIT4_EES5_S9_PKT1_PKT2_SC_PT3_21rocsparse_index_base_b ; -- Begin function _ZN9rocsparseL22csrmvn_adaptive_kernelIll21rocsparse_complex_numIfES2_S2_S2_EEvbT_PKS3_PjPKT0_NS_24const_host_device_scalarIT4_EES5_S9_PKT1_PKT2_SC_PT3_21rocsparse_index_base_b
	.p2align	8
	.type	_ZN9rocsparseL22csrmvn_adaptive_kernelIll21rocsparse_complex_numIfES2_S2_S2_EEvbT_PKS3_PjPKT0_NS_24const_host_device_scalarIT4_EES5_S9_PKT1_PKT2_SC_PT3_21rocsparse_index_base_b,@function
_ZN9rocsparseL22csrmvn_adaptive_kernelIll21rocsparse_complex_numIfES2_S2_S2_EEvbT_PKS3_PjPKT0_NS_24const_host_device_scalarIT4_EES5_S9_PKT1_PKT2_SC_PT3_21rocsparse_index_base_b: ; @_ZN9rocsparseL22csrmvn_adaptive_kernelIll21rocsparse_complex_numIfES2_S2_S2_EEvbT_PKS3_PjPKT0_NS_24const_host_device_scalarIT4_EES5_S9_PKT1_PKT2_SC_PT3_21rocsparse_index_base_b
; %bb.0:
	s_clause 0x2
	s_load_b64 s[34:35], s[0:1], 0x60
	s_load_b64 s[4:5], s[0:1], 0x28
	;; [unrolled: 1-line block ×3, first 2 shown]
	s_mov_b32 s38, s15
	s_waitcnt lgkmcnt(0)
	s_bitcmp1_b32 s35, 0
	v_mov_b32_e32 v9, s4
	s_cselect_b32 s6, -1, 0
	s_delay_alu instid0(SALU_CYCLE_1)
	s_and_b32 vcc_lo, exec_lo, s6
	s_xor_b32 s6, s6, -1
	s_cbranch_vccz .LBB29_37
; %bb.1:
	v_cndmask_b32_e64 v1, 0, 1, s6
	v_mov_b32_e32 v10, s5
	s_and_not1_b32 vcc_lo, exec_lo, s6
	s_cbranch_vccz .LBB29_38
.LBB29_2:
	s_delay_alu instid0(VALU_DEP_2)
	v_cmp_ne_u32_e32 vcc_lo, 1, v1
	v_mov_b32_e32 v13, s2
	s_cbranch_vccz .LBB29_39
.LBB29_3:
	v_cmp_ne_u32_e32 vcc_lo, 1, v1
	v_mov_b32_e32 v14, s3
	s_cbranch_vccnz .LBB29_5
.LBB29_4:
	v_dual_mov_b32 v1, s2 :: v_dual_mov_b32 v2, s3
	flat_load_b32 v14, v[1:2] offset:4
.LBB29_5:
	s_waitcnt vmcnt(0) lgkmcnt(0)
	v_cmp_eq_f32_e32 vcc_lo, 0, v9
	v_cmp_eq_f32_e64 s2, 0, v10
	s_delay_alu instid0(VALU_DEP_1)
	s_and_b32 s4, vcc_lo, s2
	s_mov_b32 s2, -1
	s_and_saveexec_b32 s3, s4
; %bb.6:
	v_cmp_neq_f32_e32 vcc_lo, 1.0, v13
	v_cmp_neq_f32_e64 s2, 0, v14
	s_delay_alu instid0(VALU_DEP_1) | instskip(NEXT) | instid1(SALU_CYCLE_1)
	s_or_b32 s2, vcc_lo, s2
	s_or_not1_b32 s2, s2, exec_lo
; %bb.7:
	s_or_b32 exec_lo, exec_lo, s3
	s_and_saveexec_b32 s3, s2
	s_cbranch_execz .LBB29_125
; %bb.8:
	s_clause 0x3
	s_load_b64 s[4:5], s[0:1], 0x20
	s_load_b32 s6, s[0:1], 0x0
	s_load_b64 s[2:3], s[0:1], 0x10
	s_load_b64 s[24:25], s[0:1], 0x58
	s_waitcnt lgkmcnt(0)
	s_bitcmp1_b32 s6, 0
	s_cselect_b32 s33, -1, 0
	s_ashr_i32 s39, s38, 31
	s_delay_alu instid0(SALU_CYCLE_1) | instskip(NEXT) | instid1(SALU_CYCLE_1)
	s_lshl_b64 s[6:7], s[38:39], 3
	s_add_u32 s2, s2, s6
	s_addc_u32 s3, s3, s7
	s_load_b128 s[20:23], s[2:3], 0x0
	s_load_b256 s[12:19], s[0:1], 0x30
	s_waitcnt lgkmcnt(0)
	s_sub_u32 s2, s22, s20
	s_subb_u32 s3, s23, s21
	s_add_u32 s4, s4, s6
	s_addc_u32 s5, s5, s7
	s_lshl_b64 s[36:37], s[20:21], 3
	s_delay_alu instid0(SALU_CYCLE_1) | instskip(SKIP_4) | instid1(VALU_DEP_1)
	s_add_u32 s30, s12, s36
	s_addc_u32 s31, s13, s37
	s_load_b64 s[26:27], s[4:5], 0x0
	s_load_b64 s[28:29], s[30:31], 0x0
	v_cmp_lt_i64_e64 s4, s[2:3], 2
	s_and_b32 vcc_lo, exec_lo, s4
	s_mov_b32 s4, -1
	s_cbranch_vccz .LBB29_81
; %bb.9:
	s_cmp_lg_u64 s[2:3], 1
	s_cselect_b32 s2, -1, 0
	s_waitcnt lgkmcnt(0)
	s_cmp_lg_u64 s[26:27], 0
	s_cselect_b32 s3, -1, 0
	s_delay_alu instid0(SALU_CYCLE_1) | instskip(NEXT) | instid1(SALU_CYCLE_1)
	s_or_b32 s2, s2, s3
	s_and_b32 vcc_lo, exec_lo, s2
	s_mov_b32 s2, -1
	s_cbranch_vccnz .LBB29_41
; %bb.10:
	v_cmp_le_i64_e64 s2, s[22:23], s[20:21]
	s_delay_alu instid0(VALU_DEP_1)
	s_and_b32 vcc_lo, exec_lo, s2
	s_cbranch_vccnz .LBB29_40
; %bb.11:
	v_cmp_neq_f32_e32 vcc_lo, 0, v13
	v_cmp_neq_f32_e64 s10, 0, v14
	v_sub_co_u32 v11, s2, v0, s34
	s_delay_alu instid0(VALU_DEP_1) | instskip(NEXT) | instid1(VALU_DEP_3)
	v_sub_co_ci_u32_e64 v12, null, 0, 0, s2
	s_or_b32 s11, vcc_lo, s10
	v_dual_mov_b32 v16, 0 :: v_dual_lshlrev_b32 v15, 3, v0
	v_cmp_gt_u32_e64 s2, 0x80, v0
	v_cmp_gt_u32_e64 s3, 64, v0
	;; [unrolled: 1-line block ×7, first 2 shown]
	v_cmp_eq_u32_e64 s9, 0, v0
	s_add_u32 s35, s12, 8
	s_addc_u32 s48, s13, 0
	s_add_u32 s49, s16, 4
	s_addc_u32 s50, s17, 0
	s_mov_b64 s[42:43], s[28:29]
	s_mov_b64 s[40:41], s[20:21]
	s_branch .LBB29_14
.LBB29_12:                              ;   in Loop: Header=BB29_14 Depth=1
	s_or_b32 exec_lo, exec_lo, s46
	s_add_u32 s44, s24, s44
	s_addc_u32 s45, s25, s45
	s_waitcnt lgkmcnt(0)
	global_store_b64 v16, v[1:2], s[44:45]
.LBB29_13:                              ;   in Loop: Header=BB29_14 Depth=1
	s_or_b32 exec_lo, exec_lo, s10
	s_add_u32 s40, s40, 1
	s_addc_u32 s41, s41, 0
	s_delay_alu instid0(SALU_CYCLE_1) | instskip(NEXT) | instid1(VALU_DEP_1)
	v_cmp_ge_i64_e64 s10, s[40:41], s[22:23]
	s_and_b32 vcc_lo, exec_lo, s10
	s_cbranch_vccnz .LBB29_40
.LBB29_14:                              ; =>This Loop Header: Depth=1
                                        ;     Child Loop BB29_16 Depth 2
	s_lshl_b64 s[44:45], s[40:41], 3
	s_mov_b64 s[52:53], s[42:43]
	s_add_u32 s46, s35, s44
	s_addc_u32 s47, s48, s45
	v_add_co_u32 v1, vcc_lo, s52, v11
	s_load_b64 s[42:43], s[46:47], 0x0
	v_add_co_ci_u32_e32 v2, vcc_lo, s53, v12, vcc_lo
	v_dual_mov_b32 v4, 0 :: v_dual_mov_b32 v3, 0
	s_mov_b32 s51, exec_lo
	s_waitcnt lgkmcnt(0)
	s_sub_u32 s46, s42, s34
	s_subb_u32 s47, s43, 0
	s_delay_alu instid0(SALU_CYCLE_1)
	v_cmpx_gt_i64_e64 s[46:47], v[1:2]
	s_cbranch_execz .LBB29_18
; %bb.15:                               ;   in Loop: Header=BB29_14 Depth=1
	v_lshlrev_b64 v[7:8], 3, v[1:2]
	v_mov_b32_e32 v4, 0
	s_mov_b32 s52, 0
	s_delay_alu instid0(VALU_DEP_1) | instskip(NEXT) | instid1(VALU_DEP_3)
	v_mov_b32_e32 v3, v4
	v_add_co_u32 v5, vcc_lo, s49, v7
	s_delay_alu instid0(VALU_DEP_4)
	v_add_co_ci_u32_e32 v6, vcc_lo, s50, v8, vcc_lo
	v_add_co_u32 v7, vcc_lo, s14, v7
	v_add_co_ci_u32_e32 v8, vcc_lo, s15, v8, vcc_lo
	s_set_inst_prefetch_distance 0x1
	.p2align	6
.LBB29_16:                              ;   Parent Loop BB29_14 Depth=1
                                        ; =>  This Inner Loop Header: Depth=2
	global_load_b64 v[17:18], v[7:8], off
	global_load_b64 v[19:20], v[5:6], off offset:-4
	s_waitcnt vmcnt(1)
	v_sub_co_u32 v17, vcc_lo, v17, s34
	v_subrev_co_ci_u32_e32 v18, vcc_lo, 0, v18, vcc_lo
	s_waitcnt vmcnt(0)
	v_cndmask_b32_e64 v20, v20, -v20, s33
	s_delay_alu instid0(VALU_DEP_2) | instskip(NEXT) | instid1(VALU_DEP_2)
	v_lshlrev_b64 v[17:18], 3, v[17:18]
	v_mul_f32_e64 v21, v20, -v10
	v_mul_f32_e32 v20, v20, v9
	s_delay_alu instid0(VALU_DEP_3) | instskip(NEXT) | instid1(VALU_DEP_3)
	v_add_co_u32 v17, vcc_lo, s18, v17
	v_fmac_f32_e32 v21, v9, v19
	v_add_co_ci_u32_e32 v18, vcc_lo, s19, v18, vcc_lo
	v_add_co_u32 v1, vcc_lo, 0x100, v1
	v_add_co_ci_u32_e32 v2, vcc_lo, 0, v2, vcc_lo
	global_load_b64 v[17:18], v[17:18], off
	v_fmac_f32_e32 v20, v10, v19
	v_add_co_u32 v5, vcc_lo, 0x800, v5
	v_add_co_ci_u32_e32 v6, vcc_lo, 0, v6, vcc_lo
	v_cmp_le_i64_e64 s10, s[46:47], v[1:2]
	v_add_co_u32 v7, vcc_lo, 0x800, v7
	v_add_co_ci_u32_e32 v8, vcc_lo, 0, v8, vcc_lo
	s_delay_alu instid0(VALU_DEP_3) | instskip(SKIP_3) | instid1(VALU_DEP_2)
	s_or_b32 s52, s10, s52
	s_waitcnt vmcnt(0)
	v_fmac_f32_e32 v3, v21, v17
	v_fmac_f32_e32 v4, v20, v17
	v_fma_f32 v3, -v20, v18, v3
	s_delay_alu instid0(VALU_DEP_2)
	v_fmac_f32_e32 v4, v21, v18
	s_and_not1_b32 exec_lo, exec_lo, s52
	s_cbranch_execnz .LBB29_16
; %bb.17:                               ;   in Loop: Header=BB29_14 Depth=1
	s_set_inst_prefetch_distance 0x2
	s_or_b32 exec_lo, exec_lo, s52
.LBB29_18:                              ;   in Loop: Header=BB29_14 Depth=1
	s_delay_alu instid0(SALU_CYCLE_1)
	s_or_b32 exec_lo, exec_lo, s51
	ds_store_b64 v15, v[3:4]
	s_waitcnt lgkmcnt(0)
	s_waitcnt_vscnt null, 0x0
	s_barrier
	buffer_gl0_inv
	s_and_saveexec_b32 s10, s2
	s_cbranch_execz .LBB29_20
; %bb.19:                               ;   in Loop: Header=BB29_14 Depth=1
	ds_load_2addr_stride64_b64 v[1:4], v15 offset1:2
	s_waitcnt lgkmcnt(0)
	v_dual_add_f32 v1, v3, v1 :: v_dual_add_f32 v2, v4, v2
	ds_store_b64 v15, v[1:2]
.LBB29_20:                              ;   in Loop: Header=BB29_14 Depth=1
	s_or_b32 exec_lo, exec_lo, s10
	s_waitcnt lgkmcnt(0)
	s_barrier
	buffer_gl0_inv
	s_and_saveexec_b32 s10, s3
	s_cbranch_execz .LBB29_22
; %bb.21:                               ;   in Loop: Header=BB29_14 Depth=1
	ds_load_2addr_stride64_b64 v[1:4], v15 offset1:1
	s_waitcnt lgkmcnt(0)
	v_dual_add_f32 v1, v3, v1 :: v_dual_add_f32 v2, v4, v2
	ds_store_b64 v15, v[1:2]
.LBB29_22:                              ;   in Loop: Header=BB29_14 Depth=1
	s_or_b32 exec_lo, exec_lo, s10
	s_waitcnt lgkmcnt(0)
	s_barrier
	buffer_gl0_inv
	s_and_saveexec_b32 s10, s4
	s_cbranch_execz .LBB29_24
; %bb.23:                               ;   in Loop: Header=BB29_14 Depth=1
	ds_load_2addr_b64 v[1:4], v15 offset1:32
	s_waitcnt lgkmcnt(0)
	v_dual_add_f32 v1, v3, v1 :: v_dual_add_f32 v2, v4, v2
	ds_store_b64 v15, v[1:2]
.LBB29_24:                              ;   in Loop: Header=BB29_14 Depth=1
	s_or_b32 exec_lo, exec_lo, s10
	s_waitcnt lgkmcnt(0)
	s_barrier
	buffer_gl0_inv
	s_and_saveexec_b32 s10, s5
	s_cbranch_execz .LBB29_26
; %bb.25:                               ;   in Loop: Header=BB29_14 Depth=1
	ds_load_2addr_b64 v[1:4], v15 offset1:16
	s_waitcnt lgkmcnt(0)
	v_dual_add_f32 v1, v3, v1 :: v_dual_add_f32 v2, v4, v2
	ds_store_b64 v15, v[1:2]
.LBB29_26:                              ;   in Loop: Header=BB29_14 Depth=1
	;; [unrolled: 12-line block ×6, first 2 shown]
	s_or_b32 exec_lo, exec_lo, s10
	s_waitcnt lgkmcnt(0)
	s_barrier
	buffer_gl0_inv
	s_and_saveexec_b32 s10, s9
	s_cbranch_execz .LBB29_13
; %bb.35:                               ;   in Loop: Header=BB29_14 Depth=1
	ds_load_b64 v[1:2], v16
	s_and_saveexec_b32 s46, s11
	s_cbranch_execz .LBB29_12
; %bb.36:                               ;   in Loop: Header=BB29_14 Depth=1
	s_add_u32 s52, s24, s44
	s_addc_u32 s53, s25, s45
	global_load_b64 v[3:4], v16, s[52:53]
	s_waitcnt vmcnt(0) lgkmcnt(0)
	v_fma_f32 v1, v13, v3, v1
	v_fmac_f32_e32 v2, v14, v3
	s_delay_alu instid0(VALU_DEP_2) | instskip(NEXT) | instid1(VALU_DEP_2)
	v_fma_f32 v1, -v14, v4, v1
	v_fmac_f32_e32 v2, v13, v4
	s_branch .LBB29_12
.LBB29_37:
	v_dual_mov_b32 v1, s4 :: v_dual_mov_b32 v2, s5
	flat_load_b32 v9, v[1:2]
	v_cndmask_b32_e64 v1, 0, 1, s6
	v_mov_b32_e32 v10, s5
	s_and_not1_b32 vcc_lo, exec_lo, s6
	s_cbranch_vccnz .LBB29_2
.LBB29_38:
	v_dual_mov_b32 v2, s4 :: v_dual_mov_b32 v3, s5
	flat_load_b32 v10, v[2:3] offset:4
	v_cmp_ne_u32_e32 vcc_lo, 1, v1
	v_mov_b32_e32 v13, s2
	s_cbranch_vccnz .LBB29_3
.LBB29_39:
	v_dual_mov_b32 v2, s2 :: v_dual_mov_b32 v3, s3
	flat_load_b32 v13, v[2:3]
	v_cmp_ne_u32_e32 vcc_lo, 1, v1
	v_mov_b32_e32 v14, s3
	s_cbranch_vccz .LBB29_4
	s_branch .LBB29_5
.LBB29_40:
	s_mov_b32 s2, 0
.LBB29_41:
	s_delay_alu instid0(SALU_CYCLE_1)
	s_and_not1_b32 vcc_lo, exec_lo, s2
	s_cbranch_vccnz .LBB29_80
; %bb.42:
	s_load_b64 s[6:7], s[0:1], 0x18
	s_sub_u32 s8, s38, s26
	s_subb_u32 s9, s39, s27
	s_lshl_b64 s[2:3], s[38:39], 2
	v_cmp_eq_u32_e32 vcc_lo, 0, v0
	v_dual_mov_b32 v1, 0 :: v_dual_mov_b32 v2, 0
	s_waitcnt lgkmcnt(0)
	s_add_u32 s4, s6, s2
	s_addc_u32 s5, s7, s3
	s_cmp_eq_u64 s[26:27], 0
	s_load_b32 s35, s[4:5], 0x0
	s_cselect_b32 s2, -1, 0
	s_cmp_lg_u64 s[26:27], 0
	s_cselect_b32 s38, -1, 0
	s_and_b32 s2, vcc_lo, s2
	s_delay_alu instid0(SALU_CYCLE_1)
	s_and_saveexec_b32 s3, s2
	s_cbranch_execz .LBB29_46
; %bb.43:
	v_dual_mov_b32 v5, 0 :: v_dual_add_f32 v6, -1.0, v13
	s_add_u32 s40, s24, s36
	s_addc_u32 s41, s25, s37
	s_mov_b32 s10, exec_lo
	global_load_b64 v[3:4], v5, s[40:41]
	v_mbcnt_lo_u32_b32 v7, s10, 0
	s_mov_b32 s11, exec_lo
	s_waitcnt vmcnt(0) expcnt(0) lgkmcnt(0)
	s_waitcnt_vscnt null, 0x0
	v_mul_f32_e64 v1, v4, -v14
	v_mul_f32_e32 v2, v6, v4
	v_cmpx_eq_u32_e32 0, v7
	s_cbranch_execz .LBB29_45
; %bb.44:
	s_lshl_b64 s[40:41], s[8:9], 2
	s_delay_alu instid0(SALU_CYCLE_1) | instskip(SKIP_2) | instid1(SALU_CYCLE_1)
	s_add_u32 s40, s6, s40
	s_addc_u32 s41, s7, s41
	s_bcnt1_i32_b32 s2, s10
	s_and_b32 s2, s2, 1
	s_delay_alu instid0(SALU_CYCLE_1)
	v_mov_b32_e32 v4, s2
	global_atomic_xor_b32 v5, v4, s[40:41]
.LBB29_45:
	s_or_b32 exec_lo, exec_lo, s11
	v_fmac_f32_e32 v1, v6, v3
	v_fmac_f32_e32 v2, v14, v3
.LBB29_46:
	s_or_b32 exec_lo, exec_lo, s3
	s_load_b64 s[10:11], s[30:31], 0x8
	s_mul_i32 s2, s27, 0xc00
	s_mul_hi_u32 s3, s26, 0xc00
	s_delay_alu instid0(SALU_CYCLE_1)
	s_add_i32 s3, s3, s2
	s_mul_i32 s2, s26, 0xc00
	s_sub_u32 s39, s28, s34
	s_subb_u32 s41, s29, 0
	s_add_u32 s40, s39, s2
	s_addc_u32 s3, s41, s3
	v_add_co_u32 v3, s2, s40, v0
	s_delay_alu instid0(VALU_DEP_1) | instskip(SKIP_4) | instid1(SALU_CYCLE_1)
	v_add_co_ci_u32_e64 v4, null, s3, 0, s2
	s_mov_b32 s39, exec_lo
	s_waitcnt lgkmcnt(0)
	s_sub_u32 s10, s10, s34
	s_subb_u32 s11, s11, 0
	v_cmpx_gt_i64_e64 s[10:11], v[3:4]
	s_cbranch_execz .LBB29_50
; %bb.47:
	v_lshlrev_b64 v[7:8], 3, v[3:4]
	s_add_u32 s40, s40, 0xc00
	s_addc_u32 s41, s3, 0
	s_delay_alu instid0(SALU_CYCLE_1) | instskip(NEXT) | instid1(VALU_DEP_2)
	v_cmp_lt_i64_e64 s3, s[40:41], s[10:11]
	v_add_co_u32 v5, s2, v7, s16
	s_delay_alu instid0(VALU_DEP_1) | instskip(NEXT) | instid1(VALU_DEP_3)
	v_add_co_ci_u32_e64 v6, s2, s17, v8, s2
	s_and_b32 s2, s3, exec_lo
	s_delay_alu instid0(VALU_DEP_2) | instskip(NEXT) | instid1(VALU_DEP_1)
	v_add_co_u32 v5, s2, v5, 4
	v_add_co_ci_u32_e64 v6, s2, 0, v6, s2
	v_add_co_u32 v7, s2, s14, v7
	s_delay_alu instid0(VALU_DEP_1)
	v_add_co_ci_u32_e64 v8, s2, s15, v8, s2
	s_cselect_b32 s11, s41, s11
	s_cselect_b32 s10, s40, s10
	s_mov_b32 s40, 0
	s_set_inst_prefetch_distance 0x1
	.p2align	6
.LBB29_48:                              ; =>This Inner Loop Header: Depth=1
	global_load_b64 v[11:12], v[7:8], off
	global_load_b64 v[15:16], v[5:6], off offset:-4
	s_waitcnt vmcnt(1)
	v_sub_co_u32 v11, s2, v11, s34
	s_delay_alu instid0(VALU_DEP_1) | instskip(SKIP_2) | instid1(VALU_DEP_2)
	v_subrev_co_ci_u32_e64 v12, s2, 0, v12, s2
	s_waitcnt vmcnt(0)
	v_cndmask_b32_e64 v16, v16, -v16, s33
	v_lshlrev_b64 v[11:12], 3, v[11:12]
	s_delay_alu instid0(VALU_DEP_2) | instskip(SKIP_1) | instid1(VALU_DEP_3)
	v_mul_f32_e64 v17, v16, -v10
	v_mul_f32_e32 v16, v16, v9
	v_add_co_u32 v11, s2, s18, v11
	s_delay_alu instid0(VALU_DEP_3)
	v_fmac_f32_e32 v17, v9, v15
	v_add_co_ci_u32_e64 v12, s2, s19, v12, s2
	v_add_co_u32 v3, s2, 0x100, v3
	v_fmac_f32_e32 v16, v10, v15
	global_load_b64 v[11:12], v[11:12], off
	v_add_co_ci_u32_e64 v4, s2, 0, v4, s2
	v_add_co_u32 v5, s2, 0x800, v5
	s_delay_alu instid0(VALU_DEP_1) | instskip(NEXT) | instid1(VALU_DEP_3)
	v_add_co_ci_u32_e64 v6, s2, 0, v6, s2
	v_cmp_le_i64_e64 s3, s[10:11], v[3:4]
	v_add_co_u32 v7, s2, 0x800, v7
	s_delay_alu instid0(VALU_DEP_1) | instskip(NEXT) | instid1(VALU_DEP_3)
	v_add_co_ci_u32_e64 v8, s2, 0, v8, s2
	s_or_b32 s40, s3, s40
	s_waitcnt vmcnt(0)
	v_fmac_f32_e32 v1, v17, v11
	v_fmac_f32_e32 v2, v16, v11
	s_delay_alu instid0(VALU_DEP_2) | instskip(NEXT) | instid1(VALU_DEP_2)
	v_fma_f32 v1, -v16, v12, v1
	v_fmac_f32_e32 v2, v17, v12
	s_and_not1_b32 exec_lo, exec_lo, s40
	s_cbranch_execnz .LBB29_48
; %bb.49:
	s_set_inst_prefetch_distance 0x2
	s_or_b32 exec_lo, exec_lo, s40
.LBB29_50:
	s_delay_alu instid0(SALU_CYCLE_1)
	s_or_b32 exec_lo, exec_lo, s39
	v_lshlrev_b32_e32 v3, 3, v0
	s_mov_b32 s3, exec_lo
	ds_store_b64 v3, v[1:2]
	s_waitcnt lgkmcnt(0)
	s_waitcnt_vscnt null, 0x0
	s_barrier
	buffer_gl0_inv
	v_cmpx_gt_u32_e32 0x80, v0
	s_cbranch_execz .LBB29_52
; %bb.51:
	ds_load_2addr_stride64_b64 v[4:7], v3 offset1:2
	s_waitcnt lgkmcnt(0)
	v_dual_add_f32 v1, v6, v4 :: v_dual_add_f32 v2, v7, v5
	ds_store_b64 v3, v[1:2]
.LBB29_52:
	s_or_b32 exec_lo, exec_lo, s3
	s_delay_alu instid0(SALU_CYCLE_1)
	s_mov_b32 s3, exec_lo
	s_waitcnt lgkmcnt(0)
	s_barrier
	buffer_gl0_inv
	v_cmpx_gt_u32_e32 64, v0
	s_cbranch_execz .LBB29_54
; %bb.53:
	ds_load_2addr_stride64_b64 v[4:7], v3 offset1:1
	s_waitcnt lgkmcnt(0)
	v_dual_add_f32 v1, v6, v4 :: v_dual_add_f32 v2, v7, v5
	ds_store_b64 v3, v[1:2]
.LBB29_54:
	s_or_b32 exec_lo, exec_lo, s3
	s_delay_alu instid0(SALU_CYCLE_1)
	s_mov_b32 s3, exec_lo
	s_waitcnt lgkmcnt(0)
	s_barrier
	buffer_gl0_inv
	v_cmpx_gt_u32_e32 32, v0
	s_cbranch_execz .LBB29_56
; %bb.55:
	ds_load_2addr_b64 v[4:7], v3 offset1:32
	s_waitcnt lgkmcnt(0)
	v_dual_add_f32 v1, v6, v4 :: v_dual_add_f32 v2, v7, v5
	ds_store_b64 v3, v[1:2]
.LBB29_56:
	s_or_b32 exec_lo, exec_lo, s3
	s_delay_alu instid0(SALU_CYCLE_1)
	s_mov_b32 s3, exec_lo
	s_waitcnt lgkmcnt(0)
	s_barrier
	buffer_gl0_inv
	v_cmpx_gt_u32_e32 16, v0
	s_cbranch_execz .LBB29_58
; %bb.57:
	ds_load_2addr_b64 v[4:7], v3 offset1:16
	s_waitcnt lgkmcnt(0)
	v_dual_add_f32 v1, v6, v4 :: v_dual_add_f32 v2, v7, v5
	ds_store_b64 v3, v[1:2]
.LBB29_58:
	;; [unrolled: 14-line block ×5, first 2 shown]
	s_or_b32 exec_lo, exec_lo, s3
	s_waitcnt lgkmcnt(0)
	s_barrier
	buffer_gl0_inv
	s_and_saveexec_b32 s2, vcc_lo
	s_cbranch_execz .LBB29_66
; %bb.65:
	v_mov_b32_e32 v5, 0
	ds_load_2addr_b64 v[1:4], v5 offset1:1
	s_waitcnt lgkmcnt(0)
	v_dual_add_f32 v2, v4, v2 :: v_dual_add_f32 v1, v3, v1
	ds_store_b64 v5, v[1:2]
.LBB29_66:
	s_or_b32 exec_lo, exec_lo, s2
	s_waitcnt lgkmcnt(0)
	s_barrier
	buffer_gl0_inv
	s_and_saveexec_b32 s10, vcc_lo
	s_cbranch_execz .LBB29_79
; %bb.67:
	s_and_not1_b32 vcc_lo, exec_lo, s38
	s_cbranch_vccnz .LBB29_73
; %bb.68:
	s_lshl_b64 s[2:3], s[8:9], 2
	v_mov_b32_e32 v1, 0
	s_add_u32 s2, s6, s2
	s_addc_u32 s3, s7, s3
	s_branch .LBB29_70
.LBB29_69:                              ;   in Loop: Header=BB29_70 Depth=1
	s_or_b32 exec_lo, exec_lo, s6
	s_waitcnt vmcnt(0)
	v_readfirstlane_b32 s6, v2
	s_delay_alu instid0(VALU_DEP_1)
	s_cmp_eq_u32 s6, s35
	s_cbranch_scc0 .LBB29_72
.LBB29_70:                              ; =>This Inner Loop Header: Depth=1
	v_mbcnt_lo_u32_b32 v2, exec_lo, 0
	s_delay_alu instid0(VALU_DEP_1)
	v_cmp_eq_u32_e32 vcc_lo, 0, v2
                                        ; implicit-def: $vgpr2
	s_and_saveexec_b32 s6, vcc_lo
	s_cbranch_execz .LBB29_69
; %bb.71:                               ;   in Loop: Header=BB29_70 Depth=1
	global_load_b32 v2, v1, s[2:3] glc
	s_branch .LBB29_69
.LBB29_72:
	v_mov_b32_e32 v1, 0
	global_load_b32 v2, v1, s[4:5]
	s_waitcnt vmcnt(0)
	v_xor_b32_e32 v2, 1, v2
	global_store_b32 v1, v2, s[4:5]
.LBB29_73:
	v_mov_b32_e32 v5, 0
	s_mov_b32 s6, exec_lo
	s_add_u32 s2, s24, s36
	v_mbcnt_lo_u32_b32 v3, s6, 0
	s_addc_u32 s3, s25, s37
	ds_load_b64 v[1:2], v5
	s_mov_b32 s5, 0
	s_mov_b32 s4, exec_lo
	v_cmpx_eq_u32_e32 0, v3
	s_cbranch_execz .LBB29_76
; %bb.74:
	global_load_b32 v4, v5, s[2:3]
	s_bcnt1_i32_b32 s6, s6
	s_delay_alu instid0(SALU_CYCLE_1) | instskip(SKIP_1) | instid1(VALU_DEP_1)
	v_cvt_f32_ubyte0_e32 v3, s6
	s_waitcnt lgkmcnt(0)
	v_mul_f32_e32 v1, v1, v3
.LBB29_75:                              ; =>This Inner Loop Header: Depth=1
	s_waitcnt vmcnt(0)
	s_delay_alu instid0(VALU_DEP_1)
	v_add_f32_e32 v3, v4, v1
	global_atomic_cmpswap_b32 v3, v5, v[3:4], s[2:3] glc
	s_waitcnt vmcnt(0)
	v_cmp_eq_u32_e32 vcc_lo, v3, v4
	v_mov_b32_e32 v4, v3
	s_or_b32 s5, vcc_lo, s5
	s_delay_alu instid0(SALU_CYCLE_1)
	s_and_not1_b32 exec_lo, exec_lo, s5
	s_cbranch_execnz .LBB29_75
.LBB29_76:
	s_or_b32 exec_lo, exec_lo, s4
	s_delay_alu instid0(SALU_CYCLE_1) | instskip(SKIP_3) | instid1(VALU_DEP_1)
	s_mov_b32 s5, exec_lo
	s_mov_b32 s4, 0
	s_waitcnt lgkmcnt(0)
	v_mbcnt_lo_u32_b32 v1, s5, 0
	v_cmp_eq_u32_e32 vcc_lo, 0, v1
	s_and_b32 s6, exec_lo, vcc_lo
	s_delay_alu instid0(SALU_CYCLE_1)
	s_mov_b32 exec_lo, s6
	s_cbranch_execz .LBB29_79
; %bb.77:
	s_bcnt1_i32_b32 s5, s5
	s_delay_alu instid0(SALU_CYCLE_1) | instskip(NEXT) | instid1(VALU_DEP_1)
	v_cvt_f32_ubyte0_e32 v4, s5
	v_dual_mov_b32 v1, 0 :: v_dual_mul_f32 v4, v2, v4
	global_load_b32 v3, v1, s[2:3] offset:4
.LBB29_78:                              ; =>This Inner Loop Header: Depth=1
	s_waitcnt vmcnt(0)
	v_add_f32_e32 v2, v3, v4
	global_atomic_cmpswap_b32 v2, v1, v[2:3], s[2:3] offset:4 glc
	s_waitcnt vmcnt(0)
	v_cmp_eq_u32_e32 vcc_lo, v2, v3
	v_mov_b32_e32 v3, v2
	s_or_b32 s4, vcc_lo, s4
	s_delay_alu instid0(SALU_CYCLE_1)
	s_and_not1_b32 exec_lo, exec_lo, s4
	s_cbranch_execnz .LBB29_78
.LBB29_79:
	s_or_b32 exec_lo, exec_lo, s10
.LBB29_80:
	s_mov_b32 s4, 0
.LBB29_81:
	s_delay_alu instid0(SALU_CYCLE_1)
	s_and_not1_b32 vcc_lo, exec_lo, s4
	s_cbranch_vccnz .LBB29_125
; %bb.82:
	s_load_b64 s[0:1], s[0:1], 0x8
	v_sub_co_u32 v1, s2, v0, s34
	s_delay_alu instid0(VALU_DEP_1) | instskip(SKIP_1) | instid1(VALU_DEP_2)
	v_sub_co_ci_u32_e64 v2, null, 0, 0, s2
	s_waitcnt lgkmcnt(0)
	v_add_co_u32 v1, vcc_lo, s28, v1
	s_delay_alu instid0(VALU_DEP_2) | instskip(NEXT) | instid1(VALU_DEP_2)
	v_add_co_ci_u32_e32 v2, vcc_lo, s29, v2, vcc_lo
	v_add_co_u32 v3, vcc_lo, 0x300, v1
	s_delay_alu instid0(VALU_DEP_2) | instskip(NEXT) | instid1(VALU_DEP_1)
	v_add_co_ci_u32_e32 v4, vcc_lo, 0, v2, vcc_lo
	v_cmp_le_i64_e32 vcc_lo, s[0:1], v[3:4]
	s_and_saveexec_b32 s0, vcc_lo
	s_delay_alu instid0(SALU_CYCLE_1)
	s_xor_b32 s1, exec_lo, s0
	s_cbranch_execz .LBB29_87
; %bb.83:
	s_lshl_b64 s[2:3], s[22:23], 3
	s_mov_b32 s4, exec_lo
	s_add_u32 s2, s12, s2
	s_addc_u32 s3, s13, s3
	s_load_b64 s[2:3], s[2:3], 0x0
	s_waitcnt lgkmcnt(0)
	s_sub_u32 s2, s2, s34
	s_subb_u32 s3, s3, 0
	s_delay_alu instid0(SALU_CYCLE_1)
	v_cmpx_gt_i64_e64 s[2:3], v[1:2]
	s_cbranch_execz .LBB29_86
; %bb.84:
	v_lshlrev_b64 v[3:4], 3, v[1:2]
	v_lshlrev_b32_e32 v7, 3, v0
	s_mov_b32 s5, 0
	s_delay_alu instid0(VALU_DEP_2) | instskip(NEXT) | instid1(VALU_DEP_3)
	v_add_co_u32 v5, vcc_lo, v3, s16
	v_add_co_ci_u32_e32 v6, vcc_lo, s17, v4, vcc_lo
	v_add_co_u32 v3, vcc_lo, s14, v3
	v_add_co_ci_u32_e32 v4, vcc_lo, s15, v4, vcc_lo
	s_delay_alu instid0(VALU_DEP_4) | instskip(NEXT) | instid1(VALU_DEP_4)
	v_add_co_u32 v5, vcc_lo, v5, 4
	v_add_co_ci_u32_e32 v6, vcc_lo, 0, v6, vcc_lo
	s_set_inst_prefetch_distance 0x1
	.p2align	6
.LBB29_85:                              ; =>This Inner Loop Header: Depth=1
	global_load_b64 v[11:12], v[3:4], off
	global_load_b64 v[15:16], v[5:6], off offset:-4
	s_waitcnt vmcnt(1)
	v_sub_co_u32 v11, vcc_lo, v11, s34
	v_subrev_co_ci_u32_e32 v12, vcc_lo, 0, v12, vcc_lo
	s_waitcnt vmcnt(0)
	v_cndmask_b32_e64 v8, v16, -v16, s33
	s_delay_alu instid0(VALU_DEP_2) | instskip(NEXT) | instid1(VALU_DEP_2)
	v_lshlrev_b64 v[11:12], 3, v[11:12]
	v_mul_f32_e32 v17, v8, v9
	v_mul_f32_e64 v8, v8, -v10
	s_delay_alu instid0(VALU_DEP_3) | instskip(NEXT) | instid1(VALU_DEP_2)
	v_add_co_u32 v11, vcc_lo, s18, v11
	v_fmac_f32_e32 v8, v9, v15
	v_add_co_ci_u32_e32 v12, vcc_lo, s19, v12, vcc_lo
	v_add_co_u32 v1, vcc_lo, 0x100, v1
	v_add_co_ci_u32_e32 v2, vcc_lo, 0, v2, vcc_lo
	global_load_b64 v[11:12], v[11:12], off
	v_fmac_f32_e32 v17, v10, v15
	v_add_co_u32 v3, vcc_lo, 0x800, v3
	v_add_co_ci_u32_e32 v4, vcc_lo, 0, v4, vcc_lo
	v_cmp_le_i64_e64 s0, s[2:3], v[1:2]
	v_add_co_u32 v5, vcc_lo, 0x800, v5
	v_add_co_ci_u32_e32 v6, vcc_lo, 0, v6, vcc_lo
	s_delay_alu instid0(VALU_DEP_3) | instskip(SKIP_3) | instid1(VALU_DEP_2)
	s_or_b32 s5, s0, s5
	s_waitcnt vmcnt(0)
	v_mul_f32_e32 v16, v12, v8
	v_mul_f32_e64 v15, v12, -v17
	v_fmac_f32_e32 v16, v17, v11
	s_delay_alu instid0(VALU_DEP_2)
	v_fmac_f32_e32 v15, v8, v11
	ds_store_b64 v7, v[15:16]
	v_add_nc_u32_e32 v7, 0x800, v7
	s_and_not1_b32 exec_lo, exec_lo, s5
	s_cbranch_execnz .LBB29_85
.LBB29_86:
	s_set_inst_prefetch_distance 0x2
	s_or_b32 exec_lo, exec_lo, s4
                                        ; implicit-def: $vgpr1_vgpr2
                                        ; implicit-def: $vgpr10
                                        ; implicit-def: $vgpr9
.LBB29_87:
	s_or_saveexec_b32 s0, s1
	v_lshlrev_b32_e32 v15, 3, v0
	s_xor_b32 exec_lo, exec_lo, s0
	s_cbranch_execz .LBB29_89
; %bb.88:
	v_lshlrev_b64 v[1:2], 3, v[1:2]
	s_delay_alu instid0(VALU_DEP_1) | instskip(NEXT) | instid1(VALU_DEP_2)
	v_add_co_u32 v3, vcc_lo, s14, v1
	v_add_co_ci_u32_e32 v4, vcc_lo, s15, v2, vcc_lo
	s_clause 0x1
	global_load_b64 v[5:6], v[3:4], off
	global_load_b64 v[7:8], v[3:4], off offset:2048
	v_add_co_u32 v3, vcc_lo, 0x1000, v3
	v_add_co_ci_u32_e32 v4, vcc_lo, 0, v4, vcc_lo
	v_add_co_u32 v1, vcc_lo, s16, v1
	s_clause 0x1
	global_load_b64 v[11:12], v[3:4], off
	global_load_b64 v[3:4], v[3:4], off offset:2048
	v_add_co_ci_u32_e32 v2, vcc_lo, s17, v2, vcc_lo
	v_add_co_u32 v16, vcc_lo, 0x1000, v1
	s_delay_alu instid0(VALU_DEP_2)
	v_add_co_ci_u32_e32 v17, vcc_lo, 0, v2, vcc_lo
	s_clause 0x3
	global_load_b64 v[18:19], v[1:2], off
	global_load_b64 v[1:2], v[1:2], off offset:2048
	global_load_b64 v[20:21], v[16:17], off
	global_load_b64 v[16:17], v[16:17], off offset:2048
	s_waitcnt vmcnt(7)
	v_sub_co_u32 v5, vcc_lo, v5, s34
	v_subrev_co_ci_u32_e32 v6, vcc_lo, 0, v6, vcc_lo
	s_waitcnt vmcnt(6)
	v_sub_co_u32 v7, vcc_lo, v7, s34
	v_subrev_co_ci_u32_e32 v8, vcc_lo, 0, v8, vcc_lo
	s_waitcnt vmcnt(5)
	v_sub_co_u32 v11, vcc_lo, v11, s34
	v_lshlrev_b64 v[5:6], 3, v[5:6]
	v_subrev_co_ci_u32_e32 v12, vcc_lo, 0, v12, vcc_lo
	s_waitcnt vmcnt(4)
	v_sub_co_u32 v3, vcc_lo, v3, s34
	v_lshlrev_b64 v[7:8], 3, v[7:8]
	v_subrev_co_ci_u32_e32 v4, vcc_lo, 0, v4, vcc_lo
	v_add_co_u32 v5, vcc_lo, s18, v5
	v_lshlrev_b64 v[11:12], 3, v[11:12]
	v_add_co_ci_u32_e32 v6, vcc_lo, s19, v6, vcc_lo
	v_add_co_u32 v7, vcc_lo, s18, v7
	v_lshlrev_b64 v[3:4], 3, v[3:4]
	v_add_co_ci_u32_e32 v8, vcc_lo, s19, v8, vcc_lo
	v_add_co_u32 v11, vcc_lo, s18, v11
	v_add_co_ci_u32_e32 v12, vcc_lo, s19, v12, vcc_lo
	s_delay_alu instid0(VALU_DEP_4)
	v_add_co_u32 v3, vcc_lo, s18, v3
	s_clause 0x1
	global_load_b64 v[5:6], v[5:6], off
	global_load_b64 v[7:8], v[7:8], off
	v_add_co_ci_u32_e32 v4, vcc_lo, s19, v4, vcc_lo
	s_clause 0x1
	global_load_b64 v[11:12], v[11:12], off
	global_load_b64 v[3:4], v[3:4], off
	s_waitcnt vmcnt(7)
	v_cndmask_b32_e64 v19, v19, -v19, s33
	s_waitcnt vmcnt(6)
	v_cndmask_b32_e64 v2, v2, -v2, s33
	s_waitcnt vmcnt(4)
	v_cndmask_b32_e64 v17, v17, -v17, s33
	v_mul_f32_e64 v22, v19, -v10
	v_mul_f32_e32 v19, v19, v9
	v_mul_f32_e64 v23, v2, -v10
	s_delay_alu instid0(VALU_DEP_4)
	v_mul_f32_e64 v25, v17, -v10
	v_mul_f32_e32 v24, v2, v9
	v_cndmask_b32_e64 v2, v21, -v21, s33
	v_fmac_f32_e32 v22, v9, v18
	v_dual_fmac_f32 v19, v10, v18 :: v_dual_mul_f32 v26, v17, v9
	v_fmac_f32_e32 v23, v9, v1
	s_delay_alu instid0(VALU_DEP_4) | instskip(SKIP_3) | instid1(VALU_DEP_4)
	v_mul_f32_e64 v18, v2, -v10
	v_mul_f32_e32 v21, v2, v9
	v_fmac_f32_e32 v25, v9, v16
	v_fmac_f32_e32 v26, v10, v16
	;; [unrolled: 1-line block ×3, first 2 shown]
	s_waitcnt vmcnt(3)
	v_mul_f32_e32 v2, v6, v22
	v_fmac_f32_e32 v24, v10, v1
	s_waitcnt vmcnt(2)
	v_dual_fmac_f32 v21, v10, v20 :: v_dual_mul_f32 v10, v8, v23
	v_mul_f32_e64 v1, v6, -v19
	v_fmac_f32_e32 v2, v19, v5
	v_mul_f32_e64 v9, v8, -v24
	s_waitcnt vmcnt(1)
	v_mul_f32_e32 v6, v12, v18
	s_waitcnt vmcnt(0)
	v_mul_f32_e32 v17, v4, v25
	v_fmac_f32_e32 v1, v22, v5
	v_mul_f32_e64 v5, v12, -v21
	v_mul_f32_e64 v16, v4, -v26
	v_fmac_f32_e32 v9, v23, v7
	v_fmac_f32_e32 v10, v24, v7
	;; [unrolled: 1-line block ×6, first 2 shown]
	ds_store_2addr_stride64_b64 v15, v[1:2], v[9:10] offset1:4
	ds_store_2addr_stride64_b64 v15, v[5:6], v[16:17] offset0:8 offset1:12
.LBB29_89:
	s_or_b32 exec_lo, exec_lo, s0
	v_cmp_lt_i64_e64 s0, s[26:27], 2
	s_waitcnt lgkmcnt(0)
	s_waitcnt_vscnt null, 0x0
	s_barrier
	buffer_gl0_inv
	s_and_b32 vcc_lo, exec_lo, s0
	s_mov_b32 s0, -1
	s_cbranch_vccz .LBB29_100
; %bb.90:
	v_add_co_u32 v5, s0, s20, v0
	s_delay_alu instid0(VALU_DEP_1) | instskip(SKIP_1) | instid1(VALU_DEP_1)
	v_add_co_ci_u32_e64 v6, null, s21, 0, s0
	s_mov_b32 s1, exec_lo
	v_cmpx_gt_i64_e64 s[22:23], v[5:6]
	s_cbranch_execz .LBB29_99
; %bb.91:
	v_cmp_neq_f32_e32 vcc_lo, 0, v13
	v_cmp_neq_f32_e64 s0, 0, v14
	s_lshl_b32 s4, s28, 3
	s_mov_b32 s2, 0
	s_sub_i32 s4, 0, s4
	s_delay_alu instid0(VALU_DEP_1)
	s_or_b32 s3, vcc_lo, s0
	s_branch .LBB29_93
.LBB29_92:                              ;   in Loop: Header=BB29_93 Depth=1
	s_or_b32 exec_lo, exec_lo, s0
	v_add_co_u32 v5, vcc_lo, 0x100, v5
	v_add_co_ci_u32_e32 v6, vcc_lo, 0, v6, vcc_lo
	v_add_co_u32 v1, s0, s24, v7
	s_delay_alu instid0(VALU_DEP_1) | instskip(NEXT) | instid1(VALU_DEP_3)
	v_add_co_ci_u32_e64 v2, s0, s25, v8, s0
	v_cmp_le_i64_e32 vcc_lo, s[22:23], v[5:6]
	global_store_b64 v[1:2], v[9:10], off
	s_or_b32 s2, vcc_lo, s2
	s_delay_alu instid0(SALU_CYCLE_1)
	s_and_not1_b32 exec_lo, exec_lo, s2
	s_cbranch_execz .LBB29_99
.LBB29_93:                              ; =>This Loop Header: Depth=1
                                        ;     Child Loop BB29_95 Depth 2
	v_lshlrev_b64 v[7:8], 3, v[5:6]
	v_dual_mov_b32 v10, 0 :: v_dual_mov_b32 v9, 0
	s_mov_b32 s0, exec_lo
	s_delay_alu instid0(VALU_DEP_2) | instskip(NEXT) | instid1(VALU_DEP_3)
	v_add_co_u32 v1, vcc_lo, s12, v7
	v_add_co_ci_u32_e32 v2, vcc_lo, s13, v8, vcc_lo
	global_load_b128 v[1:4], v[1:2], off
	s_waitcnt vmcnt(0)
	v_cmpx_lt_i64_e64 v[1:2], v[3:4]
	s_cbranch_execz .LBB29_97
; %bb.94:                               ;   in Loop: Header=BB29_93 Depth=1
	v_sub_co_u32 v3, vcc_lo, v3, s28
	v_mov_b32_e32 v10, 0
	v_subrev_co_ci_u32_e32 v4, vcc_lo, s29, v4, vcc_lo
	v_sub_co_u32 v11, vcc_lo, v1, s28
	v_subrev_co_ci_u32_e32 v12, vcc_lo, s29, v2, vcc_lo
	v_lshl_add_u32 v1, v1, 3, s4
	v_mov_b32_e32 v9, v10
	s_mov_b32 s5, 0
.LBB29_95:                              ;   Parent Loop BB29_93 Depth=1
                                        ; =>  This Inner Loop Header: Depth=2
	ds_load_b64 v[16:17], v1
	v_add_co_u32 v11, vcc_lo, v11, 1
	v_add_co_ci_u32_e32 v12, vcc_lo, 0, v12, vcc_lo
	v_add_nc_u32_e32 v1, 8, v1
	s_delay_alu instid0(VALU_DEP_2)
	v_cmp_ge_i64_e32 vcc_lo, v[11:12], v[3:4]
	s_or_b32 s5, vcc_lo, s5
	s_waitcnt lgkmcnt(0)
	v_dual_add_f32 v9, v9, v16 :: v_dual_add_f32 v10, v10, v17
	s_and_not1_b32 exec_lo, exec_lo, s5
	s_cbranch_execnz .LBB29_95
; %bb.96:                               ;   in Loop: Header=BB29_93 Depth=1
	s_or_b32 exec_lo, exec_lo, s5
.LBB29_97:                              ;   in Loop: Header=BB29_93 Depth=1
	s_delay_alu instid0(SALU_CYCLE_1)
	s_or_b32 exec_lo, exec_lo, s0
	s_and_saveexec_b32 s0, s3
	s_cbranch_execz .LBB29_92
; %bb.98:                               ;   in Loop: Header=BB29_93 Depth=1
	v_add_co_u32 v1, vcc_lo, s24, v7
	v_add_co_ci_u32_e32 v2, vcc_lo, s25, v8, vcc_lo
	global_load_b64 v[1:2], v[1:2], off
	s_waitcnt vmcnt(0)
	v_fmac_f32_e32 v9, v13, v1
	v_fmac_f32_e32 v10, v14, v1
	s_delay_alu instid0(VALU_DEP_2) | instskip(NEXT) | instid1(VALU_DEP_2)
	v_fma_f32 v9, -v14, v2, v9
	v_fmac_f32_e32 v10, v13, v2
	s_branch .LBB29_92
.LBB29_99:
	s_or_b32 exec_lo, exec_lo, s1
	s_mov_b32 s0, 0
.LBB29_100:
	s_delay_alu instid0(SALU_CYCLE_1)
	s_and_not1_b32 vcc_lo, exec_lo, s0
	s_cbranch_vccnz .LBB29_125
; %bb.101:
	s_clz_i32_u32 s0, s26
	v_mov_b32_e32 v5, 0
	s_min_u32 s0, s0, 32
	s_mov_b32 s1, exec_lo
	s_sub_i32 s0, 31, s0
	s_delay_alu instid0(SALU_CYCLE_1) | instskip(SKIP_1) | instid1(VALU_DEP_2)
	v_lshrrev_b32_e32 v7, s0, v0
	v_mov_b32_e32 v6, v5
	v_add_co_u32 v1, s0, s20, v7
	s_delay_alu instid0(VALU_DEP_1) | instskip(SKIP_1) | instid1(SALU_CYCLE_1)
	v_add_co_ci_u32_e64 v2, null, s21, 0, s0
	s_add_i32 s0, s26, -1
	v_and_b32_e64 v4, s0, 0
	v_and_b32_e32 v3, s0, v0
	s_delay_alu instid0(VALU_DEP_3)
	v_cmp_le_i64_e64 s0, s[22:23], v[1:2]
	v_cmpx_gt_i64_e64 s[22:23], v[1:2]
	s_cbranch_execz .LBB29_107
; %bb.102:
	v_lshlrev_b32_e32 v0, 3, v7
	s_mov_b32 s2, exec_lo
	global_load_b128 v[5:8], v0, s[30:31]
	v_sub_co_u32 v0, vcc_lo, v3, s28
	v_subrev_co_ci_u32_e32 v10, vcc_lo, s29, v4, vcc_lo
	s_waitcnt vmcnt(0)
	v_sub_co_u32 v7, vcc_lo, v7, s28
	v_subrev_co_ci_u32_e32 v8, vcc_lo, s29, v8, vcc_lo
	v_add_co_u32 v9, vcc_lo, v5, v0
	v_mov_b32_e32 v5, 0
	v_add_co_ci_u32_e32 v10, vcc_lo, v6, v10, vcc_lo
	v_mov_b32_e32 v6, 0
	s_delay_alu instid0(VALU_DEP_2)
	v_cmpx_lt_i64_e64 v[9:10], v[7:8]
	s_cbranch_execz .LBB29_106
; %bb.103:
	v_mov_b32_e32 v6, 0
	v_lshlrev_b32_e32 v0, 3, v9
	s_lshl_b32 s4, s26, 3
	s_mov_b32 s3, 0
	s_delay_alu instid0(VALU_DEP_2)
	v_mov_b32_e32 v5, v6
.LBB29_104:                             ; =>This Inner Loop Header: Depth=1
	ds_load_b64 v[11:12], v0
	v_add_co_u32 v9, vcc_lo, v9, s26
	v_add_co_ci_u32_e32 v10, vcc_lo, s27, v10, vcc_lo
	v_add_nc_u32_e32 v0, s4, v0
	s_delay_alu instid0(VALU_DEP_2)
	v_cmp_ge_i64_e32 vcc_lo, v[9:10], v[7:8]
	s_or_b32 s3, vcc_lo, s3
	s_waitcnt lgkmcnt(0)
	v_dual_add_f32 v5, v5, v11 :: v_dual_add_f32 v6, v6, v12
	s_and_not1_b32 exec_lo, exec_lo, s3
	s_cbranch_execnz .LBB29_104
; %bb.105:
	s_or_b32 exec_lo, exec_lo, s3
.LBB29_106:
	s_delay_alu instid0(SALU_CYCLE_1)
	s_or_b32 exec_lo, exec_lo, s2
.LBB29_107:
	s_delay_alu instid0(SALU_CYCLE_1)
	s_or_b32 exec_lo, exec_lo, s1
	v_cmp_gt_i64_e64 s1, 0x81, s[26:27]
	s_waitcnt_vscnt null, 0x0
	s_barrier
	buffer_gl0_inv
	ds_store_b64 v15, v[5:6]
	s_waitcnt lgkmcnt(0)
	s_and_b32 vcc_lo, exec_lo, s1
	s_barrier
	buffer_gl0_inv
	s_cbranch_vccnz .LBB29_109
; %bb.108:
	ds_load_b64 v[7:8], v15 offset:1024
	s_waitcnt lgkmcnt(0)
	s_barrier
	buffer_gl0_inv
	v_dual_add_f32 v5, v5, v7 :: v_dual_add_f32 v6, v6, v8
	ds_store_b64 v15, v[5:6]
.LBB29_109:
	v_cmp_gt_i64_e64 s1, 0x41, s[26:27]
	s_waitcnt lgkmcnt(0)
	s_barrier
	buffer_gl0_inv
	s_and_b32 vcc_lo, exec_lo, s1
	s_cbranch_vccnz .LBB29_111
; %bb.110:
	ds_load_b64 v[7:8], v15 offset:512
	s_waitcnt lgkmcnt(0)
	s_barrier
	buffer_gl0_inv
	v_dual_add_f32 v5, v5, v7 :: v_dual_add_f32 v6, v6, v8
	ds_store_b64 v15, v[5:6]
.LBB29_111:
	v_cmp_lt_i64_e64 s1, s[26:27], 33
	s_waitcnt lgkmcnt(0)
	s_barrier
	buffer_gl0_inv
	s_and_b32 vcc_lo, exec_lo, s1
	s_cbranch_vccnz .LBB29_113
; %bb.112:
	ds_load_b64 v[7:8], v15 offset:256
	s_waitcnt lgkmcnt(0)
	s_barrier
	buffer_gl0_inv
	v_dual_add_f32 v5, v5, v7 :: v_dual_add_f32 v6, v6, v8
	ds_store_b64 v15, v[5:6]
.LBB29_113:
	v_cmp_lt_i64_e64 s1, s[26:27], 17
	;; [unrolled: 14-line block ×4, first 2 shown]
	s_waitcnt lgkmcnt(0)
	s_barrier
	buffer_gl0_inv
	s_and_b32 vcc_lo, exec_lo, s1
	s_cbranch_vccnz .LBB29_119
; %bb.118:
	ds_load_b64 v[7:8], v15 offset:32
	s_waitcnt lgkmcnt(0)
	s_barrier
	buffer_gl0_inv
	v_dual_add_f32 v5, v5, v7 :: v_dual_add_f32 v6, v6, v8
	ds_store_b64 v15, v[5:6]
.LBB29_119:
	s_cmp_eq_u64 s[26:27], 2
	s_waitcnt lgkmcnt(0)
	s_barrier
	buffer_gl0_inv
	s_cbranch_scc1 .LBB29_121
; %bb.120:
	ds_load_b64 v[7:8], v15 offset:16
	s_waitcnt lgkmcnt(0)
	s_barrier
	buffer_gl0_inv
	v_dual_add_f32 v5, v5, v7 :: v_dual_add_f32 v6, v6, v8
	ds_store_b64 v15, v[5:6]
.LBB29_121:
	s_waitcnt lgkmcnt(0)
	s_barrier
	buffer_gl0_inv
	ds_load_b64 v[7:8], v15 offset:8
	v_cmp_eq_u64_e32 vcc_lo, 0, v[3:4]
	s_xor_b32 s0, s0, -1
	s_waitcnt lgkmcnt(0)
	s_barrier
	buffer_gl0_inv
	s_and_b32 s0, vcc_lo, s0
	v_dual_add_f32 v3, v5, v7 :: v_dual_add_f32 v4, v6, v8
	ds_store_b64 v15, v[3:4]
	s_and_b32 exec_lo, exec_lo, s0
	s_cbranch_execz .LBB29_125
; %bb.122:
	v_cmp_neq_f32_e32 vcc_lo, 0, v13
	v_cmp_neq_f32_e64 s0, 0, v14
	v_lshlrev_b64 v[0:1], 3, v[1:2]
	s_delay_alu instid0(VALU_DEP_2) | instskip(NEXT) | instid1(SALU_CYCLE_1)
	s_or_b32 s1, vcc_lo, s0
	s_and_saveexec_b32 s0, s1
	s_cbranch_execz .LBB29_124
; %bb.123:
	s_delay_alu instid0(VALU_DEP_1) | instskip(NEXT) | instid1(VALU_DEP_2)
	v_add_co_u32 v5, vcc_lo, s24, v0
	v_add_co_ci_u32_e32 v6, vcc_lo, s25, v1, vcc_lo
	global_load_b64 v[5:6], v[5:6], off
	s_waitcnt vmcnt(0)
	v_fmac_f32_e32 v3, v13, v5
	v_fmac_f32_e32 v4, v14, v5
	s_delay_alu instid0(VALU_DEP_2) | instskip(NEXT) | instid1(VALU_DEP_2)
	v_fma_f32 v3, -v14, v6, v3
	v_fmac_f32_e32 v4, v13, v6
.LBB29_124:
	s_or_b32 exec_lo, exec_lo, s0
	s_delay_alu instid0(VALU_DEP_1)
	v_add_co_u32 v0, vcc_lo, s24, v0
	v_add_co_ci_u32_e32 v1, vcc_lo, s25, v1, vcc_lo
	global_store_b64 v[0:1], v[3:4], off
.LBB29_125:
	s_nop 0
	s_sendmsg sendmsg(MSG_DEALLOC_VGPRS)
	s_endpgm
	.section	.rodata,"a",@progbits
	.p2align	6, 0x0
	.amdhsa_kernel _ZN9rocsparseL22csrmvn_adaptive_kernelIll21rocsparse_complex_numIfES2_S2_S2_EEvbT_PKS3_PjPKT0_NS_24const_host_device_scalarIT4_EES5_S9_PKT1_PKT2_SC_PT3_21rocsparse_index_base_b
		.amdhsa_group_segment_fixed_size 8192
		.amdhsa_private_segment_fixed_size 0
		.amdhsa_kernarg_size 104
		.amdhsa_user_sgpr_count 15
		.amdhsa_user_sgpr_dispatch_ptr 0
		.amdhsa_user_sgpr_queue_ptr 0
		.amdhsa_user_sgpr_kernarg_segment_ptr 1
		.amdhsa_user_sgpr_dispatch_id 0
		.amdhsa_user_sgpr_private_segment_size 0
		.amdhsa_wavefront_size32 1
		.amdhsa_uses_dynamic_stack 0
		.amdhsa_enable_private_segment 0
		.amdhsa_system_sgpr_workgroup_id_x 1
		.amdhsa_system_sgpr_workgroup_id_y 0
		.amdhsa_system_sgpr_workgroup_id_z 0
		.amdhsa_system_sgpr_workgroup_info 0
		.amdhsa_system_vgpr_workitem_id 0
		.amdhsa_next_free_vgpr 27
		.amdhsa_next_free_sgpr 54
		.amdhsa_reserve_vcc 1
		.amdhsa_float_round_mode_32 0
		.amdhsa_float_round_mode_16_64 0
		.amdhsa_float_denorm_mode_32 3
		.amdhsa_float_denorm_mode_16_64 3
		.amdhsa_dx10_clamp 1
		.amdhsa_ieee_mode 1
		.amdhsa_fp16_overflow 0
		.amdhsa_workgroup_processor_mode 1
		.amdhsa_memory_ordered 1
		.amdhsa_forward_progress 0
		.amdhsa_shared_vgpr_count 0
		.amdhsa_exception_fp_ieee_invalid_op 0
		.amdhsa_exception_fp_denorm_src 0
		.amdhsa_exception_fp_ieee_div_zero 0
		.amdhsa_exception_fp_ieee_overflow 0
		.amdhsa_exception_fp_ieee_underflow 0
		.amdhsa_exception_fp_ieee_inexact 0
		.amdhsa_exception_int_div_zero 0
	.end_amdhsa_kernel
	.section	.text._ZN9rocsparseL22csrmvn_adaptive_kernelIll21rocsparse_complex_numIfES2_S2_S2_EEvbT_PKS3_PjPKT0_NS_24const_host_device_scalarIT4_EES5_S9_PKT1_PKT2_SC_PT3_21rocsparse_index_base_b,"axG",@progbits,_ZN9rocsparseL22csrmvn_adaptive_kernelIll21rocsparse_complex_numIfES2_S2_S2_EEvbT_PKS3_PjPKT0_NS_24const_host_device_scalarIT4_EES5_S9_PKT1_PKT2_SC_PT3_21rocsparse_index_base_b,comdat
.Lfunc_end29:
	.size	_ZN9rocsparseL22csrmvn_adaptive_kernelIll21rocsparse_complex_numIfES2_S2_S2_EEvbT_PKS3_PjPKT0_NS_24const_host_device_scalarIT4_EES5_S9_PKT1_PKT2_SC_PT3_21rocsparse_index_base_b, .Lfunc_end29-_ZN9rocsparseL22csrmvn_adaptive_kernelIll21rocsparse_complex_numIfES2_S2_S2_EEvbT_PKS3_PjPKT0_NS_24const_host_device_scalarIT4_EES5_S9_PKT1_PKT2_SC_PT3_21rocsparse_index_base_b
                                        ; -- End function
	.section	.AMDGPU.csdata,"",@progbits
; Kernel info:
; codeLenInByte = 5680
; NumSgprs: 56
; NumVgprs: 27
; ScratchSize: 0
; MemoryBound: 0
; FloatMode: 240
; IeeeMode: 1
; LDSByteSize: 8192 bytes/workgroup (compile time only)
; SGPRBlocks: 6
; VGPRBlocks: 3
; NumSGPRsForWavesPerEU: 56
; NumVGPRsForWavesPerEU: 27
; Occupancy: 16
; WaveLimiterHint : 1
; COMPUTE_PGM_RSRC2:SCRATCH_EN: 0
; COMPUTE_PGM_RSRC2:USER_SGPR: 15
; COMPUTE_PGM_RSRC2:TRAP_HANDLER: 0
; COMPUTE_PGM_RSRC2:TGID_X_EN: 1
; COMPUTE_PGM_RSRC2:TGID_Y_EN: 0
; COMPUTE_PGM_RSRC2:TGID_Z_EN: 0
; COMPUTE_PGM_RSRC2:TIDIG_COMP_CNT: 0
	.section	.text._ZN9rocsparseL22partial_scale_y_kernelIl21rocsparse_complex_numIfES2_EEvT_S3_S3_NS_24const_host_device_scalarIT1_EEPT0_b,"axG",@progbits,_ZN9rocsparseL22partial_scale_y_kernelIl21rocsparse_complex_numIfES2_EEvT_S3_S3_NS_24const_host_device_scalarIT1_EEPT0_b,comdat
	.globl	_ZN9rocsparseL22partial_scale_y_kernelIl21rocsparse_complex_numIfES2_EEvT_S3_S3_NS_24const_host_device_scalarIT1_EEPT0_b ; -- Begin function _ZN9rocsparseL22partial_scale_y_kernelIl21rocsparse_complex_numIfES2_EEvT_S3_S3_NS_24const_host_device_scalarIT1_EEPT0_b
	.p2align	8
	.type	_ZN9rocsparseL22partial_scale_y_kernelIl21rocsparse_complex_numIfES2_EEvT_S3_S3_NS_24const_host_device_scalarIT1_EEPT0_b,@function
_ZN9rocsparseL22partial_scale_y_kernelIl21rocsparse_complex_numIfES2_EEvT_S3_S3_NS_24const_host_device_scalarIT1_EEPT0_b: ; @_ZN9rocsparseL22partial_scale_y_kernelIl21rocsparse_complex_numIfES2_EEvT_S3_S3_NS_24const_host_device_scalarIT1_EEPT0_b
; %bb.0:
	s_clause 0x2
	s_load_b32 s12, s[0:1], 0x28
	s_load_b64 s[2:3], s[0:1], 0x18
	s_load_b256 s[4:11], s[0:1], 0x0
	s_waitcnt lgkmcnt(0)
	s_bitcmp1_b32 s12, 0
	v_mov_b32_e32 v2, s2
	s_cselect_b32 s12, -1, 0
	s_delay_alu instid0(SALU_CYCLE_1)
	s_and_b32 vcc_lo, exec_lo, s12
	s_xor_b32 s2, s12, -1
	s_cbranch_vccnz .LBB30_2
; %bb.1:
	v_dual_mov_b32 v1, s10 :: v_dual_mov_b32 v2, s11
	flat_load_b32 v2, v[1:2]
.LBB30_2:
	v_mov_b32_e32 v3, s3
	s_and_not1_b32 vcc_lo, exec_lo, s2
	s_cbranch_vccnz .LBB30_4
; %bb.3:
	v_dual_mov_b32 v3, s10 :: v_dual_mov_b32 v4, s11
	flat_load_b32 v3, v[3:4] offset:4
.LBB30_4:
	s_waitcnt vmcnt(0) lgkmcnt(0)
	v_cmp_neq_f32_e32 vcc_lo, 1.0, v2
	v_cmp_neq_f32_e64 s2, 0, v3
	s_delay_alu instid0(VALU_DEP_1) | instskip(NEXT) | instid1(SALU_CYCLE_1)
	s_or_b32 s2, vcc_lo, s2
	s_and_saveexec_b32 s3, s2
	s_cbranch_execz .LBB30_17
; %bb.5:
	v_lshl_or_b32 v0, s15, 8, v0
	v_mov_b32_e32 v1, 0
	s_add_u32 s2, s6, s4
	s_addc_u32 s3, s7, s5
	s_sub_u32 s2, s2, s8
	s_subb_u32 s3, s3, s9
	s_delay_alu instid0(SALU_CYCLE_1)
	v_cmp_gt_i64_e32 vcc_lo, s[2:3], v[0:1]
	s_and_b32 exec_lo, exec_lo, vcc_lo
	s_cbranch_execz .LBB30_17
; %bb.6:
	s_load_b64 s[2:3], s[0:1], 0x20
	v_cmp_neq_f32_e32 vcc_lo, 0, v2
	v_cmp_neq_f32_e64 s0, 0, v3
	v_cmp_le_i64_e64 s1, s[6:7], v[0:1]
	s_delay_alu instid0(VALU_DEP_2) | instskip(NEXT) | instid1(VALU_DEP_1)
	s_or_b32 s0, vcc_lo, s0
	s_and_saveexec_b32 s4, s1
	s_delay_alu instid0(SALU_CYCLE_1)
	s_xor_b32 s1, exec_lo, s4
	s_cbranch_execz .LBB30_12
; %bb.7:
	v_sub_co_u32 v0, s4, v0, s6
	s_delay_alu instid0(VALU_DEP_1) | instskip(SKIP_3) | instid1(VALU_DEP_1)
	v_sub_co_ci_u32_e64 v1, null, 0, s7, s4
	s_lshl_b64 s[4:5], s[8:9], 3
	s_waitcnt lgkmcnt(0)
	s_add_u32 s4, s4, s2
	v_lshlrev_b64 v[0:1], 3, v[0:1]
	s_addc_u32 s5, s5, s3
	s_delay_alu instid0(VALU_DEP_1) | instskip(NEXT) | instid1(VALU_DEP_2)
	v_add_co_u32 v0, vcc_lo, s4, v0
	v_add_co_ci_u32_e32 v1, vcc_lo, s5, v1, vcc_lo
	s_and_saveexec_b32 s4, s0
	s_delay_alu instid0(SALU_CYCLE_1)
	s_xor_b32 s4, exec_lo, s4
	s_cbranch_execz .LBB30_9
; %bb.8:
	global_load_b64 v[4:5], v[0:1], off
	s_waitcnt vmcnt(0)
	v_mul_f32_e64 v6, v3, -v5
	s_delay_alu instid0(VALU_DEP_1) | instskip(NEXT) | instid1(VALU_DEP_1)
	v_dual_mul_f32 v7, v3, v4 :: v_dual_fmac_f32 v6, v4, v2
	v_fmac_f32_e32 v7, v5, v2
	global_store_b64 v[0:1], v[6:7], off
                                        ; implicit-def: $vgpr0_vgpr1
.LBB30_9:
	s_and_not1_saveexec_b32 s4, s4
	s_cbranch_execz .LBB30_11
; %bb.10:
	v_mov_b32_e32 v2, 0
	s_delay_alu instid0(VALU_DEP_1)
	v_mov_b32_e32 v3, v2
	global_store_b64 v[0:1], v[2:3], off
.LBB30_11:
	s_or_b32 exec_lo, exec_lo, s4
                                        ; implicit-def: $vgpr0_vgpr1
                                        ; implicit-def: $vgpr3
                                        ; implicit-def: $vgpr2
.LBB30_12:
	s_and_not1_saveexec_b32 s1, s1
	s_cbranch_execz .LBB30_17
; %bb.13:
	v_lshlrev_b64 v[0:1], 3, v[0:1]
	s_waitcnt lgkmcnt(0)
	s_delay_alu instid0(VALU_DEP_1) | instskip(NEXT) | instid1(VALU_DEP_2)
	v_add_co_u32 v0, vcc_lo, s2, v0
	v_add_co_ci_u32_e32 v1, vcc_lo, s3, v1, vcc_lo
	s_and_saveexec_b32 s1, s0
	s_delay_alu instid0(SALU_CYCLE_1)
	s_xor_b32 s0, exec_lo, s1
	s_cbranch_execz .LBB30_15
; %bb.14:
	global_load_b64 v[4:5], v[0:1], off
	s_waitcnt vmcnt(0)
	v_mul_f32_e64 v6, v3, -v5
	s_delay_alu instid0(VALU_DEP_1) | instskip(NEXT) | instid1(VALU_DEP_1)
	v_dual_mul_f32 v7, v3, v4 :: v_dual_fmac_f32 v6, v4, v2
	v_fmac_f32_e32 v7, v5, v2
	global_store_b64 v[0:1], v[6:7], off
                                        ; implicit-def: $vgpr0_vgpr1
.LBB30_15:
	s_and_not1_saveexec_b32 s0, s0
	s_cbranch_execz .LBB30_17
; %bb.16:
	v_mov_b32_e32 v2, 0
	s_delay_alu instid0(VALU_DEP_1)
	v_mov_b32_e32 v3, v2
	global_store_b64 v[0:1], v[2:3], off
.LBB30_17:
	s_nop 0
	s_sendmsg sendmsg(MSG_DEALLOC_VGPRS)
	s_endpgm
	.section	.rodata,"a",@progbits
	.p2align	6, 0x0
	.amdhsa_kernel _ZN9rocsparseL22partial_scale_y_kernelIl21rocsparse_complex_numIfES2_EEvT_S3_S3_NS_24const_host_device_scalarIT1_EEPT0_b
		.amdhsa_group_segment_fixed_size 0
		.amdhsa_private_segment_fixed_size 0
		.amdhsa_kernarg_size 44
		.amdhsa_user_sgpr_count 15
		.amdhsa_user_sgpr_dispatch_ptr 0
		.amdhsa_user_sgpr_queue_ptr 0
		.amdhsa_user_sgpr_kernarg_segment_ptr 1
		.amdhsa_user_sgpr_dispatch_id 0
		.amdhsa_user_sgpr_private_segment_size 0
		.amdhsa_wavefront_size32 1
		.amdhsa_uses_dynamic_stack 0
		.amdhsa_enable_private_segment 0
		.amdhsa_system_sgpr_workgroup_id_x 1
		.amdhsa_system_sgpr_workgroup_id_y 0
		.amdhsa_system_sgpr_workgroup_id_z 0
		.amdhsa_system_sgpr_workgroup_info 0
		.amdhsa_system_vgpr_workitem_id 0
		.amdhsa_next_free_vgpr 8
		.amdhsa_next_free_sgpr 16
		.amdhsa_reserve_vcc 1
		.amdhsa_float_round_mode_32 0
		.amdhsa_float_round_mode_16_64 0
		.amdhsa_float_denorm_mode_32 3
		.amdhsa_float_denorm_mode_16_64 3
		.amdhsa_dx10_clamp 1
		.amdhsa_ieee_mode 1
		.amdhsa_fp16_overflow 0
		.amdhsa_workgroup_processor_mode 1
		.amdhsa_memory_ordered 1
		.amdhsa_forward_progress 0
		.amdhsa_shared_vgpr_count 0
		.amdhsa_exception_fp_ieee_invalid_op 0
		.amdhsa_exception_fp_denorm_src 0
		.amdhsa_exception_fp_ieee_div_zero 0
		.amdhsa_exception_fp_ieee_overflow 0
		.amdhsa_exception_fp_ieee_underflow 0
		.amdhsa_exception_fp_ieee_inexact 0
		.amdhsa_exception_int_div_zero 0
	.end_amdhsa_kernel
	.section	.text._ZN9rocsparseL22partial_scale_y_kernelIl21rocsparse_complex_numIfES2_EEvT_S3_S3_NS_24const_host_device_scalarIT1_EEPT0_b,"axG",@progbits,_ZN9rocsparseL22partial_scale_y_kernelIl21rocsparse_complex_numIfES2_EEvT_S3_S3_NS_24const_host_device_scalarIT1_EEPT0_b,comdat
.Lfunc_end30:
	.size	_ZN9rocsparseL22partial_scale_y_kernelIl21rocsparse_complex_numIfES2_EEvT_S3_S3_NS_24const_host_device_scalarIT1_EEPT0_b, .Lfunc_end30-_ZN9rocsparseL22partial_scale_y_kernelIl21rocsparse_complex_numIfES2_EEvT_S3_S3_NS_24const_host_device_scalarIT1_EEPT0_b
                                        ; -- End function
	.section	.AMDGPU.csdata,"",@progbits
; Kernel info:
; codeLenInByte = 520
; NumSgprs: 18
; NumVgprs: 8
; ScratchSize: 0
; MemoryBound: 0
; FloatMode: 240
; IeeeMode: 1
; LDSByteSize: 0 bytes/workgroup (compile time only)
; SGPRBlocks: 2
; VGPRBlocks: 0
; NumSGPRsForWavesPerEU: 18
; NumVGPRsForWavesPerEU: 8
; Occupancy: 16
; WaveLimiterHint : 0
; COMPUTE_PGM_RSRC2:SCRATCH_EN: 0
; COMPUTE_PGM_RSRC2:USER_SGPR: 15
; COMPUTE_PGM_RSRC2:TRAP_HANDLER: 0
; COMPUTE_PGM_RSRC2:TGID_X_EN: 1
; COMPUTE_PGM_RSRC2:TGID_Y_EN: 0
; COMPUTE_PGM_RSRC2:TGID_Z_EN: 0
; COMPUTE_PGM_RSRC2:TIDIG_COMP_CNT: 0
	.section	.text._ZN9rocsparseL27csrmvn_symm_adaptive_kernelIll21rocsparse_complex_numIfES2_S2_S2_EEvbT_S3_PKS3_NS_24const_host_device_scalarIT4_EES5_PKT0_PKT1_PKT2_S8_PT3_21rocsparse_index_base_b,"axG",@progbits,_ZN9rocsparseL27csrmvn_symm_adaptive_kernelIll21rocsparse_complex_numIfES2_S2_S2_EEvbT_S3_PKS3_NS_24const_host_device_scalarIT4_EES5_PKT0_PKT1_PKT2_S8_PT3_21rocsparse_index_base_b,comdat
	.globl	_ZN9rocsparseL27csrmvn_symm_adaptive_kernelIll21rocsparse_complex_numIfES2_S2_S2_EEvbT_S3_PKS3_NS_24const_host_device_scalarIT4_EES5_PKT0_PKT1_PKT2_S8_PT3_21rocsparse_index_base_b ; -- Begin function _ZN9rocsparseL27csrmvn_symm_adaptive_kernelIll21rocsparse_complex_numIfES2_S2_S2_EEvbT_S3_PKS3_NS_24const_host_device_scalarIT4_EES5_PKT0_PKT1_PKT2_S8_PT3_21rocsparse_index_base_b
	.p2align	8
	.type	_ZN9rocsparseL27csrmvn_symm_adaptive_kernelIll21rocsparse_complex_numIfES2_S2_S2_EEvbT_S3_PKS3_NS_24const_host_device_scalarIT4_EES5_PKT0_PKT1_PKT2_S8_PT3_21rocsparse_index_base_b,@function
_ZN9rocsparseL27csrmvn_symm_adaptive_kernelIll21rocsparse_complex_numIfES2_S2_S2_EEvbT_S3_PKS3_NS_24const_host_device_scalarIT4_EES5_PKT0_PKT1_PKT2_S8_PT3_21rocsparse_index_base_b: ; @_ZN9rocsparseL27csrmvn_symm_adaptive_kernelIll21rocsparse_complex_numIfES2_S2_S2_EEvbT_S3_PKS3_NS_24const_host_device_scalarIT4_EES5_PKT0_PKT1_PKT2_S8_PT3_21rocsparse_index_base_b
; %bb.0:
	s_clause 0x2
	s_load_b64 s[24:25], s[0:1], 0x58
	s_load_b64 s[6:7], s[0:1], 0x20
	;; [unrolled: 1-line block ×3, first 2 shown]
	s_mov_b32 s4, s15
	s_waitcnt lgkmcnt(0)
	s_bitcmp1_b32 s25, 0
	v_mov_b32_e32 v10, s6
	s_cselect_b32 s5, -1, 0
	s_delay_alu instid0(SALU_CYCLE_1)
	s_and_b32 vcc_lo, exec_lo, s5
	s_xor_b32 s5, s5, -1
	s_cbranch_vccz .LBB31_11
; %bb.1:
	v_cndmask_b32_e64 v2, 0, 1, s5
	v_mov_b32_e32 v11, s7
	s_and_not1_b32 vcc_lo, exec_lo, s5
	s_cbranch_vccz .LBB31_12
.LBB31_2:
	s_delay_alu instid0(VALU_DEP_2)
	v_cmp_ne_u32_e32 vcc_lo, 1, v2
	v_mov_b32_e32 v1, s2
	s_cbranch_vccz .LBB31_13
.LBB31_3:
	v_cmp_ne_u32_e32 vcc_lo, 1, v2
	v_mov_b32_e32 v2, s3
	s_cbranch_vccnz .LBB31_5
.LBB31_4:
	v_dual_mov_b32 v2, s2 :: v_dual_mov_b32 v3, s3
	flat_load_b32 v2, v[2:3] offset:4
.LBB31_5:
	s_waitcnt vmcnt(0) lgkmcnt(0)
	v_cmp_eq_f32_e32 vcc_lo, 0, v10
	v_cmp_eq_f32_e64 s2, 0, v11
	s_delay_alu instid0(VALU_DEP_1)
	s_and_b32 s5, vcc_lo, s2
	s_mov_b32 s2, -1
	s_and_saveexec_b32 s3, s5
; %bb.6:
	v_and_b32_e32 v2, 0x7fffffff, v2
	v_cmp_neq_f32_e32 vcc_lo, 1.0, v1
	s_delay_alu instid0(VALU_DEP_2) | instskip(NEXT) | instid1(VALU_DEP_1)
	v_cmp_ne_u32_e64 s2, 0, v2
	s_or_b32 s2, vcc_lo, s2
	s_delay_alu instid0(SALU_CYCLE_1)
	s_or_not1_b32 s2, s2, exec_lo
; %bb.7:
	s_or_b32 exec_lo, exec_lo, s3
	s_and_saveexec_b32 s3, s2
	s_cbranch_execz .LBB31_200
; %bb.8:
	s_clause 0x1
	s_load_b32 s5, s[0:1], 0x0
	s_load_b64 s[2:3], s[0:1], 0x18
	s_mov_b32 s6, 0
	s_delay_alu instid0(SALU_CYCLE_1)
	s_mov_b32 s7, s6
	v_dual_mov_b32 v1, s6 :: v_dual_lshlrev_b32 v18, 3, v0
	v_mov_b32_e32 v2, s7
	ds_store_2addr_stride64_b64 v18, v[1:2], v[1:2] offset1:4
	ds_store_2addr_stride64_b64 v18, v[1:2], v[1:2] offset0:8 offset1:12
	s_waitcnt lgkmcnt(0)
	s_barrier
	buffer_gl0_inv
	s_bitcmp1_b32 s5, 0
	s_cselect_b32 s25, -1, 0
	s_ashr_i32 s5, s4, 31
	s_delay_alu instid0(SALU_CYCLE_1) | instskip(NEXT) | instid1(SALU_CYCLE_1)
	s_lshl_b64 s[4:5], s[4:5], 3
	s_add_u32 s2, s2, s4
	s_addc_u32 s3, s3, s5
	s_load_b128 s[16:19], s[2:3], 0x0
	s_clause 0x1
	s_load_b256 s[8:15], s[0:1], 0x28
	s_load_b64 s[20:21], s[0:1], 0x50
	s_waitcnt lgkmcnt(0)
	s_sub_u32 s22, s18, s16
	s_subb_u32 s23, s19, s17
	s_delay_alu instid0(SALU_CYCLE_1) | instskip(NEXT) | instid1(VALU_DEP_1)
	v_cmp_gt_i64_e64 s2, s[22:23], 2
	s_and_b32 vcc_lo, exec_lo, s2
	s_mov_b32 s2, -1
	s_cbranch_vccnz .LBB31_57
; %bb.9:
	v_cmp_gt_i64_e64 s2, s[18:19], s[16:17]
	v_sub_co_u32 v9, s3, v0, s24
	s_delay_alu instid0(VALU_DEP_1) | instskip(NEXT) | instid1(VALU_DEP_3)
	v_sub_co_ci_u32_e64 v12, null, 0, 0, s3
	s_and_b32 vcc_lo, exec_lo, s2
	s_cbranch_vccnz .LBB31_14
; %bb.10:
	s_lshl_b64 s[2:3], s[16:17], 3
	s_delay_alu instid0(SALU_CYCLE_1)
	s_add_u32 s2, s8, s2
	s_addc_u32 s3, s9, s3
	s_load_b64 s[26:27], s[2:3], 0x0
	s_cbranch_execz .LBB31_15
	s_branch .LBB31_44
.LBB31_11:
	v_dual_mov_b32 v1, s6 :: v_dual_mov_b32 v2, s7
	flat_load_b32 v10, v[1:2]
	v_cndmask_b32_e64 v2, 0, 1, s5
	v_mov_b32_e32 v11, s7
	s_and_not1_b32 vcc_lo, exec_lo, s5
	s_cbranch_vccnz .LBB31_2
.LBB31_12:
	v_dual_mov_b32 v3, s6 :: v_dual_mov_b32 v4, s7
	flat_load_b32 v11, v[3:4] offset:4
	v_cmp_ne_u32_e32 vcc_lo, 1, v2
	v_mov_b32_e32 v1, s2
	s_cbranch_vccnz .LBB31_3
.LBB31_13:
	v_dual_mov_b32 v4, s3 :: v_dual_mov_b32 v3, s2
	flat_load_b32 v1, v[3:4]
	v_cmp_ne_u32_e32 vcc_lo, 1, v2
	v_mov_b32_e32 v2, s3
	s_cbranch_vccz .LBB31_4
	s_branch .LBB31_5
.LBB31_14:
                                        ; implicit-def: $sgpr26_sgpr27
.LBB31_15:
	s_lshl_b64 s[2:3], s[16:17], 3
	v_cmp_gt_u32_e64 s4, 16, v0
	s_add_u32 s2, s8, s2
	s_addc_u32 s3, s9, s3
	v_cmp_gt_u32_e64 s5, 4, v0
	s_waitcnt lgkmcnt(0)
	s_load_b64 s[26:27], s[2:3], 0x0
	v_cmp_gt_u32_e64 s2, 0x100, v0
	v_cmp_gt_u32_e64 s3, 64, v0
	v_cmp_eq_u32_e64 s6, 0, v0
	v_mov_b32_e32 v13, 0
	s_add_u32 s33, s8, 8
	s_addc_u32 s38, s9, 0
	s_add_u32 s39, s12, 4
	s_addc_u32 s40, s13, 0
	s_mov_b64 s[28:29], s[16:17]
	s_waitcnt lgkmcnt(0)
	s_mov_b64 s[30:31], s[26:27]
	s_branch .LBB31_17
.LBB31_16:                              ;   in Loop: Header=BB31_17 Depth=1
	s_or_b32 exec_lo, exec_lo, s7
	s_add_u32 s28, s28, 1
	s_addc_u32 s29, s29, 0
	s_delay_alu instid0(SALU_CYCLE_1) | instskip(NEXT) | instid1(VALU_DEP_1)
	v_cmp_ge_i64_e64 s7, s[28:29], s[18:19]
	s_and_b32 vcc_lo, exec_lo, s7
	s_cbranch_vccnz .LBB31_44
.LBB31_17:                              ; =>This Loop Header: Depth=1
                                        ;     Child Loop BB31_19 Depth 2
                                        ;     Child Loop BB31_33 Depth 2
	;; [unrolled: 1-line block ×5, first 2 shown]
	s_lshl_b64 s[34:35], s[28:29], 3
	s_mov_b64 s[42:43], s[30:31]
	s_add_u32 s36, s33, s34
	s_addc_u32 s37, s38, s35
	v_add_co_u32 v1, vcc_lo, s42, v9
	s_load_b64 s[30:31], s[36:37], 0x0
	v_add_co_ci_u32_e32 v2, vcc_lo, s43, v12, vcc_lo
	v_dual_mov_b32 v4, 0 :: v_dual_mov_b32 v3, 0
	s_mov_b32 s41, exec_lo
	s_waitcnt lgkmcnt(0)
	s_sub_u32 s36, s30, s24
	s_subb_u32 s37, s31, 0
	s_delay_alu instid0(SALU_CYCLE_1)
	v_cmpx_gt_i64_e64 s[36:37], v[1:2]
	s_cbranch_execz .LBB31_21
; %bb.18:                               ;   in Loop: Header=BB31_17 Depth=1
	v_lshlrev_b64 v[7:8], 3, v[1:2]
	v_mov_b32_e32 v4, 0
	s_mov_b32 s42, 0
	s_delay_alu instid0(VALU_DEP_1) | instskip(NEXT) | instid1(VALU_DEP_3)
	v_mov_b32_e32 v3, v4
	v_add_co_u32 v5, vcc_lo, s10, v7
	s_delay_alu instid0(VALU_DEP_4)
	v_add_co_ci_u32_e32 v6, vcc_lo, s11, v8, vcc_lo
	v_add_co_u32 v7, vcc_lo, s39, v7
	v_add_co_ci_u32_e32 v8, vcc_lo, s40, v8, vcc_lo
	s_set_inst_prefetch_distance 0x1
	.p2align	6
.LBB31_19:                              ;   Parent Loop BB31_17 Depth=1
                                        ; =>  This Inner Loop Header: Depth=2
	global_load_b64 v[14:15], v[5:6], off
	global_load_b64 v[16:17], v[7:8], off offset:-4
	s_waitcnt vmcnt(1)
	v_sub_co_u32 v14, vcc_lo, v14, s24
	v_subrev_co_ci_u32_e32 v15, vcc_lo, 0, v15, vcc_lo
	s_waitcnt vmcnt(0)
	v_cndmask_b32_e64 v17, v17, -v17, s25
	s_delay_alu instid0(VALU_DEP_2) | instskip(NEXT) | instid1(VALU_DEP_1)
	v_lshlrev_b64 v[14:15], 3, v[14:15]
	v_add_co_u32 v14, vcc_lo, s14, v14
	s_delay_alu instid0(VALU_DEP_2)
	v_add_co_ci_u32_e32 v15, vcc_lo, s15, v15, vcc_lo
	v_add_co_u32 v1, vcc_lo, 0x100, v1
	v_add_co_ci_u32_e32 v2, vcc_lo, 0, v2, vcc_lo
	global_load_b64 v[14:15], v[14:15], off
	v_add_co_u32 v5, vcc_lo, 0x800, v5
	v_add_co_ci_u32_e32 v6, vcc_lo, 0, v6, vcc_lo
	v_cmp_le_i64_e64 s7, s[36:37], v[1:2]
	v_add_co_u32 v7, vcc_lo, 0x800, v7
	v_add_co_ci_u32_e32 v8, vcc_lo, 0, v8, vcc_lo
	s_delay_alu instid0(VALU_DEP_3) | instskip(SKIP_3) | instid1(VALU_DEP_2)
	s_or_b32 s42, s7, s42
	s_waitcnt vmcnt(0)
	v_fmac_f32_e32 v3, v16, v14
	v_fmac_f32_e32 v4, v17, v14
	v_fma_f32 v3, -v17, v15, v3
	s_delay_alu instid0(VALU_DEP_2)
	v_fmac_f32_e32 v4, v16, v15
	s_and_not1_b32 exec_lo, exec_lo, s42
	s_cbranch_execnz .LBB31_19
; %bb.20:                               ;   in Loop: Header=BB31_17 Depth=1
	s_set_inst_prefetch_distance 0x2
	s_or_b32 exec_lo, exec_lo, s42
.LBB31_21:                              ;   in Loop: Header=BB31_17 Depth=1
	s_delay_alu instid0(SALU_CYCLE_1)
	s_or_b32 exec_lo, exec_lo, s41
	ds_store_b64 v18, v[3:4]
	s_waitcnt lgkmcnt(0)
	s_barrier
	buffer_gl0_inv
	s_and_saveexec_b32 s7, s2
	s_cbranch_execz .LBB31_23
; %bb.22:                               ;   in Loop: Header=BB31_17 Depth=1
	ds_load_2addr_stride64_b64 v[1:4], v18 offset1:4
	ds_load_2addr_stride64_b64 v[5:8], v18 offset0:8 offset1:12
	s_waitcnt lgkmcnt(0)
	v_dual_add_f32 v3, v5, v3 :: v_dual_add_f32 v4, v6, v4
	s_delay_alu instid0(VALU_DEP_1) | instskip(NEXT) | instid1(VALU_DEP_1)
	v_dual_add_f32 v3, v3, v7 :: v_dual_add_f32 v4, v4, v8
	v_dual_add_f32 v1, v3, v1 :: v_dual_add_f32 v2, v4, v2
	ds_store_b64 v18, v[1:2]
.LBB31_23:                              ;   in Loop: Header=BB31_17 Depth=1
	s_or_b32 exec_lo, exec_lo, s7
	s_waitcnt lgkmcnt(0)
	s_barrier
	buffer_gl0_inv
	s_and_saveexec_b32 s7, s3
	s_cbranch_execz .LBB31_25
; %bb.24:                               ;   in Loop: Header=BB31_17 Depth=1
	ds_load_2addr_stride64_b64 v[1:4], v18 offset1:1
	ds_load_2addr_stride64_b64 v[5:8], v18 offset0:2 offset1:3
	s_waitcnt lgkmcnt(0)
	v_dual_add_f32 v3, v5, v3 :: v_dual_add_f32 v4, v6, v4
	s_delay_alu instid0(VALU_DEP_1) | instskip(NEXT) | instid1(VALU_DEP_1)
	v_dual_add_f32 v3, v3, v7 :: v_dual_add_f32 v4, v4, v8
	v_dual_add_f32 v1, v3, v1 :: v_dual_add_f32 v2, v4, v2
	ds_store_b64 v18, v[1:2]
.LBB31_25:                              ;   in Loop: Header=BB31_17 Depth=1
	s_or_b32 exec_lo, exec_lo, s7
	s_waitcnt lgkmcnt(0)
	s_barrier
	buffer_gl0_inv
	s_and_saveexec_b32 s7, s4
	s_cbranch_execz .LBB31_27
; %bb.26:                               ;   in Loop: Header=BB31_17 Depth=1
	ds_load_2addr_b64 v[1:4], v18 offset1:16
	ds_load_2addr_b64 v[5:8], v18 offset0:32 offset1:48
	s_waitcnt lgkmcnt(0)
	v_dual_add_f32 v3, v5, v3 :: v_dual_add_f32 v4, v6, v4
	s_delay_alu instid0(VALU_DEP_1) | instskip(NEXT) | instid1(VALU_DEP_1)
	v_dual_add_f32 v3, v3, v7 :: v_dual_add_f32 v4, v4, v8
	v_dual_add_f32 v1, v3, v1 :: v_dual_add_f32 v2, v4, v2
	ds_store_b64 v18, v[1:2]
.LBB31_27:                              ;   in Loop: Header=BB31_17 Depth=1
	s_or_b32 exec_lo, exec_lo, s7
	s_waitcnt lgkmcnt(0)
	s_barrier
	buffer_gl0_inv
	s_and_saveexec_b32 s7, s5
	s_cbranch_execz .LBB31_29
; %bb.28:                               ;   in Loop: Header=BB31_17 Depth=1
	ds_load_2addr_b64 v[1:4], v18 offset1:4
	ds_load_2addr_b64 v[5:8], v18 offset0:8 offset1:12
	s_waitcnt lgkmcnt(0)
	v_dual_add_f32 v3, v5, v3 :: v_dual_add_f32 v4, v6, v4
	s_delay_alu instid0(VALU_DEP_1) | instskip(NEXT) | instid1(VALU_DEP_1)
	v_dual_add_f32 v3, v3, v7 :: v_dual_add_f32 v4, v4, v8
	v_dual_add_f32 v1, v3, v1 :: v_dual_add_f32 v2, v4, v2
	ds_store_b64 v18, v[1:2]
.LBB31_29:                              ;   in Loop: Header=BB31_17 Depth=1
	s_or_b32 exec_lo, exec_lo, s7
	s_waitcnt lgkmcnt(0)
	s_barrier
	buffer_gl0_inv
	s_and_saveexec_b32 s7, s6
	s_cbranch_execz .LBB31_31
; %bb.30:                               ;   in Loop: Header=BB31_17 Depth=1
	ds_load_b128 v[1:4], v13 offset:16
	ds_load_b64 v[5:6], v13 offset:8
	ds_load_b64 v[7:8], v18
	s_waitcnt lgkmcnt(1)
	v_dual_add_f32 v1, v1, v5 :: v_dual_add_f32 v2, v2, v6
	s_delay_alu instid0(VALU_DEP_1) | instskip(SKIP_1) | instid1(VALU_DEP_1)
	v_dual_add_f32 v1, v1, v3 :: v_dual_add_f32 v2, v2, v4
	s_waitcnt lgkmcnt(0)
	v_dual_add_f32 v1, v1, v7 :: v_dual_add_f32 v2, v2, v8
	ds_store_b64 v18, v[1:2]
.LBB31_31:                              ;   in Loop: Header=BB31_17 Depth=1
	s_or_b32 exec_lo, exec_lo, s7
	s_waitcnt lgkmcnt(0)
	s_barrier
	buffer_gl0_inv
	s_and_saveexec_b32 s7, s6
	s_cbranch_execz .LBB31_16
; %bb.32:                               ;   in Loop: Header=BB31_17 Depth=1
	ds_load_b64 v[1:2], v13
	v_bfrev_b32_e32 v5, 1
	s_mov_b32 s36, exec_lo
	s_waitcnt lgkmcnt(0)
	v_mul_f32_e64 v3, v2, -v11
	s_delay_alu instid0(VALU_DEP_1)
	v_fmac_f32_e32 v3, v10, v1
.LBB31_33:                              ;   Parent Loop BB31_17 Depth=1
                                        ; =>  This Inner Loop Header: Depth=2
	s_ctz_i32_b32 s37, s36
	s_delay_alu instid0(VALU_DEP_1) | instid1(SALU_CYCLE_1)
	v_readlane_b32 s41, v3, s37
	s_lshl_b32 s37, 1, s37
	s_delay_alu instid0(SALU_CYCLE_1) | instskip(NEXT) | instid1(SALU_CYCLE_1)
	s_and_not1_b32 s36, s36, s37
	s_cmp_lg_u32 s36, 0
	s_delay_alu instid0(VALU_DEP_1)
	v_add_f32_e32 v5, s41, v5
	s_cbranch_scc1 .LBB31_33
; %bb.34:                               ;   in Loop: Header=BB31_17 Depth=1
	v_mbcnt_lo_u32_b32 v3, exec_lo, 0
	s_add_u32 s34, s20, s34
	s_addc_u32 s35, s21, s35
	s_mov_b32 s36, exec_lo
	s_delay_alu instid0(VALU_DEP_1)
	v_cmpx_eq_u32_e32 0, v3
	s_xor_b32 s36, exec_lo, s36
	s_cbranch_execz .LBB31_38
; %bb.35:                               ;   in Loop: Header=BB31_17 Depth=1
	global_load_b32 v4, v13, s[34:35]
	s_mov_b32 s37, 0
.LBB31_36:                              ;   Parent Loop BB31_17 Depth=1
                                        ; =>  This Inner Loop Header: Depth=2
	s_waitcnt vmcnt(0)
	v_add_f32_e32 v3, v4, v5
	global_atomic_cmpswap_b32 v3, v13, v[3:4], s[34:35] glc
	s_waitcnt vmcnt(0)
	v_cmp_eq_u32_e32 vcc_lo, v3, v4
	v_mov_b32_e32 v4, v3
	s_or_b32 s37, vcc_lo, s37
	s_delay_alu instid0(SALU_CYCLE_1)
	s_and_not1_b32 exec_lo, exec_lo, s37
	s_cbranch_execnz .LBB31_36
; %bb.37:                               ;   in Loop: Header=BB31_17 Depth=1
	s_or_b32 exec_lo, exec_lo, s37
.LBB31_38:                              ;   in Loop: Header=BB31_17 Depth=1
	s_delay_alu instid0(SALU_CYCLE_1) | instskip(SKIP_3) | instid1(VALU_DEP_2)
	s_or_b32 exec_lo, exec_lo, s36
	v_mul_f32_e32 v2, v2, v10
	v_bfrev_b32_e32 v3, 1
	s_mov_b32 s36, exec_lo
	v_fmac_f32_e32 v2, v11, v1
.LBB31_39:                              ;   Parent Loop BB31_17 Depth=1
                                        ; =>  This Inner Loop Header: Depth=2
	s_ctz_i32_b32 s37, s36
	s_delay_alu instid0(VALU_DEP_1) | instid1(SALU_CYCLE_1)
	v_readlane_b32 s41, v2, s37
	s_lshl_b32 s37, 1, s37
	s_delay_alu instid0(SALU_CYCLE_1) | instskip(NEXT) | instid1(SALU_CYCLE_1)
	s_and_not1_b32 s36, s36, s37
	s_cmp_lg_u32 s36, 0
	s_delay_alu instid0(VALU_DEP_1)
	v_add_f32_e32 v3, s41, v3
	s_cbranch_scc1 .LBB31_39
; %bb.40:                               ;   in Loop: Header=BB31_17 Depth=1
	v_mbcnt_lo_u32_b32 v1, exec_lo, 0
	s_mov_b32 s36, exec_lo
	s_delay_alu instid0(VALU_DEP_1)
	v_cmpx_eq_u32_e32 0, v1
	s_xor_b32 s36, exec_lo, s36
	s_cbranch_execz .LBB31_16
; %bb.41:                               ;   in Loop: Header=BB31_17 Depth=1
	global_load_b32 v2, v13, s[34:35] offset:4
	s_mov_b32 s36, 0
.LBB31_42:                              ;   Parent Loop BB31_17 Depth=1
                                        ; =>  This Inner Loop Header: Depth=2
	s_waitcnt vmcnt(0)
	v_add_f32_e32 v1, v2, v3
	global_atomic_cmpswap_b32 v1, v13, v[1:2], s[34:35] offset:4 glc
	s_waitcnt vmcnt(0)
	v_cmp_eq_u32_e32 vcc_lo, v1, v2
	v_mov_b32_e32 v2, v1
	s_or_b32 s36, vcc_lo, s36
	s_delay_alu instid0(SALU_CYCLE_1)
	s_and_not1_b32 exec_lo, exec_lo, s36
	s_cbranch_execnz .LBB31_42
; %bb.43:                               ;   in Loop: Header=BB31_17 Depth=1
	s_or_b32 exec_lo, exec_lo, s36
	s_branch .LBB31_16
.LBB31_44:
	s_lshl_b64 s[2:3], s[18:19], 3
	s_waitcnt lgkmcnt(0)
	v_add_co_u32 v1, vcc_lo, s26, v9
	s_add_u32 s2, s8, s2
	s_addc_u32 s3, s9, s3
	v_add_co_ci_u32_e32 v2, vcc_lo, s27, v12, vcc_lo
	s_load_b64 s[2:3], s[2:3], 0x0
	s_waitcnt lgkmcnt(0)
	s_sub_u32 s4, s2, s24
	s_subb_u32 s5, s3, 0
	s_mov_b32 s3, exec_lo
	v_cmpx_gt_i64_e64 s[4:5], v[1:2]
	s_cbranch_execz .LBB31_56
; %bb.45:
	s_add_u32 s6, s18, -1
	s_addc_u32 s7, s19, -1
	s_add_u32 s26, s18, -2
	v_cmp_gt_i64_e64 s2, s[6:7], s[16:17]
	s_addc_u32 s27, s19, -1
	s_delay_alu instid0(SALU_CYCLE_1)
	s_cmp_lg_u64 s[26:27], s[16:17]
	s_mov_b32 s27, 0
	s_cselect_b32 s26, -1, 0
	s_delay_alu instid0(VALU_DEP_1) | instid1(SALU_CYCLE_1)
	s_and_b32 s26, s2, s26
	s_branch .LBB31_47
.LBB31_46:                              ;   in Loop: Header=BB31_47 Depth=1
	s_or_b32 exec_lo, exec_lo, s2
	v_add_co_u32 v1, vcc_lo, 0x100, v1
	v_add_co_ci_u32_e32 v2, vcc_lo, 0, v2, vcc_lo
	s_delay_alu instid0(VALU_DEP_1) | instskip(SKIP_1) | instid1(SALU_CYCLE_1)
	v_cmp_le_i64_e32 vcc_lo, s[4:5], v[1:2]
	s_or_b32 s27, vcc_lo, s27
	s_and_not1_b32 exec_lo, exec_lo, s27
	s_cbranch_execz .LBB31_56
.LBB31_47:                              ; =>This Loop Header: Depth=1
                                        ;     Child Loop BB31_49 Depth 2
                                        ;     Child Loop BB31_53 Depth 2
                                        ;     Child Loop BB31_55 Depth 2
	v_dual_mov_b32 v3, s16 :: v_dual_mov_b32 v4, s17
	v_dual_mov_b32 v5, s6 :: v_dual_mov_b32 v6, s7
	s_and_not1_b32 vcc_lo, exec_lo, s26
	s_cbranch_vccnz .LBB31_51
; %bb.48:                               ;   in Loop: Header=BB31_47 Depth=1
	v_dual_mov_b32 v3, s16 :: v_dual_mov_b32 v4, s17
	v_dual_mov_b32 v5, s6 :: v_dual_mov_b32 v6, s7
	s_mov_b32 s28, 0
	s_set_inst_prefetch_distance 0x1
	.p2align	6
.LBB31_49:                              ;   Parent Loop BB31_47 Depth=1
                                        ; =>  This Inner Loop Header: Depth=2
	s_delay_alu instid0(VALU_DEP_1) | instskip(NEXT) | instid1(VALU_DEP_2)
	v_add_co_u32 v7, vcc_lo, v5, v3
	v_add_co_ci_u32_e32 v8, vcc_lo, v6, v4, vcc_lo
	s_delay_alu instid0(VALU_DEP_1) | instskip(NEXT) | instid1(VALU_DEP_1)
	v_lshrrev_b32_e32 v9, 31, v8
	v_add_co_u32 v7, vcc_lo, v7, v9
	v_add_co_ci_u32_e32 v8, vcc_lo, 0, v8, vcc_lo
	s_delay_alu instid0(VALU_DEP_1) | instskip(NEXT) | instid1(VALU_DEP_1)
	v_ashrrev_i64 v[7:8], 1, v[7:8]
	v_lshlrev_b64 v[12:13], 3, v[7:8]
	s_delay_alu instid0(VALU_DEP_1) | instskip(NEXT) | instid1(VALU_DEP_2)
	v_add_co_u32 v12, vcc_lo, s8, v12
	v_add_co_ci_u32_e32 v13, vcc_lo, s9, v13, vcc_lo
	global_load_b64 v[12:13], v[12:13], off
	s_waitcnt vmcnt(0)
	v_sub_co_u32 v12, vcc_lo, v12, s24
	v_subrev_co_ci_u32_e32 v13, vcc_lo, 0, v13, vcc_lo
	s_delay_alu instid0(VALU_DEP_1) | instskip(SKIP_2) | instid1(VALU_DEP_2)
	v_cmp_gt_i64_e32 vcc_lo, v[12:13], v[1:2]
	v_dual_cndmask_b32 v6, v6, v8 :: v_dual_cndmask_b32 v5, v5, v7
	v_dual_cndmask_b32 v4, v8, v4 :: v_dual_cndmask_b32 v3, v7, v3
	v_add_co_u32 v7, vcc_lo, v5, -1
	s_delay_alu instid0(VALU_DEP_3) | instskip(NEXT) | instid1(VALU_DEP_3)
	v_add_co_ci_u32_e32 v8, vcc_lo, -1, v6, vcc_lo
	v_cmp_ge_i64_e32 vcc_lo, v[3:4], v[5:6]
	s_delay_alu instid0(VALU_DEP_2) | instskip(NEXT) | instid1(VALU_DEP_1)
	v_cmp_eq_u64_e64 s2, v[3:4], v[7:8]
	s_or_b32 s2, vcc_lo, s2
	s_delay_alu instid0(SALU_CYCLE_1) | instskip(NEXT) | instid1(SALU_CYCLE_1)
	s_and_b32 s2, exec_lo, s2
	s_or_b32 s28, s2, s28
	s_delay_alu instid0(SALU_CYCLE_1)
	s_and_not1_b32 exec_lo, exec_lo, s28
	s_cbranch_execnz .LBB31_49
; %bb.50:                               ;   in Loop: Header=BB31_47 Depth=1
	s_set_inst_prefetch_distance 0x2
	s_or_b32 exec_lo, exec_lo, s28
.LBB31_51:                              ;   in Loop: Header=BB31_47 Depth=1
	s_delay_alu instid0(VALU_DEP_1) | instskip(SKIP_1) | instid1(VALU_DEP_1)
	v_lshlrev_b64 v[7:8], 3, v[5:6]
	s_mov_b32 s2, exec_lo
	v_add_co_u32 v7, vcc_lo, s8, v7
	s_delay_alu instid0(VALU_DEP_2) | instskip(SKIP_2) | instid1(VALU_DEP_1)
	v_add_co_ci_u32_e32 v8, vcc_lo, s9, v8, vcc_lo
	global_load_b64 v[12:13], v[7:8], off
	v_lshlrev_b64 v[7:8], 3, v[1:2]
	v_add_co_u32 v14, vcc_lo, s10, v7
	s_delay_alu instid0(VALU_DEP_2) | instskip(SKIP_4) | instid1(VALU_DEP_1)
	v_add_co_ci_u32_e32 v15, vcc_lo, s11, v8, vcc_lo
	global_load_b64 v[14:15], v[14:15], off
	s_waitcnt vmcnt(1)
	v_sub_co_u32 v12, vcc_lo, v12, s24
	v_subrev_co_ci_u32_e32 v13, vcc_lo, 0, v13, vcc_lo
	v_cmp_gt_i64_e32 vcc_lo, v[12:13], v[1:2]
	v_dual_cndmask_b32 v6, v6, v4 :: v_dual_cndmask_b32 v5, v5, v3
	s_waitcnt vmcnt(0)
	v_sub_co_u32 v3, vcc_lo, v14, s24
	v_subrev_co_ci_u32_e32 v4, vcc_lo, 0, v15, vcc_lo
	s_delay_alu instid0(VALU_DEP_1)
	v_cmpx_ne_u64_e64 v[3:4], v[5:6]
	s_cbranch_execz .LBB31_46
; %bb.52:                               ;   in Loop: Header=BB31_47 Depth=1
	v_add_co_u32 v7, vcc_lo, s12, v7
	v_add_co_ci_u32_e32 v8, vcc_lo, s13, v8, vcc_lo
	v_lshlrev_b64 v[5:6], 3, v[5:6]
	v_lshlrev_b64 v[3:4], 3, v[3:4]
	s_mov_b32 s28, 0
	global_load_b64 v[13:14], v[7:8], off
	v_add_co_u32 v5, vcc_lo, s14, v5
	v_add_co_ci_u32_e32 v6, vcc_lo, s15, v6, vcc_lo
	v_add_co_u32 v3, vcc_lo, s20, v3
	v_add_co_ci_u32_e32 v4, vcc_lo, s21, v4, vcc_lo
	global_load_b64 v[5:6], v[5:6], off
	global_load_b32 v8, v[3:4], off
	s_waitcnt vmcnt(2)
	v_cndmask_b32_e64 v7, v14, -v14, s25
	s_delay_alu instid0(VALU_DEP_1) | instskip(NEXT) | instid1(VALU_DEP_1)
	v_mul_f32_e64 v12, v7, -v11
	v_dual_mul_f32 v9, v7, v10 :: v_dual_fmac_f32 v12, v10, v13
	s_delay_alu instid0(VALU_DEP_1) | instskip(SKIP_1) | instid1(VALU_DEP_1)
	v_fmac_f32_e32 v9, v11, v13
	s_waitcnt vmcnt(1)
	v_mul_f32_e64 v13, v6, -v9
	s_delay_alu instid0(VALU_DEP_1)
	v_fmac_f32_e32 v13, v12, v5
.LBB31_53:                              ;   Parent Loop BB31_47 Depth=1
                                        ; =>  This Inner Loop Header: Depth=2
	s_waitcnt vmcnt(0)
	s_delay_alu instid0(VALU_DEP_1)
	v_add_f32_e32 v7, v8, v13
	global_atomic_cmpswap_b32 v7, v[3:4], v[7:8], off glc
	s_waitcnt vmcnt(0)
	v_cmp_eq_u32_e32 vcc_lo, v7, v8
	v_mov_b32_e32 v8, v7
	s_or_b32 s28, vcc_lo, s28
	s_delay_alu instid0(SALU_CYCLE_1)
	s_and_not1_b32 exec_lo, exec_lo, s28
	s_cbranch_execnz .LBB31_53
; %bb.54:                               ;   in Loop: Header=BB31_47 Depth=1
	s_or_b32 exec_lo, exec_lo, s28
	global_load_b32 v7, v[3:4], off offset:4
	v_mul_f32_e32 v8, v6, v12
	s_mov_b32 s28, 0
	s_delay_alu instid0(VALU_DEP_1)
	v_fmac_f32_e32 v8, v9, v5
.LBB31_55:                              ;   Parent Loop BB31_47 Depth=1
                                        ; =>  This Inner Loop Header: Depth=2
	s_waitcnt vmcnt(0)
	s_delay_alu instid0(VALU_DEP_1)
	v_add_f32_e32 v6, v7, v8
	global_atomic_cmpswap_b32 v5, v[3:4], v[6:7], off offset:4 glc
	s_waitcnt vmcnt(0)
	v_cmp_eq_u32_e32 vcc_lo, v5, v7
	v_mov_b32_e32 v7, v5
	s_or_b32 s28, vcc_lo, s28
	s_delay_alu instid0(SALU_CYCLE_1)
	s_and_not1_b32 exec_lo, exec_lo, s28
	s_cbranch_execnz .LBB31_55
	s_branch .LBB31_46
.LBB31_56:
	s_or_b32 exec_lo, exec_lo, s3
	s_mov_b32 s2, 0
.LBB31_57:
	s_delay_alu instid0(SALU_CYCLE_1)
	s_and_b32 vcc_lo, exec_lo, s2
	s_cbranch_vccz .LBB31_200
; %bb.58:
	s_load_b32 s2, s[0:1], 0x6c
	s_mov_b32 s7, 0
	s_mov_b64 s[28:29], 0
	s_waitcnt lgkmcnt(0)
	s_and_b32 s6, s2, 0xffff
	s_delay_alu instid0(SALU_CYCLE_1) | instskip(NEXT) | instid1(VALU_DEP_1)
	v_cmp_lt_u64_e64 s2, s[6:7], s[22:23]
	s_and_b32 vcc_lo, exec_lo, s2
	s_cbranch_vccnz .LBB31_60
; %bb.59:
	v_cvt_f32_u32_e32 v1, s22
	s_sub_i32 s3, 0, s22
	s_delay_alu instid0(VALU_DEP_1) | instskip(SKIP_2) | instid1(VALU_DEP_1)
	v_rcp_iflag_f32_e32 v1, v1
	s_waitcnt_depctr 0xfff
	v_mul_f32_e32 v1, 0x4f7ffffe, v1
	v_cvt_u32_f32_e32 v1, v1
	s_delay_alu instid0(VALU_DEP_1) | instskip(NEXT) | instid1(VALU_DEP_1)
	v_readfirstlane_b32 s2, v1
	s_mul_i32 s3, s3, s2
	s_delay_alu instid0(SALU_CYCLE_1) | instskip(NEXT) | instid1(SALU_CYCLE_1)
	s_mul_hi_u32 s3, s2, s3
	s_add_i32 s2, s2, s3
	s_delay_alu instid0(SALU_CYCLE_1) | instskip(NEXT) | instid1(SALU_CYCLE_1)
	s_mul_hi_u32 s2, s6, s2
	s_mul_i32 s3, s2, s22
	s_add_i32 s4, s2, 1
	s_sub_i32 s3, s6, s3
	s_delay_alu instid0(SALU_CYCLE_1)
	s_sub_i32 s5, s3, s22
	s_cmp_ge_u32 s3, s22
	s_cselect_b32 s2, s4, s2
	s_cselect_b32 s3, s5, s3
	s_add_i32 s4, s2, 1
	s_cmp_ge_u32 s3, s22
	s_cselect_b32 s28, s4, s2
.LBB31_60:
	s_lshl_b64 s[2:3], s[16:17], 3
	v_sub_co_u32 v1, s7, v0, s24
	s_add_u32 s26, s8, s2
	s_addc_u32 s27, s9, s3
	s_load_b64 s[4:5], s[26:27], 0x0
	s_load_b128 s[0:3], s[0:1], 0x8
	v_sub_co_ci_u32_e64 v3, null, 0, 0, s7
	s_waitcnt lgkmcnt(0)
	v_add_co_u32 v2, vcc_lo, s4, v1
	s_delay_alu instid0(VALU_DEP_2) | instskip(SKIP_1) | instid1(VALU_DEP_3)
	v_add_co_ci_u32_e32 v3, vcc_lo, s5, v3, vcc_lo
	v_mov_b32_e32 v1, 0
	v_add_co_u32 v4, vcc_lo, 0x300, v2
	s_delay_alu instid0(VALU_DEP_3) | instskip(NEXT) | instid1(VALU_DEP_1)
	v_add_co_ci_u32_e32 v5, vcc_lo, 0, v3, vcc_lo
	v_cmp_le_i64_e32 vcc_lo, s[0:1], v[4:5]
	s_and_saveexec_b32 s0, vcc_lo
	s_delay_alu instid0(SALU_CYCLE_1)
	s_xor_b32 s7, exec_lo, s0
	s_cbranch_execnz .LBB31_63
; %bb.61:
	s_or_saveexec_b32 s1, s7
	v_lshlrev_b64 v[6:7], 3, v[2:3]
	s_xor_b32 exec_lo, exec_lo, s1
	s_cbranch_execnz .LBB31_67
.LBB31_62:
	s_or_b32 exec_lo, exec_lo, s1
	s_delay_alu instid0(SALU_CYCLE_1)
	s_mov_b32 s1, exec_lo
	v_cmpx_gt_i64_e64 s[2:3], v[0:1]
	s_cbranch_execnz .LBB31_68
	s_branch .LBB31_70
.LBB31_63:
	s_lshl_b64 s[0:1], s[18:19], 3
	s_mov_b32 s29, exec_lo
	s_add_u32 s0, s8, s0
	s_addc_u32 s1, s9, s1
	s_load_b64 s[0:1], s[0:1], 0x0
	s_waitcnt lgkmcnt(0)
	s_sub_u32 s30, s0, s4
	s_subb_u32 s31, s1, s5
	s_delay_alu instid0(SALU_CYCLE_1)
	v_cmpx_gt_i64_e64 s[30:31], v[0:1]
	s_cbranch_execz .LBB31_66
; %bb.64:
	v_lshlrev_b64 v[6:7], 3, v[2:3]
	v_dual_mov_b32 v12, v18 :: v_dual_mov_b32 v9, v1
	v_mov_b32_e32 v8, v0
	s_mov_b32 s33, 0
	s_delay_alu instid0(VALU_DEP_3) | instskip(NEXT) | instid1(VALU_DEP_1)
	v_add_co_u32 v6, s0, v6, s12
	v_add_co_ci_u32_e64 v7, s0, s13, v7, s0
	s_delay_alu instid0(VALU_DEP_2) | instskip(NEXT) | instid1(VALU_DEP_1)
	v_add_co_u32 v6, s0, v6, 4
	v_add_co_ci_u32_e64 v7, s0, 0, v7, s0
	.p2align	6
.LBB31_65:                              ; =>This Inner Loop Header: Depth=1
	global_load_b64 v[13:14], v[6:7], off offset:-4
	v_add_co_u32 v8, s0, 0x100, v8
	s_delay_alu instid0(VALU_DEP_1) | instskip(SKIP_1) | instid1(VALU_DEP_1)
	v_add_co_ci_u32_e64 v9, s0, 0, v9, s0
	v_add_co_u32 v6, s0, 0x800, v6
	v_add_co_ci_u32_e64 v7, s0, 0, v7, s0
	s_delay_alu instid0(VALU_DEP_3) | instskip(NEXT) | instid1(VALU_DEP_1)
	v_cmp_le_i64_e64 s1, s[30:31], v[8:9]
	s_or_b32 s33, s1, s33
	s_waitcnt vmcnt(0)
	v_cndmask_b32_e64 v15, v14, -v14, s25
	s_delay_alu instid0(VALU_DEP_1) | instskip(NEXT) | instid1(VALU_DEP_1)
	v_mul_f32_e64 v14, v15, -v11
	v_dual_mul_f32 v15, v15, v10 :: v_dual_fmac_f32 v14, v10, v13
	s_delay_alu instid0(VALU_DEP_1)
	v_fmac_f32_e32 v15, v11, v13
	ds_store_b64 v12, v[14:15]
	v_add_nc_u32_e32 v12, 0x800, v12
	s_and_not1_b32 exec_lo, exec_lo, s33
	s_cbranch_execnz .LBB31_65
.LBB31_66:
	s_or_b32 exec_lo, exec_lo, s29
                                        ; implicit-def: $vgpr11
                                        ; implicit-def: $vgpr10
	s_or_saveexec_b32 s1, s7
	v_lshlrev_b64 v[6:7], 3, v[2:3]
	s_xor_b32 exec_lo, exec_lo, s1
	s_cbranch_execz .LBB31_62
.LBB31_67:
	s_delay_alu instid0(VALU_DEP_1) | instskip(NEXT) | instid1(VALU_DEP_1)
	v_add_co_u32 v8, s0, s12, v6
	v_add_co_ci_u32_e64 v9, s0, s13, v7, s0
	s_clause 0x1
	global_load_b64 v[12:13], v[8:9], off
	global_load_b64 v[14:15], v[8:9], off offset:2048
	v_add_co_u32 v8, s0, 0x1000, v8
	s_delay_alu instid0(VALU_DEP_1)
	v_add_co_ci_u32_e64 v9, s0, 0, v9, s0
	s_clause 0x1
	global_load_b64 v[16:17], v[8:9], off
	global_load_b64 v[8:9], v[8:9], off offset:2048
	s_waitcnt vmcnt(3)
	v_cndmask_b32_e64 v13, v13, -v13, s25
	s_waitcnt vmcnt(2)
	v_cndmask_b32_e64 v15, v15, -v15, s25
	s_delay_alu instid0(VALU_DEP_2) | instskip(SKIP_1) | instid1(VALU_DEP_3)
	v_mul_f32_e64 v19, v13, -v11
	v_mul_f32_e32 v20, v13, v10
	v_mul_f32_e64 v21, v15, -v11
	s_waitcnt vmcnt(1)
	v_cndmask_b32_e64 v13, v17, -v17, s25
	s_waitcnt vmcnt(0)
	v_cndmask_b32_e64 v9, v9, -v9, s25
	v_fmac_f32_e32 v19, v10, v12
	v_dual_fmac_f32 v20, v11, v12 :: v_dual_fmac_f32 v21, v10, v14
	v_mul_f32_e64 v12, v13, -v11
	s_delay_alu instid0(VALU_DEP_4) | instskip(SKIP_1) | instid1(VALU_DEP_3)
	v_mul_f32_e64 v23, v9, -v11
	v_mul_f32_e32 v22, v15, v10
	v_dual_mul_f32 v13, v13, v10 :: v_dual_fmac_f32 v12, v10, v16
	s_delay_alu instid0(VALU_DEP_3) | instskip(NEXT) | instid1(VALU_DEP_2)
	v_dual_mul_f32 v24, v9, v10 :: v_dual_fmac_f32 v23, v10, v8
	v_fmac_f32_e32 v13, v11, v16
	s_delay_alu instid0(VALU_DEP_4) | instskip(NEXT) | instid1(VALU_DEP_3)
	v_fmac_f32_e32 v22, v11, v14
	v_fmac_f32_e32 v24, v11, v8
	ds_store_2addr_stride64_b64 v18, v[19:20], v[21:22] offset1:4
	ds_store_2addr_stride64_b64 v18, v[12:13], v[23:24] offset0:8 offset1:12
	s_or_b32 exec_lo, exec_lo, s1
	s_delay_alu instid0(SALU_CYCLE_1)
	s_mov_b32 s1, exec_lo
	v_cmpx_gt_i64_e64 s[2:3], v[0:1]
	s_cbranch_execz .LBB31_70
.LBB31_68:
	v_mov_b32_e32 v9, v1
	v_lshl_add_u32 v10, v0, 3, 0x2000
	v_dual_mov_b32 v11, 0 :: v_dual_mov_b32 v8, v0
	s_mov_b32 s7, 0
.LBB31_69:                              ; =>This Inner Loop Header: Depth=1
	s_delay_alu instid0(VALU_DEP_1) | instskip(NEXT) | instid1(VALU_DEP_1)
	v_add_co_u32 v8, s0, 0x100, v8
	v_add_co_ci_u32_e64 v9, s0, 0, v9, s0
	ds_store_2addr_b32 v10, v11, v11 offset1:1
	v_add_nc_u32_e32 v10, 0x800, v10
	v_cmp_le_i64_e64 s0, s[2:3], v[8:9]
	s_delay_alu instid0(VALU_DEP_1) | instskip(NEXT) | instid1(SALU_CYCLE_1)
	s_or_b32 s7, s0, s7
	s_and_not1_b32 exec_lo, exec_lo, s7
	s_cbranch_execnz .LBB31_69
.LBB31_70:
	s_or_b32 exec_lo, exec_lo, s1
	v_cmp_ge_i64_e64 s0, s[18:19], s[2:3]
	s_sub_u32 s1, s18, s2
	s_subb_u32 s7, s19, s3
	s_waitcnt lgkmcnt(0)
	s_barrier
	buffer_gl0_inv
	s_and_b32 s0, s0, exec_lo
	s_cselect_b32 s13, s7, 0
	s_cselect_b32 s12, s1, 0
	s_and_saveexec_b32 s0, vcc_lo
	s_delay_alu instid0(SALU_CYCLE_1)
	s_xor_b32 s7, exec_lo, s0
	s_cbranch_execz .LBB31_91
; %bb.71:
	s_lshl_b64 s[0:1], s[18:19], 3
	s_mov_b32 s25, exec_lo
	s_add_u32 s0, s8, s0
	s_addc_u32 s1, s9, s1
	s_load_b64 s[0:1], s[0:1], 0x0
	s_waitcnt lgkmcnt(0)
	s_sub_u32 s30, s0, s4
	s_subb_u32 s31, s1, s5
	s_delay_alu instid0(SALU_CYCLE_1)
	v_cmpx_gt_i64_e64 s[30:31], v[0:1]
	s_cbranch_execz .LBB31_90
; %bb.72:
	s_add_u32 s34, s18, -1
	s_addc_u32 s35, s19, -1
	s_add_u32 s36, s18, -2
	v_cmp_gt_i64_e64 s29, s[34:35], s[16:17]
	s_addc_u32 s37, s19, -1
	s_mov_b64 s[38:39], 0
	s_cmp_lg_u64 s[36:37], s[16:17]
	s_cselect_b32 s33, -1, 0
	s_delay_alu instid0(VALU_DEP_1) | instid1(SALU_CYCLE_1)
	s_and_b32 s29, s29, s33
	s_sub_u32 s36, s0, s24
	s_subb_u32 s37, s1, 0
	s_mov_b32 s1, 0
	s_branch .LBB31_75
.LBB31_73:                              ;   in Loop: Header=BB31_75 Depth=1
	s_or_b32 exec_lo, exec_lo, s0
.LBB31_74:                              ;   in Loop: Header=BB31_75 Depth=1
	s_delay_alu instid0(SALU_CYCLE_1) | instskip(SKIP_4) | instid1(VALU_DEP_1)
	s_or_b32 exec_lo, exec_lo, s33
	v_lshlrev_b64 v[4:5], 3, v[4:5]
	s_add_u32 s38, s38, 0x100
	s_addc_u32 s39, s39, 0
	v_add_co_u32 v7, s0, s38, v0
	v_add_co_ci_u32_e64 v8, null, s39, 0, s0
	s_delay_alu instid0(VALU_DEP_3) | instskip(SKIP_1) | instid1(VALU_DEP_3)
	v_add_co_u32 v4, vcc_lo, s14, v4
	v_add_co_ci_u32_e32 v5, vcc_lo, s15, v5, vcc_lo
	v_cmp_le_i64_e32 vcc_lo, s[30:31], v[7:8]
	global_load_b64 v[4:5], v[4:5], off
	s_or_b32 s1, vcc_lo, s1
	s_waitcnt vmcnt(0) lgkmcnt(0)
	v_mul_f32_e32 v10, v5, v6
	v_lshlrev_b32_e32 v11, 3, v14
	ds_load_b32 v12, v11 offset:4
	s_waitcnt lgkmcnt(0)
	v_mul_f32_e64 v9, v5, -v12
	s_delay_alu instid0(VALU_DEP_1)
	v_fmac_f32_e32 v9, v6, v4
	v_fmac_f32_e32 v10, v12, v4
	ds_store_b64 v11, v[9:10]
	s_and_not1_b32 exec_lo, exec_lo, s1
	s_cbranch_execz .LBB31_90
.LBB31_75:                              ; =>This Loop Header: Depth=1
                                        ;     Child Loop BB31_77 Depth 2
                                        ;     Child Loop BB31_84 Depth 2
	;; [unrolled: 1-line block ×3, first 2 shown]
	v_add_co_u32 v6, vcc_lo, s38, v2
	v_add_co_ci_u32_e32 v7, vcc_lo, s39, v3, vcc_lo
	v_dual_mov_b32 v8, s16 :: v_dual_mov_b32 v9, s17
	v_dual_mov_b32 v10, s34 :: v_dual_mov_b32 v11, s35
	s_and_not1_b32 vcc_lo, exec_lo, s29
	s_cbranch_vccnz .LBB31_79
; %bb.76:                               ;   in Loop: Header=BB31_75 Depth=1
	v_dual_mov_b32 v8, s16 :: v_dual_mov_b32 v9, s17
	v_dual_mov_b32 v10, s34 :: v_dual_mov_b32 v11, s35
	s_mov_b32 s33, 0
	s_set_inst_prefetch_distance 0x1
	.p2align	6
.LBB31_77:                              ;   Parent Loop BB31_75 Depth=1
                                        ; =>  This Inner Loop Header: Depth=2
	s_delay_alu instid0(VALU_DEP_1) | instskip(NEXT) | instid1(VALU_DEP_2)
	v_add_co_u32 v4, vcc_lo, v10, v8
	v_add_co_ci_u32_e32 v5, vcc_lo, v11, v9, vcc_lo
	s_delay_alu instid0(VALU_DEP_1) | instskip(NEXT) | instid1(VALU_DEP_1)
	v_lshrrev_b32_e32 v12, 31, v5
	v_add_co_u32 v4, vcc_lo, v4, v12
	v_add_co_ci_u32_e32 v5, vcc_lo, 0, v5, vcc_lo
	s_delay_alu instid0(VALU_DEP_1) | instskip(NEXT) | instid1(VALU_DEP_1)
	v_ashrrev_i64 v[4:5], 1, v[4:5]
	v_lshlrev_b64 v[12:13], 3, v[4:5]
	s_delay_alu instid0(VALU_DEP_1) | instskip(NEXT) | instid1(VALU_DEP_2)
	v_add_co_u32 v12, vcc_lo, s8, v12
	v_add_co_ci_u32_e32 v13, vcc_lo, s9, v13, vcc_lo
	global_load_b64 v[12:13], v[12:13], off
	s_waitcnt vmcnt(0)
	v_sub_co_u32 v12, vcc_lo, v12, s24
	v_subrev_co_ci_u32_e32 v13, vcc_lo, 0, v13, vcc_lo
	s_delay_alu instid0(VALU_DEP_1) | instskip(SKIP_2) | instid1(VALU_DEP_2)
	v_cmp_gt_i64_e32 vcc_lo, v[12:13], v[6:7]
	v_dual_cndmask_b32 v11, v11, v5 :: v_dual_cndmask_b32 v10, v10, v4
	v_dual_cndmask_b32 v9, v5, v9 :: v_dual_cndmask_b32 v8, v4, v8
	v_add_co_u32 v4, vcc_lo, v10, -1
	s_delay_alu instid0(VALU_DEP_3) | instskip(NEXT) | instid1(VALU_DEP_3)
	v_add_co_ci_u32_e32 v5, vcc_lo, -1, v11, vcc_lo
	v_cmp_ge_i64_e32 vcc_lo, v[8:9], v[10:11]
	s_delay_alu instid0(VALU_DEP_2) | instskip(NEXT) | instid1(VALU_DEP_1)
	v_cmp_eq_u64_e64 s0, v[8:9], v[4:5]
	s_or_b32 s0, vcc_lo, s0
	s_delay_alu instid0(SALU_CYCLE_1) | instskip(NEXT) | instid1(SALU_CYCLE_1)
	s_and_b32 s0, exec_lo, s0
	s_or_b32 s33, s0, s33
	s_delay_alu instid0(SALU_CYCLE_1)
	s_and_not1_b32 exec_lo, exec_lo, s33
	s_cbranch_execnz .LBB31_77
; %bb.78:                               ;   in Loop: Header=BB31_75 Depth=1
	s_set_inst_prefetch_distance 0x2
	s_or_b32 exec_lo, exec_lo, s33
.LBB31_79:                              ;   in Loop: Header=BB31_75 Depth=1
	s_delay_alu instid0(VALU_DEP_1) | instskip(SKIP_2) | instid1(VALU_DEP_3)
	v_lshlrev_b64 v[4:5], 3, v[10:11]
	v_lshlrev_b64 v[12:13], 3, v[6:7]
	v_add_co_u32 v14, null, s38, v0
	v_add_co_u32 v4, vcc_lo, s8, v4
	s_delay_alu instid0(VALU_DEP_4) | instskip(NEXT) | instid1(VALU_DEP_4)
	v_add_co_ci_u32_e32 v5, vcc_lo, s9, v5, vcc_lo
	v_add_co_u32 v12, vcc_lo, s10, v12
	v_add_co_ci_u32_e32 v13, vcc_lo, s11, v13, vcc_lo
	global_load_b64 v[4:5], v[4:5], off
	global_load_b64 v[12:13], v[12:13], off
	s_waitcnt vmcnt(1)
	v_sub_co_u32 v4, vcc_lo, v4, s24
	v_subrev_co_ci_u32_e32 v5, vcc_lo, 0, v5, vcc_lo
	s_delay_alu instid0(VALU_DEP_1) | instskip(SKIP_2) | instid1(VALU_DEP_1)
	v_cmp_gt_i64_e32 vcc_lo, v[4:5], v[6:7]
	s_waitcnt vmcnt(0)
	v_sub_co_u32 v4, s0, v12, s24
	v_subrev_co_ci_u32_e64 v5, s0, 0, v13, s0
	v_cmp_le_i64_e64 s0, s[36:37], v[6:7]
	v_dual_cndmask_b32 v9, v11, v9 :: v_dual_cndmask_b32 v8, v10, v8
	v_lshlrev_b32_e32 v12, 3, v14
                                        ; implicit-def: $vgpr6
	s_delay_alu instid0(VALU_DEP_2) | instskip(NEXT) | instid1(VALU_DEP_4)
	v_cmp_eq_u64_e32 vcc_lo, v[4:5], v[8:9]
	s_or_b32 s0, vcc_lo, s0
	s_delay_alu instid0(SALU_CYCLE_1) | instskip(NEXT) | instid1(SALU_CYCLE_1)
	s_and_saveexec_b32 s33, s0
	s_xor_b32 s0, exec_lo, s33
	s_cbranch_execz .LBB31_81
; %bb.80:                               ;   in Loop: Header=BB31_75 Depth=1
	ds_load_b32 v6, v12
                                        ; implicit-def: $vgpr12
                                        ; implicit-def: $vgpr8_vgpr9
.LBB31_81:                              ;   in Loop: Header=BB31_75 Depth=1
	s_and_not1_saveexec_b32 s33, s0
	s_cbranch_execz .LBB31_74
; %bb.82:                               ;   in Loop: Header=BB31_75 Depth=1
	v_cmp_gt_i64_e32 vcc_lo, s[12:13], v[4:5]
	v_cmp_le_i64_e64 s0, s[18:19], v[4:5]
	v_lshlrev_b64 v[7:8], 3, v[8:9]
                                        ; implicit-def: $vgpr6
	s_delay_alu instid0(VALU_DEP_2) | instskip(NEXT) | instid1(SALU_CYCLE_1)
	s_or_b32 s0, vcc_lo, s0
	s_and_saveexec_b32 s40, s0
	s_delay_alu instid0(SALU_CYCLE_1)
	s_xor_b32 s0, exec_lo, s40
	s_cbranch_execz .LBB31_88
; %bb.83:                               ;   in Loop: Header=BB31_75 Depth=1
	s_waitcnt lgkmcnt(0)
	v_add_co_u32 v6, vcc_lo, s14, v7
	v_add_co_ci_u32_e32 v7, vcc_lo, s15, v8, vcc_lo
	v_lshlrev_b64 v[8:9], 3, v[4:5]
	s_mov_b32 s40, 0
	global_load_b64 v[10:11], v[6:7], off
	ds_load_b64 v[6:7], v12
	v_add_co_u32 v8, vcc_lo, s20, v8
	v_add_co_ci_u32_e32 v9, vcc_lo, s21, v9, vcc_lo
	global_load_b32 v13, v[8:9], off
	s_waitcnt vmcnt(1) lgkmcnt(0)
	v_mul_f32_e64 v15, v11, -v7
	s_delay_alu instid0(VALU_DEP_1)
	v_fmac_f32_e32 v15, v6, v10
.LBB31_84:                              ;   Parent Loop BB31_75 Depth=1
                                        ; =>  This Inner Loop Header: Depth=2
	s_waitcnt vmcnt(0)
	s_delay_alu instid0(VALU_DEP_1)
	v_add_f32_e32 v12, v13, v15
	global_atomic_cmpswap_b32 v12, v[8:9], v[12:13], off glc
	s_waitcnt vmcnt(0)
	v_cmp_eq_u32_e32 vcc_lo, v12, v13
	v_mov_b32_e32 v13, v12
	s_or_b32 s40, vcc_lo, s40
	s_delay_alu instid0(SALU_CYCLE_1)
	s_and_not1_b32 exec_lo, exec_lo, s40
	s_cbranch_execnz .LBB31_84
; %bb.85:                               ;   in Loop: Header=BB31_75 Depth=1
	s_or_b32 exec_lo, exec_lo, s40
	global_load_b32 v12, v[8:9], off offset:4
	v_mul_f32_e32 v13, v11, v6
	s_mov_b32 s40, 0
	s_delay_alu instid0(VALU_DEP_1)
	v_fmac_f32_e32 v13, v7, v10
.LBB31_86:                              ;   Parent Loop BB31_75 Depth=1
                                        ; =>  This Inner Loop Header: Depth=2
	s_waitcnt vmcnt(0)
	s_delay_alu instid0(VALU_DEP_1)
	v_add_f32_e32 v11, v12, v13
	global_atomic_cmpswap_b32 v7, v[8:9], v[11:12], off offset:4 glc
	s_waitcnt vmcnt(0)
	v_cmp_eq_u32_e32 vcc_lo, v7, v12
	v_mov_b32_e32 v12, v7
	s_or_b32 s40, vcc_lo, s40
	s_delay_alu instid0(SALU_CYCLE_1)
	s_and_not1_b32 exec_lo, exec_lo, s40
	s_cbranch_execnz .LBB31_86
; %bb.87:                               ;   in Loop: Header=BB31_75 Depth=1
	s_or_b32 exec_lo, exec_lo, s40
                                        ; implicit-def: $vgpr7_vgpr8
                                        ; implicit-def: $vgpr12
.LBB31_88:                              ;   in Loop: Header=BB31_75 Depth=1
	s_and_not1_saveexec_b32 s0, s0
	s_cbranch_execz .LBB31_73
; %bb.89:                               ;   in Loop: Header=BB31_75 Depth=1
	s_waitcnt lgkmcnt(0)
	v_add_co_u32 v6, vcc_lo, s14, v7
	v_add_co_ci_u32_e32 v7, vcc_lo, s15, v8, vcc_lo
	v_subrev_nc_u32_e32 v10, s12, v4
	global_load_b64 v[8:9], v[6:7], off
	ds_load_b64 v[6:7], v12
	v_lshl_add_u32 v10, v10, 3, 0x2000
	s_waitcnt vmcnt(0) lgkmcnt(0)
	v_mul_f32_e64 v11, v9, -v7
	v_mul_f32_e32 v9, v9, v6
	s_delay_alu instid0(VALU_DEP_2) | instskip(NEXT) | instid1(VALU_DEP_2)
	v_fmac_f32_e32 v11, v6, v8
	v_fmac_f32_e32 v9, v7, v8
	ds_add_f32 v10, v11
	ds_add_f32 v10, v9 offset:4
	s_branch .LBB31_73
.LBB31_90:
	s_or_b32 exec_lo, exec_lo, s25
                                        ; implicit-def: $vgpr4_vgpr5
                                        ; implicit-def: $vgpr2
                                        ; implicit-def: $vgpr6_vgpr7
.LBB31_91:
	s_and_not1_saveexec_b32 s1, s7
	s_cbranch_execz .LBB31_149
; %bb.92:
	s_add_u32 s30, s18, -1
	s_addc_u32 s31, s19, -1
	s_add_u32 s34, s18, -2
	v_cmp_le_i64_e64 s0, s[30:31], s[16:17]
	s_addc_u32 s35, s19, -1
	v_dual_mov_b32 v8, s16 :: v_dual_mov_b32 v9, s17
	s_cmp_eq_u64 s[34:35], s[16:17]
	v_dual_mov_b32 v10, s30 :: v_dual_mov_b32 v11, s31
	s_cselect_b32 s7, -1, 0
	s_delay_alu instid0(SALU_CYCLE_1) | instskip(NEXT) | instid1(SALU_CYCLE_1)
	s_or_b32 s7, s0, s7
	s_and_b32 vcc_lo, exec_lo, s7
	s_cbranch_vccnz .LBB31_96
; %bb.93:
	v_dual_mov_b32 v8, s16 :: v_dual_mov_b32 v9, s17
	v_dual_mov_b32 v10, s30 :: v_dual_mov_b32 v11, s31
	s_mov_b32 s25, 0
	s_set_inst_prefetch_distance 0x1
	.p2align	6
.LBB31_94:                              ; =>This Inner Loop Header: Depth=1
	s_delay_alu instid0(VALU_DEP_1) | instskip(NEXT) | instid1(VALU_DEP_2)
	v_add_co_u32 v12, vcc_lo, v10, v8
	v_add_co_ci_u32_e32 v13, vcc_lo, v11, v9, vcc_lo
	s_delay_alu instid0(VALU_DEP_1) | instskip(NEXT) | instid1(VALU_DEP_1)
	v_lshrrev_b32_e32 v14, 31, v13
	v_add_co_u32 v12, vcc_lo, v12, v14
	v_add_co_ci_u32_e32 v13, vcc_lo, 0, v13, vcc_lo
	s_delay_alu instid0(VALU_DEP_1) | instskip(NEXT) | instid1(VALU_DEP_1)
	v_ashrrev_i64 v[12:13], 1, v[12:13]
	v_lshlrev_b64 v[14:15], 3, v[12:13]
	s_delay_alu instid0(VALU_DEP_1) | instskip(NEXT) | instid1(VALU_DEP_2)
	v_add_co_u32 v14, vcc_lo, s8, v14
	v_add_co_ci_u32_e32 v15, vcc_lo, s9, v15, vcc_lo
	global_load_b64 v[14:15], v[14:15], off
	s_waitcnt vmcnt(0)
	v_sub_co_u32 v14, vcc_lo, v14, s24
	v_subrev_co_ci_u32_e32 v15, vcc_lo, 0, v15, vcc_lo
	s_delay_alu instid0(VALU_DEP_1) | instskip(SKIP_2) | instid1(VALU_DEP_2)
	v_cmp_gt_i64_e32 vcc_lo, v[14:15], v[2:3]
	v_dual_cndmask_b32 v11, v11, v13 :: v_dual_cndmask_b32 v10, v10, v12
	v_dual_cndmask_b32 v9, v13, v9 :: v_dual_cndmask_b32 v8, v12, v8
	v_add_co_u32 v12, vcc_lo, v10, -1
	s_delay_alu instid0(VALU_DEP_3) | instskip(NEXT) | instid1(VALU_DEP_3)
	v_add_co_ci_u32_e32 v13, vcc_lo, -1, v11, vcc_lo
	v_cmp_ge_i64_e32 vcc_lo, v[8:9], v[10:11]
	s_delay_alu instid0(VALU_DEP_2) | instskip(NEXT) | instid1(VALU_DEP_1)
	v_cmp_eq_u64_e64 s0, v[8:9], v[12:13]
	s_or_b32 s0, vcc_lo, s0
	s_delay_alu instid0(SALU_CYCLE_1) | instskip(NEXT) | instid1(SALU_CYCLE_1)
	s_and_b32 s0, exec_lo, s0
	s_or_b32 s25, s0, s25
	s_delay_alu instid0(SALU_CYCLE_1)
	s_and_not1_b32 exec_lo, exec_lo, s25
	s_cbranch_execnz .LBB31_94
; %bb.95:
	s_set_inst_prefetch_distance 0x2
	s_or_b32 exec_lo, exec_lo, s25
.LBB31_96:
	v_lshlrev_b64 v[12:13], 3, v[10:11]
	s_xor_b32 s7, s7, -1
	s_mov_b32 s25, exec_lo
	s_delay_alu instid0(VALU_DEP_1) | instskip(NEXT) | instid1(VALU_DEP_2)
	v_add_co_u32 v12, vcc_lo, s8, v12
	v_add_co_ci_u32_e32 v13, vcc_lo, s9, v13, vcc_lo
	v_add_co_u32 v6, vcc_lo, s10, v6
	v_add_co_ci_u32_e32 v7, vcc_lo, s11, v7, vcc_lo
	global_load_b64 v[12:13], v[12:13], off
	s_lshl_b64 s[10:11], s[18:19], 3
	global_load_b64 v[14:15], v[6:7], off
	s_add_u32 s10, s8, s10
	s_addc_u32 s11, s9, s11
	s_waitcnt vmcnt(1)
	v_sub_co_u32 v12, vcc_lo, v12, s24
	v_subrev_co_ci_u32_e32 v13, vcc_lo, 0, v13, vcc_lo
	s_delay_alu instid0(VALU_DEP_1) | instskip(SKIP_4) | instid1(VALU_DEP_1)
	v_cmp_gt_i64_e32 vcc_lo, v[12:13], v[2:3]
	v_dual_cndmask_b32 v11, v11, v9 :: v_dual_cndmask_b32 v10, v10, v8
	s_waitcnt vmcnt(0)
	v_sub_co_u32 v8, vcc_lo, v14, s24
	v_subrev_co_ci_u32_e32 v9, vcc_lo, 0, v15, vcc_lo
	v_cmpx_ne_u64_e64 v[8:9], v[10:11]
	s_cbranch_execz .LBB31_106
; %bb.97:
	s_load_b64 s[34:35], s[10:11], 0x0
	s_waitcnt lgkmcnt(0)
	s_sub_u32 s34, s34, s24
	s_subb_u32 s35, s35, 0
	s_delay_alu instid0(SALU_CYCLE_1)
	v_cmp_gt_i64_e32 vcc_lo, s[34:35], v[2:3]
	s_and_b32 exec_lo, exec_lo, vcc_lo
	s_cbranch_execz .LBB31_106
; %bb.98:
	v_cmp_gt_i64_e32 vcc_lo, s[12:13], v[8:9]
	v_cmp_le_i64_e64 s0, s[18:19], v[8:9]
	v_lshlrev_b64 v[10:11], 3, v[10:11]
	s_delay_alu instid0(VALU_DEP_2) | instskip(NEXT) | instid1(SALU_CYCLE_1)
	s_or_b32 s0, vcc_lo, s0
	s_and_saveexec_b32 s29, s0
	s_delay_alu instid0(SALU_CYCLE_1)
	s_xor_b32 s0, exec_lo, s29
	s_cbranch_execz .LBB31_104
; %bb.99:
	s_delay_alu instid0(VALU_DEP_1)
	v_add_co_u32 v10, vcc_lo, s14, v10
	v_add_co_ci_u32_e32 v11, vcc_lo, s15, v11, vcc_lo
	v_lshlrev_b64 v[14:15], 3, v[8:9]
	s_mov_b32 s29, 0
	global_load_b64 v[12:13], v[10:11], off
	v_add_co_u32 v10, vcc_lo, s20, v14
	v_add_co_ci_u32_e32 v11, vcc_lo, s21, v15, vcc_lo
	ds_load_b64 v[14:15], v18
	global_load_b32 v17, v[10:11], off
	s_waitcnt vmcnt(1) lgkmcnt(0)
	v_mul_f32_e64 v19, v13, -v15
	s_delay_alu instid0(VALU_DEP_1)
	v_fmac_f32_e32 v19, v14, v12
.LBB31_100:                             ; =>This Inner Loop Header: Depth=1
	s_waitcnt vmcnt(0)
	s_delay_alu instid0(VALU_DEP_1)
	v_add_f32_e32 v16, v17, v19
	global_atomic_cmpswap_b32 v16, v[10:11], v[16:17], off glc
	s_waitcnt vmcnt(0)
	v_cmp_eq_u32_e32 vcc_lo, v16, v17
	v_mov_b32_e32 v17, v16
	s_or_b32 s29, vcc_lo, s29
	s_delay_alu instid0(SALU_CYCLE_1)
	s_and_not1_b32 exec_lo, exec_lo, s29
	s_cbranch_execnz .LBB31_100
; %bb.101:
	s_or_b32 exec_lo, exec_lo, s29
	global_load_b32 v16, v[10:11], off offset:4
	v_mul_f32_e32 v13, v13, v14
	s_mov_b32 s29, 0
	s_delay_alu instid0(VALU_DEP_1)
	v_fmac_f32_e32 v13, v15, v12
.LBB31_102:                             ; =>This Inner Loop Header: Depth=1
	s_waitcnt vmcnt(0)
	s_delay_alu instid0(VALU_DEP_1)
	v_add_f32_e32 v15, v16, v13
	global_atomic_cmpswap_b32 v12, v[10:11], v[15:16], off offset:4 glc
	s_waitcnt vmcnt(0)
	v_cmp_eq_u32_e32 vcc_lo, v12, v16
	v_mov_b32_e32 v16, v12
	s_or_b32 s29, vcc_lo, s29
	s_delay_alu instid0(SALU_CYCLE_1)
	s_and_not1_b32 exec_lo, exec_lo, s29
	s_cbranch_execnz .LBB31_102
; %bb.103:
	s_or_b32 exec_lo, exec_lo, s29
                                        ; implicit-def: $vgpr10_vgpr11
.LBB31_104:
	s_and_not1_saveexec_b32 s0, s0
	s_cbranch_execz .LBB31_106
; %bb.105:
	v_add_co_u32 v10, vcc_lo, s14, v10
	v_add_co_ci_u32_e32 v11, vcc_lo, s15, v11, vcc_lo
	ds_load_b64 v[12:13], v18
	v_subrev_nc_u32_e32 v14, s12, v8
	global_load_b64 v[10:11], v[10:11], off
	v_lshl_add_u32 v14, v14, 3, 0x2000
	s_waitcnt vmcnt(0) lgkmcnt(0)
	v_mul_f32_e64 v15, v11, -v13
	v_mul_f32_e32 v11, v11, v12
	s_delay_alu instid0(VALU_DEP_2) | instskip(NEXT) | instid1(VALU_DEP_2)
	v_fmac_f32_e32 v15, v12, v10
	v_fmac_f32_e32 v11, v13, v10
	ds_add_f32 v14, v15
	ds_add_f32 v14, v11 offset:4
.LBB31_106:
	s_or_b32 exec_lo, exec_lo, s25
	v_lshlrev_b64 v[8:9], 3, v[8:9]
	ds_load_b64 v[12:13], v18
	v_cndmask_b32_e64 v19, 0, 1, s7
	v_add_co_u32 v8, vcc_lo, s14, v8
	v_add_co_ci_u32_e32 v9, vcc_lo, s15, v9, vcc_lo
	v_add_co_u32 v10, vcc_lo, 0x100, v2
	v_add_co_ci_u32_e32 v11, vcc_lo, 0, v3, vcc_lo
	global_load_b64 v[8:9], v[8:9], off
	s_and_not1_b32 vcc_lo, exec_lo, s7
	s_waitcnt vmcnt(0) lgkmcnt(0)
	v_mul_f32_e64 v14, v9, -v13
	v_mul_f32_e32 v15, v9, v12
	s_delay_alu instid0(VALU_DEP_2) | instskip(NEXT) | instid1(VALU_DEP_2)
	v_fmac_f32_e32 v14, v12, v8
	v_dual_fmac_f32 v15, v13, v8 :: v_dual_mov_b32 v12, s30
	v_dual_mov_b32 v8, s16 :: v_dual_mov_b32 v9, s17
	v_mov_b32_e32 v13, s31
	ds_store_b64 v18, v[14:15]
	s_cbranch_vccnz .LBB31_110
; %bb.107:
	v_dual_mov_b32 v8, s16 :: v_dual_mov_b32 v9, s17
	v_dual_mov_b32 v12, s30 :: v_dual_mov_b32 v13, s31
	s_mov_b32 s7, 0
	s_set_inst_prefetch_distance 0x1
	.p2align	6
.LBB31_108:                             ; =>This Inner Loop Header: Depth=1
	s_delay_alu instid0(VALU_DEP_1) | instskip(NEXT) | instid1(VALU_DEP_2)
	v_add_co_u32 v14, vcc_lo, v12, v8
	v_add_co_ci_u32_e32 v15, vcc_lo, v13, v9, vcc_lo
	s_delay_alu instid0(VALU_DEP_1) | instskip(NEXT) | instid1(VALU_DEP_1)
	v_lshrrev_b32_e32 v16, 31, v15
	v_add_co_u32 v14, vcc_lo, v14, v16
	v_add_co_ci_u32_e32 v15, vcc_lo, 0, v15, vcc_lo
	s_delay_alu instid0(VALU_DEP_1) | instskip(NEXT) | instid1(VALU_DEP_1)
	v_ashrrev_i64 v[14:15], 1, v[14:15]
	v_lshlrev_b64 v[16:17], 3, v[14:15]
	s_delay_alu instid0(VALU_DEP_1) | instskip(NEXT) | instid1(VALU_DEP_2)
	v_add_co_u32 v16, vcc_lo, s8, v16
	v_add_co_ci_u32_e32 v17, vcc_lo, s9, v17, vcc_lo
	global_load_b64 v[16:17], v[16:17], off
	s_waitcnt vmcnt(0)
	v_sub_co_u32 v16, vcc_lo, v16, s24
	v_subrev_co_ci_u32_e32 v17, vcc_lo, 0, v17, vcc_lo
	s_delay_alu instid0(VALU_DEP_1) | instskip(SKIP_2) | instid1(VALU_DEP_2)
	v_cmp_gt_i64_e32 vcc_lo, v[16:17], v[10:11]
	v_dual_cndmask_b32 v13, v13, v15 :: v_dual_cndmask_b32 v12, v12, v14
	v_dual_cndmask_b32 v9, v15, v9 :: v_dual_cndmask_b32 v8, v14, v8
	v_add_co_u32 v14, vcc_lo, v12, -1
	s_delay_alu instid0(VALU_DEP_3) | instskip(NEXT) | instid1(VALU_DEP_3)
	v_add_co_ci_u32_e32 v15, vcc_lo, -1, v13, vcc_lo
	v_cmp_ge_i64_e32 vcc_lo, v[8:9], v[12:13]
	s_delay_alu instid0(VALU_DEP_2) | instskip(NEXT) | instid1(VALU_DEP_1)
	v_cmp_eq_u64_e64 s0, v[8:9], v[14:15]
	s_or_b32 s0, vcc_lo, s0
	s_delay_alu instid0(SALU_CYCLE_1) | instskip(NEXT) | instid1(SALU_CYCLE_1)
	s_and_b32 s0, exec_lo, s0
	s_or_b32 s7, s0, s7
	s_delay_alu instid0(SALU_CYCLE_1)
	s_and_not1_b32 exec_lo, exec_lo, s7
	s_cbranch_execnz .LBB31_108
; %bb.109:
	s_set_inst_prefetch_distance 0x2
	s_or_b32 exec_lo, exec_lo, s7
.LBB31_110:
	v_lshlrev_b64 v[14:15], 3, v[12:13]
	s_mov_b32 s7, exec_lo
	s_delay_alu instid0(VALU_DEP_1) | instskip(NEXT) | instid1(VALU_DEP_2)
	v_add_co_u32 v14, vcc_lo, s8, v14
	v_add_co_ci_u32_e32 v15, vcc_lo, s9, v15, vcc_lo
	global_load_b64 v[14:15], v[14:15], off
	global_load_b64 v[16:17], v[6:7], off offset:2048
	s_waitcnt vmcnt(1)
	v_sub_co_u32 v14, vcc_lo, v14, s24
	v_subrev_co_ci_u32_e32 v15, vcc_lo, 0, v15, vcc_lo
	s_delay_alu instid0(VALU_DEP_1) | instskip(SKIP_4) | instid1(VALU_DEP_1)
	v_cmp_gt_i64_e32 vcc_lo, v[14:15], v[10:11]
	v_dual_cndmask_b32 v13, v13, v9 :: v_dual_cndmask_b32 v12, v12, v8
	s_waitcnt vmcnt(0)
	v_sub_co_u32 v8, vcc_lo, v16, s24
	v_subrev_co_ci_u32_e32 v9, vcc_lo, 0, v17, vcc_lo
	v_cmpx_ne_u64_e64 v[8:9], v[12:13]
	s_cbranch_execz .LBB31_120
; %bb.111:
	s_load_b64 s[34:35], s[10:11], 0x0
	s_waitcnt lgkmcnt(0)
	s_sub_u32 s34, s34, s24
	s_subb_u32 s35, s35, 0
	s_delay_alu instid0(SALU_CYCLE_1)
	v_cmp_gt_i64_e32 vcc_lo, s[34:35], v[10:11]
	s_and_b32 exec_lo, exec_lo, vcc_lo
	s_cbranch_execz .LBB31_120
; %bb.112:
	v_cmp_gt_i64_e32 vcc_lo, s[12:13], v[8:9]
	v_cmp_le_i64_e64 s0, s[18:19], v[8:9]
	v_lshlrev_b64 v[10:11], 3, v[12:13]
	s_delay_alu instid0(VALU_DEP_2) | instskip(NEXT) | instid1(SALU_CYCLE_1)
	s_or_b32 s0, vcc_lo, s0
	s_and_saveexec_b32 s25, s0
	s_delay_alu instid0(SALU_CYCLE_1)
	s_xor_b32 s0, exec_lo, s25
	s_cbranch_execz .LBB31_118
; %bb.113:
	s_delay_alu instid0(VALU_DEP_1)
	v_add_co_u32 v10, vcc_lo, s14, v10
	v_add_co_ci_u32_e32 v11, vcc_lo, s15, v11, vcc_lo
	v_lshlrev_b64 v[14:15], 3, v[8:9]
	s_mov_b32 s25, 0
	global_load_b64 v[12:13], v[10:11], off
	v_add_co_u32 v10, vcc_lo, s20, v14
	v_add_co_ci_u32_e32 v11, vcc_lo, s21, v15, vcc_lo
	ds_load_b64 v[14:15], v18 offset:2048
	global_load_b32 v17, v[10:11], off
	s_waitcnt vmcnt(1) lgkmcnt(0)
	v_mul_f32_e64 v20, v13, -v15
	s_delay_alu instid0(VALU_DEP_1)
	v_fmac_f32_e32 v20, v14, v12
.LBB31_114:                             ; =>This Inner Loop Header: Depth=1
	s_waitcnt vmcnt(0)
	s_delay_alu instid0(VALU_DEP_1)
	v_add_f32_e32 v16, v17, v20
	global_atomic_cmpswap_b32 v16, v[10:11], v[16:17], off glc
	s_waitcnt vmcnt(0)
	v_cmp_eq_u32_e32 vcc_lo, v16, v17
	v_mov_b32_e32 v17, v16
	s_or_b32 s25, vcc_lo, s25
	s_delay_alu instid0(SALU_CYCLE_1)
	s_and_not1_b32 exec_lo, exec_lo, s25
	s_cbranch_execnz .LBB31_114
; %bb.115:
	s_or_b32 exec_lo, exec_lo, s25
	global_load_b32 v16, v[10:11], off offset:4
	v_mul_f32_e32 v13, v13, v14
	s_mov_b32 s25, 0
	s_delay_alu instid0(VALU_DEP_1)
	v_fmac_f32_e32 v13, v15, v12
.LBB31_116:                             ; =>This Inner Loop Header: Depth=1
	s_waitcnt vmcnt(0)
	s_delay_alu instid0(VALU_DEP_1)
	v_add_f32_e32 v15, v16, v13
	global_atomic_cmpswap_b32 v12, v[10:11], v[15:16], off offset:4 glc
	s_waitcnt vmcnt(0)
	v_cmp_eq_u32_e32 vcc_lo, v12, v16
	v_mov_b32_e32 v16, v12
	s_or_b32 s25, vcc_lo, s25
	s_delay_alu instid0(SALU_CYCLE_1)
	s_and_not1_b32 exec_lo, exec_lo, s25
	s_cbranch_execnz .LBB31_116
; %bb.117:
	s_or_b32 exec_lo, exec_lo, s25
                                        ; implicit-def: $vgpr10_vgpr11
.LBB31_118:
	s_and_not1_saveexec_b32 s0, s0
	s_cbranch_execz .LBB31_120
; %bb.119:
	v_add_co_u32 v10, vcc_lo, s14, v10
	v_add_co_ci_u32_e32 v11, vcc_lo, s15, v11, vcc_lo
	ds_load_b64 v[12:13], v18 offset:2048
	v_subrev_nc_u32_e32 v14, s12, v8
	global_load_b64 v[10:11], v[10:11], off
	v_lshl_add_u32 v14, v14, 3, 0x2000
	s_waitcnt vmcnt(0) lgkmcnt(0)
	v_mul_f32_e64 v15, v11, -v13
	v_mul_f32_e32 v11, v11, v12
	s_delay_alu instid0(VALU_DEP_2) | instskip(NEXT) | instid1(VALU_DEP_2)
	v_fmac_f32_e32 v15, v12, v10
	v_fmac_f32_e32 v11, v13, v10
	ds_add_f32 v14, v15
	ds_add_f32 v14, v11 offset:4
.LBB31_120:
	s_or_b32 exec_lo, exec_lo, s7
	v_lshlrev_b64 v[8:9], 3, v[8:9]
	ds_load_b64 v[12:13], v18 offset:2048
	v_add_co_u32 v8, vcc_lo, s14, v8
	v_add_co_ci_u32_e32 v9, vcc_lo, s15, v9, vcc_lo
	global_load_b64 v[10:11], v[8:9], off
	v_add_co_u32 v8, vcc_lo, 0x200, v2
	v_add_co_ci_u32_e32 v9, vcc_lo, 0, v3, vcc_lo
	v_cmp_ne_u32_e32 vcc_lo, 1, v19
	s_and_b32 vcc_lo, exec_lo, vcc_lo
	s_waitcnt vmcnt(0) lgkmcnt(0)
	v_mul_f32_e64 v14, v11, -v13
	s_delay_alu instid0(VALU_DEP_1) | instskip(NEXT) | instid1(VALU_DEP_1)
	v_dual_mul_f32 v15, v11, v12 :: v_dual_fmac_f32 v14, v12, v10
	v_dual_fmac_f32 v15, v13, v10 :: v_dual_mov_b32 v10, s16
	v_dual_mov_b32 v11, s17 :: v_dual_mov_b32 v12, s30
	v_mov_b32_e32 v13, s31
	ds_store_b64 v18, v[14:15] offset:2048
	s_cbranch_vccnz .LBB31_124
; %bb.121:
	v_dual_mov_b32 v10, s16 :: v_dual_mov_b32 v11, s17
	v_dual_mov_b32 v12, s30 :: v_dual_mov_b32 v13, s31
	s_mov_b32 s7, 0
	s_set_inst_prefetch_distance 0x1
	.p2align	6
.LBB31_122:                             ; =>This Inner Loop Header: Depth=1
	s_delay_alu instid0(VALU_DEP_1) | instskip(NEXT) | instid1(VALU_DEP_2)
	v_add_co_u32 v2, vcc_lo, v12, v10
	v_add_co_ci_u32_e32 v3, vcc_lo, v13, v11, vcc_lo
	s_delay_alu instid0(VALU_DEP_1) | instskip(NEXT) | instid1(VALU_DEP_1)
	v_lshrrev_b32_e32 v14, 31, v3
	v_add_co_u32 v2, vcc_lo, v2, v14
	v_add_co_ci_u32_e32 v3, vcc_lo, 0, v3, vcc_lo
	s_delay_alu instid0(VALU_DEP_1) | instskip(NEXT) | instid1(VALU_DEP_1)
	v_ashrrev_i64 v[2:3], 1, v[2:3]
	v_lshlrev_b64 v[14:15], 3, v[2:3]
	s_delay_alu instid0(VALU_DEP_1) | instskip(NEXT) | instid1(VALU_DEP_2)
	v_add_co_u32 v14, vcc_lo, s8, v14
	v_add_co_ci_u32_e32 v15, vcc_lo, s9, v15, vcc_lo
	global_load_b64 v[14:15], v[14:15], off
	s_waitcnt vmcnt(0)
	v_sub_co_u32 v14, vcc_lo, v14, s24
	v_subrev_co_ci_u32_e32 v15, vcc_lo, 0, v15, vcc_lo
	s_delay_alu instid0(VALU_DEP_1) | instskip(SKIP_2) | instid1(VALU_DEP_2)
	v_cmp_gt_i64_e32 vcc_lo, v[14:15], v[8:9]
	v_dual_cndmask_b32 v13, v13, v3 :: v_dual_cndmask_b32 v12, v12, v2
	v_dual_cndmask_b32 v11, v3, v11 :: v_dual_cndmask_b32 v10, v2, v10
	v_add_co_u32 v2, vcc_lo, v12, -1
	s_delay_alu instid0(VALU_DEP_3) | instskip(NEXT) | instid1(VALU_DEP_3)
	v_add_co_ci_u32_e32 v3, vcc_lo, -1, v13, vcc_lo
	v_cmp_ge_i64_e32 vcc_lo, v[10:11], v[12:13]
	s_delay_alu instid0(VALU_DEP_2) | instskip(NEXT) | instid1(VALU_DEP_1)
	v_cmp_eq_u64_e64 s0, v[10:11], v[2:3]
	s_or_b32 s0, vcc_lo, s0
	s_delay_alu instid0(SALU_CYCLE_1) | instskip(NEXT) | instid1(SALU_CYCLE_1)
	s_and_b32 s0, exec_lo, s0
	s_or_b32 s7, s0, s7
	s_delay_alu instid0(SALU_CYCLE_1)
	s_and_not1_b32 exec_lo, exec_lo, s7
	s_cbranch_execnz .LBB31_122
; %bb.123:
	s_set_inst_prefetch_distance 0x2
	s_or_b32 exec_lo, exec_lo, s7
.LBB31_124:
	v_lshlrev_b64 v[2:3], 3, v[12:13]
	s_mov_b32 s7, exec_lo
	s_delay_alu instid0(VALU_DEP_1) | instskip(NEXT) | instid1(VALU_DEP_2)
	v_add_co_u32 v2, vcc_lo, s8, v2
	v_add_co_ci_u32_e32 v3, vcc_lo, s9, v3, vcc_lo
	global_load_b64 v[14:15], v[2:3], off
	v_add_co_u32 v2, vcc_lo, 0x1000, v6
	v_add_co_ci_u32_e32 v3, vcc_lo, 0, v7, vcc_lo
	global_load_b64 v[6:7], v[2:3], off
	s_waitcnt vmcnt(1)
	v_sub_co_u32 v14, vcc_lo, v14, s24
	v_subrev_co_ci_u32_e32 v15, vcc_lo, 0, v15, vcc_lo
	s_delay_alu instid0(VALU_DEP_1) | instskip(SKIP_4) | instid1(VALU_DEP_1)
	v_cmp_gt_i64_e32 vcc_lo, v[14:15], v[8:9]
	v_dual_cndmask_b32 v11, v13, v11 :: v_dual_cndmask_b32 v10, v12, v10
	s_waitcnt vmcnt(0)
	v_sub_co_u32 v6, vcc_lo, v6, s24
	v_subrev_co_ci_u32_e32 v7, vcc_lo, 0, v7, vcc_lo
	v_cmpx_ne_u64_e64 v[6:7], v[10:11]
	s_cbranch_execz .LBB31_134
; %bb.125:
	s_load_b64 s[34:35], s[10:11], 0x0
	s_waitcnt lgkmcnt(0)
	s_sub_u32 s34, s34, s24
	s_subb_u32 s35, s35, 0
	s_delay_alu instid0(SALU_CYCLE_1)
	v_cmp_gt_i64_e32 vcc_lo, s[34:35], v[8:9]
	s_and_b32 exec_lo, exec_lo, vcc_lo
	s_cbranch_execz .LBB31_134
; %bb.126:
	v_cmp_gt_i64_e32 vcc_lo, s[12:13], v[6:7]
	v_cmp_le_i64_e64 s0, s[18:19], v[6:7]
	v_lshlrev_b64 v[8:9], 3, v[10:11]
	s_delay_alu instid0(VALU_DEP_2) | instskip(NEXT) | instid1(SALU_CYCLE_1)
	s_or_b32 s0, vcc_lo, s0
	s_and_saveexec_b32 s25, s0
	s_delay_alu instid0(SALU_CYCLE_1)
	s_xor_b32 s0, exec_lo, s25
	s_cbranch_execz .LBB31_132
; %bb.127:
	s_delay_alu instid0(VALU_DEP_1)
	v_add_co_u32 v8, vcc_lo, s14, v8
	v_add_co_ci_u32_e32 v9, vcc_lo, s15, v9, vcc_lo
	v_lshlrev_b64 v[12:13], 3, v[6:7]
	s_mov_b32 s25, 0
	global_load_b64 v[10:11], v[8:9], off
	v_add_co_u32 v8, vcc_lo, s20, v12
	v_add_co_ci_u32_e32 v9, vcc_lo, s21, v13, vcc_lo
	ds_load_b64 v[12:13], v18 offset:4096
	global_load_b32 v15, v[8:9], off
	s_waitcnt vmcnt(1) lgkmcnt(0)
	v_mul_f32_e64 v16, v11, -v13
	s_delay_alu instid0(VALU_DEP_1)
	v_fmac_f32_e32 v16, v12, v10
.LBB31_128:                             ; =>This Inner Loop Header: Depth=1
	s_waitcnt vmcnt(0)
	s_delay_alu instid0(VALU_DEP_1)
	v_add_f32_e32 v14, v15, v16
	global_atomic_cmpswap_b32 v14, v[8:9], v[14:15], off glc
	s_waitcnt vmcnt(0)
	v_cmp_eq_u32_e32 vcc_lo, v14, v15
	v_mov_b32_e32 v15, v14
	s_or_b32 s25, vcc_lo, s25
	s_delay_alu instid0(SALU_CYCLE_1)
	s_and_not1_b32 exec_lo, exec_lo, s25
	s_cbranch_execnz .LBB31_128
; %bb.129:
	s_or_b32 exec_lo, exec_lo, s25
	global_load_b32 v14, v[8:9], off offset:4
	v_mul_f32_e32 v11, v11, v12
	s_mov_b32 s25, 0
	s_delay_alu instid0(VALU_DEP_1)
	v_fmac_f32_e32 v11, v13, v10
.LBB31_130:                             ; =>This Inner Loop Header: Depth=1
	s_waitcnt vmcnt(0)
	s_delay_alu instid0(VALU_DEP_1)
	v_add_f32_e32 v13, v14, v11
	global_atomic_cmpswap_b32 v10, v[8:9], v[13:14], off offset:4 glc
	s_waitcnt vmcnt(0)
	v_cmp_eq_u32_e32 vcc_lo, v10, v14
	v_mov_b32_e32 v14, v10
	s_or_b32 s25, vcc_lo, s25
	s_delay_alu instid0(SALU_CYCLE_1)
	s_and_not1_b32 exec_lo, exec_lo, s25
	s_cbranch_execnz .LBB31_130
; %bb.131:
	s_or_b32 exec_lo, exec_lo, s25
                                        ; implicit-def: $vgpr8_vgpr9
.LBB31_132:
	s_and_not1_saveexec_b32 s0, s0
	s_cbranch_execz .LBB31_134
; %bb.133:
	v_add_co_u32 v8, vcc_lo, s14, v8
	v_add_co_ci_u32_e32 v9, vcc_lo, s15, v9, vcc_lo
	ds_load_b64 v[10:11], v18 offset:4096
	v_subrev_nc_u32_e32 v12, s12, v6
	global_load_b64 v[8:9], v[8:9], off
	v_lshl_add_u32 v12, v12, 3, 0x2000
	s_waitcnt vmcnt(0) lgkmcnt(0)
	v_mul_f32_e64 v13, v9, -v11
	v_mul_f32_e32 v9, v9, v10
	s_delay_alu instid0(VALU_DEP_2) | instskip(NEXT) | instid1(VALU_DEP_2)
	v_fmac_f32_e32 v13, v10, v8
	v_fmac_f32_e32 v9, v11, v8
	ds_add_f32 v12, v13
	ds_add_f32 v12, v9 offset:4
.LBB31_134:
	s_or_b32 exec_lo, exec_lo, s7
	v_lshlrev_b64 v[6:7], 3, v[6:7]
	ds_load_b64 v[8:9], v18 offset:4096
	v_add_co_u32 v6, vcc_lo, s14, v6
	v_add_co_ci_u32_e32 v7, vcc_lo, s15, v7, vcc_lo
	v_cmp_ne_u32_e32 vcc_lo, 1, v19
	global_load_b64 v[6:7], v[6:7], off
	s_and_b32 vcc_lo, exec_lo, vcc_lo
	s_waitcnt vmcnt(0) lgkmcnt(0)
	v_mul_f32_e64 v10, v7, -v9
	s_delay_alu instid0(VALU_DEP_1) | instskip(NEXT) | instid1(VALU_DEP_1)
	v_dual_mul_f32 v11, v7, v8 :: v_dual_fmac_f32 v10, v8, v6
	v_dual_fmac_f32 v11, v9, v6 :: v_dual_mov_b32 v6, s16
	v_dual_mov_b32 v7, s17 :: v_dual_mov_b32 v8, s30
	v_mov_b32_e32 v9, s31
	ds_store_b64 v18, v[10:11] offset:4096
	s_cbranch_vccnz .LBB31_138
; %bb.135:
	v_dual_mov_b32 v6, s16 :: v_dual_mov_b32 v7, s17
	v_dual_mov_b32 v8, s30 :: v_dual_mov_b32 v9, s31
	s_mov_b32 s7, 0
	s_set_inst_prefetch_distance 0x1
	.p2align	6
.LBB31_136:                             ; =>This Inner Loop Header: Depth=1
	s_delay_alu instid0(VALU_DEP_1) | instskip(NEXT) | instid1(VALU_DEP_2)
	v_add_co_u32 v10, vcc_lo, v8, v6
	v_add_co_ci_u32_e32 v11, vcc_lo, v9, v7, vcc_lo
	s_delay_alu instid0(VALU_DEP_1) | instskip(NEXT) | instid1(VALU_DEP_1)
	v_lshrrev_b32_e32 v12, 31, v11
	v_add_co_u32 v10, vcc_lo, v10, v12
	v_add_co_ci_u32_e32 v11, vcc_lo, 0, v11, vcc_lo
	s_delay_alu instid0(VALU_DEP_1) | instskip(NEXT) | instid1(VALU_DEP_1)
	v_ashrrev_i64 v[10:11], 1, v[10:11]
	v_lshlrev_b64 v[12:13], 3, v[10:11]
	s_delay_alu instid0(VALU_DEP_1) | instskip(NEXT) | instid1(VALU_DEP_2)
	v_add_co_u32 v12, vcc_lo, s8, v12
	v_add_co_ci_u32_e32 v13, vcc_lo, s9, v13, vcc_lo
	global_load_b64 v[12:13], v[12:13], off
	s_waitcnt vmcnt(0)
	v_sub_co_u32 v12, vcc_lo, v12, s24
	v_subrev_co_ci_u32_e32 v13, vcc_lo, 0, v13, vcc_lo
	s_delay_alu instid0(VALU_DEP_1) | instskip(SKIP_2) | instid1(VALU_DEP_2)
	v_cmp_gt_i64_e32 vcc_lo, v[12:13], v[4:5]
	v_dual_cndmask_b32 v9, v9, v11 :: v_dual_cndmask_b32 v8, v8, v10
	v_dual_cndmask_b32 v7, v11, v7 :: v_dual_cndmask_b32 v6, v10, v6
	v_add_co_u32 v10, vcc_lo, v8, -1
	s_delay_alu instid0(VALU_DEP_3) | instskip(NEXT) | instid1(VALU_DEP_3)
	v_add_co_ci_u32_e32 v11, vcc_lo, -1, v9, vcc_lo
	v_cmp_ge_i64_e32 vcc_lo, v[6:7], v[8:9]
	s_delay_alu instid0(VALU_DEP_2) | instskip(NEXT) | instid1(VALU_DEP_1)
	v_cmp_eq_u64_e64 s0, v[6:7], v[10:11]
	s_or_b32 s0, vcc_lo, s0
	s_delay_alu instid0(SALU_CYCLE_1) | instskip(NEXT) | instid1(SALU_CYCLE_1)
	s_and_b32 s0, exec_lo, s0
	s_or_b32 s7, s0, s7
	s_delay_alu instid0(SALU_CYCLE_1)
	s_and_not1_b32 exec_lo, exec_lo, s7
	s_cbranch_execnz .LBB31_136
; %bb.137:
	s_set_inst_prefetch_distance 0x2
	s_or_b32 exec_lo, exec_lo, s7
.LBB31_138:
	v_lshlrev_b64 v[10:11], 3, v[8:9]
	s_mov_b32 s7, exec_lo
	s_delay_alu instid0(VALU_DEP_1) | instskip(NEXT) | instid1(VALU_DEP_2)
	v_add_co_u32 v10, vcc_lo, s8, v10
	v_add_co_ci_u32_e32 v11, vcc_lo, s9, v11, vcc_lo
	global_load_b64 v[10:11], v[10:11], off
	global_load_b64 v[2:3], v[2:3], off offset:2048
	s_waitcnt vmcnt(1)
	v_sub_co_u32 v10, vcc_lo, v10, s24
	v_subrev_co_ci_u32_e32 v11, vcc_lo, 0, v11, vcc_lo
	s_delay_alu instid0(VALU_DEP_1) | instskip(SKIP_4) | instid1(VALU_DEP_1)
	v_cmp_gt_i64_e32 vcc_lo, v[10:11], v[4:5]
	v_dual_cndmask_b32 v7, v9, v7 :: v_dual_cndmask_b32 v6, v8, v6
	s_waitcnt vmcnt(0)
	v_sub_co_u32 v2, vcc_lo, v2, s24
	v_subrev_co_ci_u32_e32 v3, vcc_lo, 0, v3, vcc_lo
	v_cmpx_ne_u64_e64 v[2:3], v[6:7]
	s_cbranch_execz .LBB31_148
; %bb.139:
	s_load_b64 s[10:11], s[10:11], 0x0
	s_waitcnt lgkmcnt(0)
	s_sub_u32 s10, s10, s24
	s_subb_u32 s11, s11, 0
	s_delay_alu instid0(SALU_CYCLE_1)
	v_cmp_gt_i64_e32 vcc_lo, s[10:11], v[4:5]
	s_and_b32 exec_lo, exec_lo, vcc_lo
	s_cbranch_execz .LBB31_148
; %bb.140:
	v_cmp_gt_i64_e32 vcc_lo, s[12:13], v[2:3]
	v_cmp_le_i64_e64 s0, s[18:19], v[2:3]
	v_lshlrev_b64 v[4:5], 3, v[6:7]
	s_delay_alu instid0(VALU_DEP_2) | instskip(NEXT) | instid1(SALU_CYCLE_1)
	s_or_b32 s0, vcc_lo, s0
	s_and_saveexec_b32 s10, s0
	s_delay_alu instid0(SALU_CYCLE_1)
	s_xor_b32 s0, exec_lo, s10
	s_cbranch_execz .LBB31_146
; %bb.141:
	s_delay_alu instid0(VALU_DEP_1)
	v_add_co_u32 v4, vcc_lo, s14, v4
	v_add_co_ci_u32_e32 v5, vcc_lo, s15, v5, vcc_lo
	v_lshlrev_b64 v[8:9], 3, v[2:3]
	s_mov_b32 s10, 0
	global_load_b64 v[6:7], v[4:5], off
	v_add_co_u32 v4, vcc_lo, s20, v8
	v_add_co_ci_u32_e32 v5, vcc_lo, s21, v9, vcc_lo
	ds_load_b64 v[8:9], v18 offset:6144
	global_load_b32 v11, v[4:5], off
	s_waitcnt vmcnt(1) lgkmcnt(0)
	v_mul_f32_e64 v12, v7, -v9
	s_delay_alu instid0(VALU_DEP_1)
	v_fmac_f32_e32 v12, v8, v6
.LBB31_142:                             ; =>This Inner Loop Header: Depth=1
	s_waitcnt vmcnt(0)
	s_delay_alu instid0(VALU_DEP_1)
	v_add_f32_e32 v10, v11, v12
	global_atomic_cmpswap_b32 v10, v[4:5], v[10:11], off glc
	s_waitcnt vmcnt(0)
	v_cmp_eq_u32_e32 vcc_lo, v10, v11
	v_mov_b32_e32 v11, v10
	s_or_b32 s10, vcc_lo, s10
	s_delay_alu instid0(SALU_CYCLE_1)
	s_and_not1_b32 exec_lo, exec_lo, s10
	s_cbranch_execnz .LBB31_142
; %bb.143:
	s_or_b32 exec_lo, exec_lo, s10
	global_load_b32 v10, v[4:5], off offset:4
	v_mul_f32_e32 v7, v7, v8
	s_mov_b32 s10, 0
	s_delay_alu instid0(VALU_DEP_1)
	v_fmac_f32_e32 v7, v9, v6
.LBB31_144:                             ; =>This Inner Loop Header: Depth=1
	s_waitcnt vmcnt(0)
	s_delay_alu instid0(VALU_DEP_1)
	v_add_f32_e32 v9, v10, v7
	global_atomic_cmpswap_b32 v6, v[4:5], v[9:10], off offset:4 glc
	s_waitcnt vmcnt(0)
	v_cmp_eq_u32_e32 vcc_lo, v6, v10
	v_mov_b32_e32 v10, v6
	s_or_b32 s10, vcc_lo, s10
	s_delay_alu instid0(SALU_CYCLE_1)
	s_and_not1_b32 exec_lo, exec_lo, s10
	s_cbranch_execnz .LBB31_144
; %bb.145:
	s_or_b32 exec_lo, exec_lo, s10
                                        ; implicit-def: $vgpr4_vgpr5
.LBB31_146:
	s_and_not1_saveexec_b32 s0, s0
	s_cbranch_execz .LBB31_148
; %bb.147:
	v_add_co_u32 v4, vcc_lo, s14, v4
	v_add_co_ci_u32_e32 v5, vcc_lo, s15, v5, vcc_lo
	ds_load_b64 v[6:7], v18 offset:6144
	v_subrev_nc_u32_e32 v8, s12, v2
	global_load_b64 v[4:5], v[4:5], off
	v_lshl_add_u32 v8, v8, 3, 0x2000
	s_waitcnt vmcnt(0) lgkmcnt(0)
	v_mul_f32_e64 v9, v5, -v7
	v_mul_f32_e32 v5, v5, v6
	s_delay_alu instid0(VALU_DEP_2) | instskip(NEXT) | instid1(VALU_DEP_2)
	v_fmac_f32_e32 v9, v6, v4
	v_fmac_f32_e32 v5, v7, v4
	ds_add_f32 v8, v9
	ds_add_f32 v8, v5 offset:4
.LBB31_148:
	s_or_b32 exec_lo, exec_lo, s7
	v_lshlrev_b64 v[2:3], 3, v[2:3]
	ds_load_b64 v[4:5], v18 offset:6144
	v_add_co_u32 v2, vcc_lo, s14, v2
	v_add_co_ci_u32_e32 v3, vcc_lo, s15, v3, vcc_lo
	global_load_b64 v[2:3], v[2:3], off
	s_waitcnt vmcnt(0) lgkmcnt(0)
	v_mul_f32_e64 v6, v3, -v5
	s_delay_alu instid0(VALU_DEP_1) | instskip(NEXT) | instid1(VALU_DEP_1)
	v_dual_mul_f32 v7, v3, v4 :: v_dual_fmac_f32 v6, v4, v2
	v_fmac_f32_e32 v7, v5, v2
	ds_store_b64 v18, v[6:7] offset:6144
.LBB31_149:
	s_or_b32 exec_lo, exec_lo, s1
	v_cmp_lt_i64_e64 s0, s[18:19], s[2:3]
	s_waitcnt lgkmcnt(0)
	s_barrier
	buffer_gl0_inv
	s_and_b32 s0, s0, exec_lo
	s_cselect_b32 s1, s18, s2
	s_cselect_b32 s0, s19, s3
	s_sub_u32 s2, s1, s22
	s_subb_u32 s3, s0, s23
	s_mov_b32 s0, exec_lo
	v_cmpx_gt_i64_e64 s[2:3], v[0:1]
	s_cbranch_execz .LBB31_156
; %bb.150:
	s_lshl_b64 s[10:11], s[12:13], 3
	v_dual_mov_b32 v3, v1 :: v_dual_mov_b32 v2, v0
	s_add_u32 s7, s20, s10
	s_addc_u32 s10, s21, s11
	s_mov_b32 s11, 0
	s_set_inst_prefetch_distance 0x1
	.p2align	6
.LBB31_151:                             ; =>This Loop Header: Depth=1
                                        ;     Child Loop BB31_152 Depth 2
                                        ;     Child Loop BB31_154 Depth 2
	v_lshlrev_b64 v[4:5], 3, v[2:3]
	v_lshl_add_u32 v6, v2, 3, 0x2000
	s_mov_b32 s12, 0
	ds_load_2addr_b32 v[6:7], v6 offset1:1
	v_add_co_u32 v4, vcc_lo, s7, v4
	v_add_co_ci_u32_e32 v5, vcc_lo, s10, v5, vcc_lo
	global_load_b32 v9, v[4:5], off
.LBB31_152:                             ;   Parent Loop BB31_151 Depth=1
                                        ; =>  This Inner Loop Header: Depth=2
	s_waitcnt vmcnt(0) lgkmcnt(0)
	v_add_f32_e32 v8, v9, v6
	global_atomic_cmpswap_b32 v8, v[4:5], v[8:9], off glc
	s_waitcnt vmcnt(0)
	v_cmp_eq_u32_e32 vcc_lo, v8, v9
	v_mov_b32_e32 v9, v8
	s_or_b32 s12, vcc_lo, s12
	s_delay_alu instid0(SALU_CYCLE_1)
	s_and_not1_b32 exec_lo, exec_lo, s12
	s_cbranch_execnz .LBB31_152
; %bb.153:                              ;   in Loop: Header=BB31_151 Depth=1
	s_or_b32 exec_lo, exec_lo, s12
	global_load_b32 v9, v[4:5], off offset:4
	s_mov_b32 s12, 0
.LBB31_154:                             ;   Parent Loop BB31_151 Depth=1
                                        ; =>  This Inner Loop Header: Depth=2
	s_waitcnt vmcnt(0)
	v_add_f32_e32 v8, v9, v7
	global_atomic_cmpswap_b32 v6, v[4:5], v[8:9], off offset:4 glc
	s_waitcnt vmcnt(0)
	v_cmp_eq_u32_e32 vcc_lo, v6, v9
	v_mov_b32_e32 v9, v6
	s_or_b32 s12, vcc_lo, s12
	s_delay_alu instid0(SALU_CYCLE_1)
	s_and_not1_b32 exec_lo, exec_lo, s12
	s_cbranch_execnz .LBB31_154
; %bb.155:                              ;   in Loop: Header=BB31_151 Depth=1
	s_or_b32 exec_lo, exec_lo, s12
	v_add_co_u32 v2, vcc_lo, 0x100, v2
	v_add_co_ci_u32_e32 v3, vcc_lo, 0, v3, vcc_lo
	s_delay_alu instid0(VALU_DEP_1) | instskip(SKIP_1) | instid1(SALU_CYCLE_1)
	v_cmp_le_i64_e32 vcc_lo, s[2:3], v[2:3]
	s_or_b32 s11, vcc_lo, s11
	s_and_not1_b32 exec_lo, exec_lo, s11
	s_cbranch_execnz .LBB31_151
.LBB31_156:
	s_set_inst_prefetch_distance 0x2
	s_or_b32 exec_lo, exec_lo, s0
	s_add_i32 s0, s28, -1
	v_add_co_u32 v6, s10, s16, v0
	s_ashr_i32 s3, s0, 1
	v_add_co_ci_u32_e64 v7, null, s17, 0, s10
	s_or_b32 s0, s3, s0
	s_delay_alu instid0(SALU_CYCLE_1) | instskip(SKIP_4) | instid1(SALU_CYCLE_1)
	s_ashr_i32 s3, s0, 2
	s_barrier
	s_or_b32 s0, s3, s0
	buffer_gl0_inv
	s_ashr_i32 s3, s0, 4
	s_or_b32 s0, s3, s0
	s_delay_alu instid0(SALU_CYCLE_1) | instskip(NEXT) | instid1(SALU_CYCLE_1)
	s_ashr_i32 s3, s0, 8
	s_or_b32 s0, s3, s0
	s_delay_alu instid0(SALU_CYCLE_1) | instskip(NEXT) | instid1(SALU_CYCLE_1)
	s_ashr_i32 s3, s0, 16
	s_or_b32 s3, s3, s0
	s_mov_b32 s0, -1
	s_add_i32 s3, s3, 1
	s_delay_alu instid0(SALU_CYCLE_1) | instskip(NEXT) | instid1(SALU_CYCLE_1)
	s_ashr_i32 s7, s3, 1
	s_cmp_gt_i32 s7, 1
	s_cbranch_scc1 .LBB31_169
; %bb.157:
	s_mov_b32 s0, exec_lo
	v_cmpx_gt_i64_e64 s[18:19], v[6:7]
	s_cbranch_execz .LBB31_168
; %bb.158:
	s_sub_i32 s1, s1, s18
	v_dual_mov_b32 v9, v7 :: v_dual_mov_b32 v8, v6
	s_lshl_b32 s11, s4, 3
	s_lshl_b32 s1, s1, 3
	s_mov_b32 s10, 0
	s_addk_i32 s1, 0x2000
	s_sub_i32 s11, 0, s11
.LBB31_159:                             ; =>This Loop Header: Depth=1
                                        ;     Child Loop BB31_161 Depth 2
                                        ;     Child Loop BB31_164 Depth 2
	;; [unrolled: 1-line block ×3, first 2 shown]
	v_lshlrev_b64 v[10:11], 3, v[8:9]
	v_dual_mov_b32 v14, 0 :: v_dual_mov_b32 v15, 0
	s_mov_b32 s12, exec_lo
	s_delay_alu instid0(VALU_DEP_2) | instskip(NEXT) | instid1(VALU_DEP_3)
	v_add_co_u32 v2, vcc_lo, s8, v10
	v_add_co_ci_u32_e32 v3, vcc_lo, s9, v11, vcc_lo
	global_load_b128 v[2:5], v[2:3], off
	s_waitcnt vmcnt(0)
	v_cmpx_lt_i64_e64 v[2:3], v[4:5]
	s_cbranch_execz .LBB31_163
; %bb.160:                              ;   in Loop: Header=BB31_159 Depth=1
	v_sub_co_u32 v4, vcc_lo, v4, s4
	v_subrev_co_ci_u32_e32 v5, vcc_lo, s5, v5, vcc_lo
	v_sub_co_u32 v12, vcc_lo, v2, s4
	v_subrev_co_ci_u32_e32 v13, vcc_lo, s5, v3, vcc_lo
	v_lshl_add_u32 v2, v2, 3, s11
	v_dual_mov_b32 v14, 0 :: v_dual_mov_b32 v15, 0
	s_mov_b32 s13, 0
.LBB31_161:                             ;   Parent Loop BB31_159 Depth=1
                                        ; =>  This Inner Loop Header: Depth=2
	ds_load_b64 v[16:17], v2
	v_add_co_u32 v12, vcc_lo, v12, 1
	v_add_co_ci_u32_e32 v13, vcc_lo, 0, v13, vcc_lo
	v_add_nc_u32_e32 v2, 8, v2
	s_delay_alu instid0(VALU_DEP_2)
	v_cmp_ge_i64_e32 vcc_lo, v[12:13], v[4:5]
	s_or_b32 s13, vcc_lo, s13
	s_waitcnt lgkmcnt(0)
	v_dual_add_f32 v15, v15, v16 :: v_dual_add_f32 v14, v14, v17
	s_and_not1_b32 exec_lo, exec_lo, s13
	s_cbranch_execnz .LBB31_161
; %bb.162:                              ;   in Loop: Header=BB31_159 Depth=1
	s_or_b32 exec_lo, exec_lo, s13
.LBB31_163:                             ;   in Loop: Header=BB31_159 Depth=1
	s_delay_alu instid0(SALU_CYCLE_1)
	s_or_b32 exec_lo, exec_lo, s12
	v_add_co_u32 v2, vcc_lo, s20, v10
	v_add_co_ci_u32_e32 v3, vcc_lo, s21, v11, vcc_lo
	v_lshl_add_u32 v4, v8, 3, s1
	s_mov_b32 s12, 0
	global_load_b32 v11, v[2:3], off
	ds_load_2addr_b32 v[4:5], v4 offset1:1
	s_waitcnt lgkmcnt(0)
	v_add_f32_e32 v4, v15, v4
.LBB31_164:                             ;   Parent Loop BB31_159 Depth=1
                                        ; =>  This Inner Loop Header: Depth=2
	s_waitcnt vmcnt(0)
	s_delay_alu instid0(VALU_DEP_1)
	v_add_f32_e32 v10, v11, v4
	global_atomic_cmpswap_b32 v10, v[2:3], v[10:11], off glc
	s_waitcnt vmcnt(0)
	v_cmp_eq_u32_e32 vcc_lo, v10, v11
	v_mov_b32_e32 v11, v10
	s_or_b32 s12, vcc_lo, s12
	s_delay_alu instid0(SALU_CYCLE_1)
	s_and_not1_b32 exec_lo, exec_lo, s12
	s_cbranch_execnz .LBB31_164
; %bb.165:                              ;   in Loop: Header=BB31_159 Depth=1
	s_or_b32 exec_lo, exec_lo, s12
	global_load_b32 v11, v[2:3], off offset:4
	v_add_f32_e32 v4, v14, v5
	s_mov_b32 s12, 0
.LBB31_166:                             ;   Parent Loop BB31_159 Depth=1
                                        ; =>  This Inner Loop Header: Depth=2
	s_waitcnt vmcnt(0)
	s_delay_alu instid0(VALU_DEP_1)
	v_add_f32_e32 v10, v11, v4
	global_atomic_cmpswap_b32 v5, v[2:3], v[10:11], off offset:4 glc
	s_waitcnt vmcnt(0)
	v_cmp_eq_u32_e32 vcc_lo, v5, v11
	v_mov_b32_e32 v11, v5
	s_or_b32 s12, vcc_lo, s12
	s_delay_alu instid0(SALU_CYCLE_1)
	s_and_not1_b32 exec_lo, exec_lo, s12
	s_cbranch_execnz .LBB31_166
; %bb.167:                              ;   in Loop: Header=BB31_159 Depth=1
	s_or_b32 exec_lo, exec_lo, s12
	v_add_co_u32 v8, vcc_lo, v8, s6
	v_add_co_ci_u32_e32 v9, vcc_lo, 0, v9, vcc_lo
	s_delay_alu instid0(VALU_DEP_1) | instskip(SKIP_1) | instid1(SALU_CYCLE_1)
	v_cmp_le_i64_e32 vcc_lo, s[18:19], v[8:9]
	s_or_b32 s10, vcc_lo, s10
	s_and_not1_b32 exec_lo, exec_lo, s10
	s_cbranch_execnz .LBB31_159
.LBB31_168:
	s_or_b32 exec_lo, exec_lo, s0
	s_mov_b32 s0, 0
.LBB31_169:
	s_delay_alu instid0(SALU_CYCLE_1)
	s_and_not1_b32 vcc_lo, exec_lo, s0
	s_cbranch_vccnz .LBB31_200
; %bb.170:
	v_cvt_f32_u32_e32 v13, s7
	s_sub_i32 s1, 0, s7
	v_mov_b32_e32 v11, 0
	s_delay_alu instid0(VALU_DEP_2) | instskip(SKIP_2) | instid1(VALU_DEP_1)
	v_rcp_iflag_f32_e32 v2, v13
	s_waitcnt_depctr 0xfff
	v_mul_f32_e32 v2, 0x4f7ffffe, v2
	v_cvt_u32_f32_e32 v2, v2
	s_delay_alu instid0(VALU_DEP_1) | instskip(NEXT) | instid1(VALU_DEP_1)
	v_mul_lo_u32 v3, s1, v2
	v_mul_hi_u32 v3, v2, v3
	s_delay_alu instid0(VALU_DEP_1) | instskip(NEXT) | instid1(VALU_DEP_1)
	v_add_nc_u32_e32 v2, v2, v3
	v_mul_hi_u32 v2, v0, v2
	s_delay_alu instid0(VALU_DEP_1) | instskip(SKIP_1) | instid1(VALU_DEP_2)
	v_mul_lo_u32 v3, v2, s7
	v_add_nc_u32_e32 v4, 1, v2
	v_sub_nc_u32_e32 v3, v0, v3
	s_delay_alu instid0(VALU_DEP_1) | instskip(SKIP_1) | instid1(VALU_DEP_2)
	v_subrev_nc_u32_e32 v5, s7, v3
	v_cmp_le_u32_e32 vcc_lo, s7, v3
	v_dual_cndmask_b32 v2, v2, v4 :: v_dual_cndmask_b32 v3, v3, v5
	s_delay_alu instid0(VALU_DEP_1) | instskip(NEXT) | instid1(VALU_DEP_2)
	v_add_nc_u32_e32 v4, 1, v2
	v_cmp_le_u32_e32 vcc_lo, s7, v3
	s_delay_alu instid0(VALU_DEP_2) | instskip(NEXT) | instid1(VALU_DEP_1)
	v_cndmask_b32_e32 v10, v2, v4, vcc_lo
	v_lshlrev_b64 v[2:3], 3, v[10:11]
	s_delay_alu instid0(VALU_DEP_1) | instskip(NEXT) | instid1(VALU_DEP_2)
	v_add_co_u32 v2, vcc_lo, s26, v2
	v_add_co_ci_u32_e32 v3, vcc_lo, s27, v3, vcc_lo
	global_load_b128 v[2:5], v[2:3], off
	s_waitcnt vmcnt(0)
	v_sub_co_u32 v8, vcc_lo, v2, s4
	v_subrev_co_ci_u32_e32 v9, vcc_lo, s5, v3, vcc_lo
	v_sub_co_u32 v16, vcc_lo, v4, s4
	v_subrev_co_ci_u32_e32 v17, vcc_lo, s5, v5, vcc_lo
	v_mov_b32_e32 v4, v11
	s_delay_alu instid0(VALU_DEP_3) | instskip(NEXT) | instid1(VALU_DEP_3)
	v_sub_co_u32 v12, vcc_lo, v16, v8
	v_sub_co_ci_u32_e32 v5, vcc_lo, v17, v9, vcc_lo
	s_delay_alu instid0(VALU_DEP_1) | instskip(SKIP_1) | instid1(SALU_CYCLE_1)
	v_cmp_ne_u64_e32 vcc_lo, 0, v[4:5]
                                        ; implicit-def: $vgpr3_vgpr4
	s_and_saveexec_b32 s0, vcc_lo
	s_xor_b32 s5, exec_lo, s0
	s_cbranch_execz .LBB31_172
; %bb.171:
	v_cvt_f32_ubyte0_e32 v3, 0
	s_sub_u32 s0, 0, s7
	s_subb_u32 s6, 0, 0
	s_delay_alu instid0(VALU_DEP_1) | instskip(NEXT) | instid1(VALU_DEP_1)
	v_fmamk_f32 v3, v3, 0x4f800000, v13
	v_rcp_f32_e32 v3, v3
	s_waitcnt_depctr 0xfff
	v_mul_f32_e32 v3, 0x5f7ffffc, v3
	s_delay_alu instid0(VALU_DEP_1) | instskip(NEXT) | instid1(VALU_DEP_1)
	v_mul_f32_e32 v4, 0x2f800000, v3
	v_trunc_f32_e32 v4, v4
	s_delay_alu instid0(VALU_DEP_1) | instskip(SKIP_1) | instid1(VALU_DEP_2)
	v_fmamk_f32 v3, v4, 0xcf800000, v3
	v_cvt_u32_f32_e32 v4, v4
	v_cvt_u32_f32_e32 v3, v3
	s_delay_alu instid0(VALU_DEP_2) | instskip(NEXT) | instid1(VALU_DEP_2)
	v_mul_lo_u32 v13, s0, v4
	v_mul_hi_u32 v14, s0, v3
	v_mul_lo_u32 v15, s6, v3
	s_delay_alu instid0(VALU_DEP_2) | instskip(SKIP_1) | instid1(VALU_DEP_2)
	v_add_nc_u32_e32 v13, v14, v13
	v_mul_lo_u32 v14, s0, v3
	v_add_nc_u32_e32 v13, v13, v15
	s_delay_alu instid0(VALU_DEP_2) | instskip(NEXT) | instid1(VALU_DEP_2)
	v_mul_hi_u32 v15, v3, v14
	v_mul_lo_u32 v19, v3, v13
	v_mul_hi_u32 v20, v3, v13
	v_mul_hi_u32 v21, v4, v14
	v_mul_lo_u32 v14, v4, v14
	v_mul_hi_u32 v22, v4, v13
	v_mul_lo_u32 v13, v4, v13
	v_add_co_u32 v15, vcc_lo, v15, v19
	v_add_co_ci_u32_e32 v19, vcc_lo, 0, v20, vcc_lo
	s_delay_alu instid0(VALU_DEP_2) | instskip(NEXT) | instid1(VALU_DEP_2)
	v_add_co_u32 v14, vcc_lo, v15, v14
	v_add_co_ci_u32_e32 v14, vcc_lo, v19, v21, vcc_lo
	v_add_co_ci_u32_e32 v15, vcc_lo, 0, v22, vcc_lo
	v_ashrrev_i32_e32 v21, 31, v5
	s_delay_alu instid0(VALU_DEP_3) | instskip(NEXT) | instid1(VALU_DEP_3)
	v_add_co_u32 v13, vcc_lo, v14, v13
	v_add_co_ci_u32_e32 v14, vcc_lo, 0, v15, vcc_lo
	s_delay_alu instid0(VALU_DEP_2) | instskip(NEXT) | instid1(VALU_DEP_2)
	v_add_co_u32 v3, vcc_lo, v3, v13
	v_add_co_ci_u32_e32 v4, vcc_lo, v4, v14, vcc_lo
	s_delay_alu instid0(VALU_DEP_2) | instskip(SKIP_1) | instid1(VALU_DEP_3)
	v_mul_hi_u32 v13, s0, v3
	v_mul_lo_u32 v15, s6, v3
	v_mul_lo_u32 v14, s0, v4
	s_delay_alu instid0(VALU_DEP_1) | instskip(SKIP_1) | instid1(VALU_DEP_2)
	v_add_nc_u32_e32 v13, v13, v14
	v_mul_lo_u32 v14, s0, v3
	v_add_nc_u32_e32 v13, v13, v15
	s_delay_alu instid0(VALU_DEP_2) | instskip(NEXT) | instid1(VALU_DEP_2)
	v_mul_hi_u32 v15, v3, v14
	v_mul_lo_u32 v19, v3, v13
	v_mul_hi_u32 v20, v3, v13
	v_mul_hi_u32 v22, v4, v14
	v_mul_lo_u32 v14, v4, v14
	v_mul_hi_u32 v23, v4, v13
	v_mul_lo_u32 v13, v4, v13
	v_add_co_u32 v15, vcc_lo, v15, v19
	v_add_co_ci_u32_e32 v19, vcc_lo, 0, v20, vcc_lo
	s_delay_alu instid0(VALU_DEP_2) | instskip(NEXT) | instid1(VALU_DEP_2)
	v_add_co_u32 v14, vcc_lo, v15, v14
	v_add_co_ci_u32_e32 v14, vcc_lo, v19, v22, vcc_lo
	v_add_co_ci_u32_e32 v15, vcc_lo, 0, v23, vcc_lo
	v_add_co_u32 v12, vcc_lo, v12, v21
	v_add_co_ci_u32_e32 v5, vcc_lo, v5, v21, vcc_lo
	s_delay_alu instid0(VALU_DEP_4) | instskip(NEXT) | instid1(VALU_DEP_4)
	v_add_co_u32 v13, vcc_lo, v14, v13
	v_add_co_ci_u32_e32 v14, vcc_lo, 0, v15, vcc_lo
	s_delay_alu instid0(VALU_DEP_4) | instskip(NEXT) | instid1(VALU_DEP_3)
	v_xor_b32_e32 v19, v12, v21
	v_add_co_u32 v15, vcc_lo, v3, v13
	s_delay_alu instid0(VALU_DEP_3) | instskip(SKIP_1) | instid1(VALU_DEP_3)
	v_add_co_ci_u32_e32 v20, vcc_lo, v4, v14, vcc_lo
	v_xor_b32_e32 v5, v5, v21
	v_mul_hi_u32 v22, v19, v15
	s_delay_alu instid0(VALU_DEP_3) | instskip(NEXT) | instid1(VALU_DEP_3)
	v_mad_u64_u32 v[3:4], null, v19, v20, 0
	v_mad_u64_u32 v[12:13], null, v5, v15, 0
	;; [unrolled: 1-line block ×3, first 2 shown]
	s_delay_alu instid0(VALU_DEP_3) | instskip(NEXT) | instid1(VALU_DEP_4)
	v_add_co_u32 v3, vcc_lo, v22, v3
	v_add_co_ci_u32_e32 v4, vcc_lo, 0, v4, vcc_lo
	s_delay_alu instid0(VALU_DEP_2) | instskip(NEXT) | instid1(VALU_DEP_2)
	v_add_co_u32 v3, vcc_lo, v3, v12
	v_add_co_ci_u32_e32 v3, vcc_lo, v4, v13, vcc_lo
	v_add_co_ci_u32_e32 v4, vcc_lo, 0, v15, vcc_lo
	s_delay_alu instid0(VALU_DEP_2) | instskip(NEXT) | instid1(VALU_DEP_2)
	v_add_co_u32 v14, vcc_lo, v3, v14
	v_add_co_ci_u32_e32 v15, vcc_lo, 0, v4, vcc_lo
	s_delay_alu instid0(VALU_DEP_2) | instskip(NEXT) | instid1(VALU_DEP_1)
	v_mad_u64_u32 v[3:4], null, s7, v14, 0
	v_mad_u64_u32 v[12:13], null, s7, v15, v[4:5]
	s_delay_alu instid0(VALU_DEP_2) | instskip(NEXT) | instid1(VALU_DEP_2)
	v_sub_co_u32 v3, vcc_lo, v19, v3
	v_sub_co_ci_u32_e32 v4, vcc_lo, v5, v12, vcc_lo
	s_delay_alu instid0(VALU_DEP_2) | instskip(NEXT) | instid1(VALU_DEP_2)
	v_sub_co_u32 v5, vcc_lo, v3, s7
	v_subrev_co_ci_u32_e32 v12, vcc_lo, 0, v4, vcc_lo
	s_delay_alu instid0(VALU_DEP_2)
	v_cmp_le_u32_e32 vcc_lo, s7, v5
	v_cmp_eq_u32_e64 s0, 0, v4
	v_cndmask_b32_e64 v5, 0, -1, vcc_lo
	v_add_co_u32 v13, vcc_lo, v14, 2
	v_add_co_ci_u32_e32 v19, vcc_lo, 0, v15, vcc_lo
	v_cmp_le_u32_e32 vcc_lo, s7, v3
	v_cndmask_b32_e64 v3, 0, -1, vcc_lo
	v_cmp_eq_u32_e32 vcc_lo, 0, v12
	s_delay_alu instid0(VALU_DEP_2) | instskip(SKIP_3) | instid1(VALU_DEP_3)
	v_cndmask_b32_e64 v3, -1, v3, s0
	v_cndmask_b32_e32 v5, -1, v5, vcc_lo
	v_add_co_u32 v12, vcc_lo, v14, 1
	v_add_co_ci_u32_e32 v20, vcc_lo, 0, v15, vcc_lo
	v_cmp_ne_u32_e32 vcc_lo, 0, v5
	s_delay_alu instid0(VALU_DEP_2) | instskip(NEXT) | instid1(VALU_DEP_4)
	v_cndmask_b32_e32 v4, v20, v19, vcc_lo
	v_cndmask_b32_e32 v5, v12, v13, vcc_lo
	v_cmp_ne_u32_e32 vcc_lo, 0, v3
                                        ; implicit-def: $vgpr12
	s_delay_alu instid0(VALU_DEP_2) | instskip(NEXT) | instid1(VALU_DEP_1)
	v_dual_cndmask_b32 v3, v15, v4 :: v_dual_cndmask_b32 v4, v14, v5
	v_xor_b32_e32 v5, v3, v21
	s_delay_alu instid0(VALU_DEP_2) | instskip(NEXT) | instid1(VALU_DEP_1)
	v_xor_b32_e32 v4, v4, v21
	v_sub_co_u32 v3, vcc_lo, v4, v21
	s_delay_alu instid0(VALU_DEP_3)
	v_sub_co_ci_u32_e32 v4, vcc_lo, v5, v21, vcc_lo
.LBB31_172:
	s_and_not1_saveexec_b32 s0, s5
	s_cbranch_execz .LBB31_174
; %bb.173:
	v_cvt_f32_u32_e32 v3, s7
	s_delay_alu instid0(VALU_DEP_1) | instskip(SKIP_2) | instid1(VALU_DEP_1)
	v_rcp_iflag_f32_e32 v3, v3
	s_waitcnt_depctr 0xfff
	v_mul_f32_e32 v3, 0x4f7ffffe, v3
	v_cvt_u32_f32_e32 v3, v3
	s_delay_alu instid0(VALU_DEP_1) | instskip(NEXT) | instid1(VALU_DEP_1)
	v_mul_lo_u32 v4, s1, v3
	v_mul_hi_u32 v4, v3, v4
	s_delay_alu instid0(VALU_DEP_1) | instskip(NEXT) | instid1(VALU_DEP_1)
	v_add_nc_u32_e32 v3, v3, v4
	v_mul_hi_u32 v3, v12, v3
	s_delay_alu instid0(VALU_DEP_1) | instskip(SKIP_1) | instid1(VALU_DEP_2)
	v_mul_lo_u32 v4, v3, s7
	v_add_nc_u32_e32 v5, 1, v3
	v_sub_nc_u32_e32 v4, v12, v4
	s_delay_alu instid0(VALU_DEP_1) | instskip(SKIP_1) | instid1(VALU_DEP_2)
	v_subrev_nc_u32_e32 v12, s7, v4
	v_cmp_le_u32_e32 vcc_lo, s7, v4
	v_dual_cndmask_b32 v4, v4, v12 :: v_dual_cndmask_b32 v3, v3, v5
	s_delay_alu instid0(VALU_DEP_1) | instskip(NEXT) | instid1(VALU_DEP_2)
	v_cmp_le_u32_e32 vcc_lo, s7, v4
	v_dual_mov_b32 v4, 0 :: v_dual_add_nc_u32 v5, 1, v3
	s_delay_alu instid0(VALU_DEP_1)
	v_cndmask_b32_e32 v3, v3, v5, vcc_lo
.LBB31_174:
	s_or_b32 exec_lo, exec_lo, s0
	v_cmp_gt_i64_e32 vcc_lo, s[22:23], v[10:11]
	v_dual_mov_b32 v11, 0 :: v_dual_mov_b32 v10, 0
	s_and_saveexec_b32 s5, vcc_lo
	s_cbranch_execz .LBB31_188
; %bb.175:
	s_add_i32 s0, s7, -1
	v_mov_b32_e32 v10, 0
	v_dual_mov_b32 v11, 0 :: v_dual_and_b32 v12, s0, v0
	s_mov_b32 s6, exec_lo
	v_cmpx_lt_i64_e32 0, v[3:4]
	s_cbranch_execz .LBB31_185
; %bb.176:
	v_dual_mov_b32 v10, 0 :: v_dual_mov_b32 v13, 0
	v_dual_mov_b32 v14, 0 :: v_dual_mov_b32 v11, 0
	s_mov_b32 s8, exec_lo
	v_cmpx_lt_u64_e32 3, v[3:4]
	s_cbranch_execz .LBB31_180
; %bb.177:
	v_dual_mov_b32 v11, 0 :: v_dual_and_b32 v14, 0x7fffffff, v4
	v_add_nc_u32_e32 v5, v12, v2
	v_and_b32_e32 v13, -4, v3
	s_lshl_b32 s9, s7, 5
	s_delay_alu instid0(VALU_DEP_3) | instskip(SKIP_4) | instid1(VALU_DEP_1)
	v_mov_b32_e32 v10, v11
	s_lshl_b32 s11, s7, 3
	v_subrev_nc_u32_e32 v5, s4, v5
	s_mov_b32 s10, 0
	s_mov_b64 s[0:1], 0
	v_lshlrev_b32_e32 v5, 3, v5
	.p2align	6
.LBB31_178:                             ; =>This Inner Loop Header: Depth=1
	ds_load_b64 v[19:20], v5
	v_add_nc_u32_e32 v15, s11, v5
	s_add_u32 s0, s0, 4
	s_addc_u32 s1, s1, 0
	v_add_nc_u32_e32 v5, s9, v5
	v_cmp_eq_u64_e32 vcc_lo, s[0:1], v[13:14]
	s_or_b32 s10, vcc_lo, s10
	s_waitcnt lgkmcnt(0)
	v_add_f32_e32 v10, v10, v19
	v_add_nc_u32_e32 v25, s11, v15
	ds_load_b64 v[21:22], v15
	ds_load_b64 v[23:24], v25
	s_waitcnt lgkmcnt(1)
	v_add_f32_e32 v10, v10, v21
	s_waitcnt lgkmcnt(0)
	s_delay_alu instid0(VALU_DEP_1) | instskip(SKIP_3) | instid1(VALU_DEP_1)
	v_dual_add_f32 v10, v10, v23 :: v_dual_add_nc_u32 v15, s11, v25
	ds_load_b64 v[25:26], v15
	s_waitcnt lgkmcnt(0)
	v_dual_add_f32 v11, v11, v20 :: v_dual_add_f32 v10, v10, v25
	v_add_f32_e32 v11, v11, v22
	s_delay_alu instid0(VALU_DEP_1) | instskip(NEXT) | instid1(VALU_DEP_1)
	v_add_f32_e32 v11, v11, v24
	v_add_f32_e32 v11, v11, v26
	s_and_not1_b32 exec_lo, exec_lo, s10
	s_cbranch_execnz .LBB31_178
; %bb.179:
	s_or_b32 exec_lo, exec_lo, s10
.LBB31_180:
	s_delay_alu instid0(SALU_CYCLE_1) | instskip(SKIP_2) | instid1(VALU_DEP_1)
	s_or_b32 exec_lo, exec_lo, s8
	v_dual_mov_b32 v15, 0 :: v_dual_and_b32 v14, 3, v3
	s_mov_b32 s0, exec_lo
	v_cmpx_ne_u64_e32 0, v[14:15]
	s_cbranch_execz .LBB31_184
; %bb.181:
	v_mul_lo_u32 v5, s7, v13
	s_mov_b32 s1, 0
	s_delay_alu instid0(VALU_DEP_1) | instskip(NEXT) | instid1(VALU_DEP_1)
	v_add3_u32 v2, v12, v5, v2
	v_subrev_nc_u32_e32 v2, s4, v2
	s_lshl_b32 s4, s7, 3
	s_delay_alu instid0(VALU_DEP_1)
	v_lshlrev_b32_e32 v2, 3, v2
.LBB31_182:                             ; =>This Inner Loop Header: Depth=1
	ds_load_b64 v[19:20], v2
	v_add_co_u32 v14, vcc_lo, v14, -1
	v_add_co_ci_u32_e32 v15, vcc_lo, -1, v15, vcc_lo
	v_add_nc_u32_e32 v2, s4, v2
	s_delay_alu instid0(VALU_DEP_2)
	v_cmp_eq_u64_e32 vcc_lo, 0, v[14:15]
	s_or_b32 s1, vcc_lo, s1
	s_waitcnt lgkmcnt(0)
	v_dual_add_f32 v11, v11, v20 :: v_dual_add_f32 v10, v10, v19
	s_and_not1_b32 exec_lo, exec_lo, s1
	s_cbranch_execnz .LBB31_182
; %bb.183:
	s_or_b32 exec_lo, exec_lo, s1
.LBB31_184:
	s_delay_alu instid0(SALU_CYCLE_1)
	s_or_b32 exec_lo, exec_lo, s0
.LBB31_185:
	s_delay_alu instid0(SALU_CYCLE_1) | instskip(SKIP_3) | instid1(VALU_DEP_2)
	s_or_b32 exec_lo, exec_lo, s6
	v_mad_u64_u32 v[14:15], null, v3, s7, v[8:9]
	v_mov_b32_e32 v13, 0
	s_mov_b32 s0, exec_lo
	v_mov_b32_e32 v2, v15
	s_delay_alu instid0(VALU_DEP_1) | instskip(NEXT) | instid1(VALU_DEP_4)
	v_mad_u64_u32 v[8:9], null, v4, s7, v[2:3]
	v_sub_co_u32 v2, vcc_lo, v16, v14
	s_delay_alu instid0(VALU_DEP_2) | instskip(NEXT) | instid1(VALU_DEP_1)
	v_mov_b32_e32 v3, v8
	v_sub_co_ci_u32_e32 v3, vcc_lo, v17, v3, vcc_lo
	s_delay_alu instid0(VALU_DEP_1)
	v_cmpx_gt_i64_e64 v[2:3], v[12:13]
	s_cbranch_execz .LBB31_187
; %bb.186:
	v_add_lshl_u32 v2, v12, v14, 3
	ds_load_b64 v[2:3], v2
	s_waitcnt lgkmcnt(0)
	v_dual_add_f32 v10, v10, v2 :: v_dual_add_f32 v11, v11, v3
.LBB31_187:
	s_or_b32 exec_lo, exec_lo, s0
.LBB31_188:
	s_delay_alu instid0(SALU_CYCLE_1)
	s_or_b32 exec_lo, exec_lo, s5
	v_cmp_gt_i64_e32 vcc_lo, s[22:23], v[0:1]
	s_barrier
	buffer_gl0_inv
	ds_store_b64 v18, v[10:11]
	s_waitcnt lgkmcnt(0)
	s_barrier
	buffer_gl0_inv
	s_and_b32 exec_lo, exec_lo, vcc_lo
	s_cbranch_execz .LBB31_200
; %bb.189:
	v_mul_lo_u32 v1, s7, v0
	v_mov_b32_e32 v5, 0
	s_cmp_lt_u32 s7, 8
	s_cbranch_scc1 .LBB31_192
; %bb.190:
	s_delay_alu instid0(VALU_DEP_2)
	v_dual_mov_b32 v5, 0 :: v_dual_lshlrev_b32 v2, 3, v1
	v_mov_b32_e32 v8, 0
	s_and_b32 s0, s7, 0x7ffffff8
	s_mov_b32 s1, 0
	.p2align	6
.LBB31_191:                             ; =>This Inner Loop Header: Depth=1
	ds_load_2addr_b64 v[9:12], v2 offset1:1
	ds_load_2addr_b64 v[13:16], v2 offset0:2 offset1:3
	ds_load_2addr_b64 v[17:20], v2 offset0:4 offset1:5
	s_add_i32 s1, s1, 8
	s_delay_alu instid0(SALU_CYCLE_1) | instskip(SKIP_2) | instid1(VALU_DEP_1)
	s_cmp_eq_u32 s0, s1
	s_waitcnt lgkmcnt(2)
	v_dual_add_f32 v3, v5, v9 :: v_dual_add_f32 v4, v8, v10
	v_dual_add_f32 v3, v3, v11 :: v_dual_add_f32 v4, v4, v12
	ds_load_2addr_b64 v[8:11], v2 offset0:6 offset1:7
	s_waitcnt lgkmcnt(2)
	v_dual_add_f32 v3, v3, v13 :: v_dual_add_nc_u32 v2, 64, v2
	s_delay_alu instid0(VALU_DEP_1) | instskip(SKIP_1) | instid1(VALU_DEP_1)
	v_dual_add_f32 v4, v4, v14 :: v_dual_add_f32 v3, v3, v15
	s_waitcnt lgkmcnt(1)
	v_dual_add_f32 v4, v4, v16 :: v_dual_add_f32 v3, v3, v17
	s_delay_alu instid0(VALU_DEP_1) | instskip(NEXT) | instid1(VALU_DEP_1)
	v_dual_add_f32 v4, v4, v18 :: v_dual_add_f32 v3, v3, v19
	v_add_f32_e32 v4, v4, v20
	s_waitcnt lgkmcnt(0)
	s_delay_alu instid0(VALU_DEP_1) | instskip(NEXT) | instid1(VALU_DEP_1)
	v_dual_add_f32 v3, v3, v8 :: v_dual_add_f32 v4, v4, v9
	v_dual_add_f32 v5, v3, v10 :: v_dual_add_f32 v8, v4, v11
	s_cbranch_scc0 .LBB31_191
	s_branch .LBB31_193
.LBB31_192:
	v_mov_b32_e32 v8, 0
	s_mov_b32 s0, 0
.LBB31_193:
	s_bfe_u32 s1, s3, 0x30001
	s_delay_alu instid0(SALU_CYCLE_1)
	s_cmp_eq_u32 s1, 0
	s_cbranch_scc1 .LBB31_196
; %bb.194:
	v_add_lshl_u32 v1, s0, v1, 3
.LBB31_195:                             ; =>This Inner Loop Header: Depth=1
	ds_load_b64 v[2:3], v1
	v_add_nc_u32_e32 v1, 8, v1
	s_add_i32 s1, s1, -1
	s_delay_alu instid0(SALU_CYCLE_1)
	s_cmp_lg_u32 s1, 0
	s_waitcnt lgkmcnt(0)
	v_dual_add_f32 v8, v8, v3 :: v_dual_add_f32 v5, v5, v2
	s_cbranch_scc1 .LBB31_195
.LBB31_196:
	v_lshlrev_b64 v[1:2], 3, v[6:7]
	v_lshlrev_b32_e32 v0, 3, v0
	s_lshl_b32 s0, s2, 3
	s_delay_alu instid0(VALU_DEP_1) | instid1(SALU_CYCLE_1)
	v_add3_u32 v0, 0x2000, s0, v0
	s_delay_alu instid0(VALU_DEP_3) | instskip(NEXT) | instid1(VALU_DEP_4)
	v_add_co_u32 v1, vcc_lo, s20, v1
	v_add_co_ci_u32_e32 v2, vcc_lo, s21, v2, vcc_lo
	ds_load_2addr_b32 v[3:4], v0 offset1:1
	s_mov_b32 s0, 0
	global_load_b32 v6, v[1:2], off
	s_waitcnt lgkmcnt(0)
	v_add_f32_e32 v0, v5, v3
.LBB31_197:                             ; =>This Inner Loop Header: Depth=1
	s_waitcnt vmcnt(0)
	s_delay_alu instid0(VALU_DEP_1)
	v_add_f32_e32 v5, v6, v0
	global_atomic_cmpswap_b32 v3, v[1:2], v[5:6], off glc
	s_waitcnt vmcnt(0)
	v_cmp_eq_u32_e32 vcc_lo, v3, v6
	v_mov_b32_e32 v6, v3
	s_or_b32 s0, vcc_lo, s0
	s_delay_alu instid0(SALU_CYCLE_1)
	s_and_not1_b32 exec_lo, exec_lo, s0
	s_cbranch_execnz .LBB31_197
; %bb.198:
	s_or_b32 exec_lo, exec_lo, s0
	global_load_b32 v5, v[1:2], off offset:4
	v_add_f32_e32 v0, v8, v4
	s_mov_b32 s0, 0
.LBB31_199:                             ; =>This Inner Loop Header: Depth=1
	s_waitcnt vmcnt(0)
	s_delay_alu instid0(VALU_DEP_1)
	v_add_f32_e32 v4, v5, v0
	global_atomic_cmpswap_b32 v3, v[1:2], v[4:5], off offset:4 glc
	s_waitcnt vmcnt(0)
	v_cmp_eq_u32_e32 vcc_lo, v3, v5
	v_mov_b32_e32 v5, v3
	s_or_b32 s0, vcc_lo, s0
	s_delay_alu instid0(SALU_CYCLE_1)
	s_and_not1_b32 exec_lo, exec_lo, s0
	s_cbranch_execnz .LBB31_199
.LBB31_200:
	s_endpgm
	.section	.rodata,"a",@progbits
	.p2align	6, 0x0
	.amdhsa_kernel _ZN9rocsparseL27csrmvn_symm_adaptive_kernelIll21rocsparse_complex_numIfES2_S2_S2_EEvbT_S3_PKS3_NS_24const_host_device_scalarIT4_EES5_PKT0_PKT1_PKT2_S8_PT3_21rocsparse_index_base_b
		.amdhsa_group_segment_fixed_size 8192
		.amdhsa_private_segment_fixed_size 0
		.amdhsa_kernarg_size 352
		.amdhsa_user_sgpr_count 15
		.amdhsa_user_sgpr_dispatch_ptr 0
		.amdhsa_user_sgpr_queue_ptr 0
		.amdhsa_user_sgpr_kernarg_segment_ptr 1
		.amdhsa_user_sgpr_dispatch_id 0
		.amdhsa_user_sgpr_private_segment_size 0
		.amdhsa_wavefront_size32 1
		.amdhsa_uses_dynamic_stack 0
		.amdhsa_enable_private_segment 0
		.amdhsa_system_sgpr_workgroup_id_x 1
		.amdhsa_system_sgpr_workgroup_id_y 0
		.amdhsa_system_sgpr_workgroup_id_z 0
		.amdhsa_system_sgpr_workgroup_info 0
		.amdhsa_system_vgpr_workitem_id 0
		.amdhsa_next_free_vgpr 27
		.amdhsa_next_free_sgpr 44
		.amdhsa_reserve_vcc 1
		.amdhsa_float_round_mode_32 0
		.amdhsa_float_round_mode_16_64 0
		.amdhsa_float_denorm_mode_32 3
		.amdhsa_float_denorm_mode_16_64 3
		.amdhsa_dx10_clamp 1
		.amdhsa_ieee_mode 1
		.amdhsa_fp16_overflow 0
		.amdhsa_workgroup_processor_mode 1
		.amdhsa_memory_ordered 1
		.amdhsa_forward_progress 0
		.amdhsa_shared_vgpr_count 0
		.amdhsa_exception_fp_ieee_invalid_op 0
		.amdhsa_exception_fp_denorm_src 0
		.amdhsa_exception_fp_ieee_div_zero 0
		.amdhsa_exception_fp_ieee_overflow 0
		.amdhsa_exception_fp_ieee_underflow 0
		.amdhsa_exception_fp_ieee_inexact 0
		.amdhsa_exception_int_div_zero 0
	.end_amdhsa_kernel
	.section	.text._ZN9rocsparseL27csrmvn_symm_adaptive_kernelIll21rocsparse_complex_numIfES2_S2_S2_EEvbT_S3_PKS3_NS_24const_host_device_scalarIT4_EES5_PKT0_PKT1_PKT2_S8_PT3_21rocsparse_index_base_b,"axG",@progbits,_ZN9rocsparseL27csrmvn_symm_adaptive_kernelIll21rocsparse_complex_numIfES2_S2_S2_EEvbT_S3_PKS3_NS_24const_host_device_scalarIT4_EES5_PKT0_PKT1_PKT2_S8_PT3_21rocsparse_index_base_b,comdat
.Lfunc_end31:
	.size	_ZN9rocsparseL27csrmvn_symm_adaptive_kernelIll21rocsparse_complex_numIfES2_S2_S2_EEvbT_S3_PKS3_NS_24const_host_device_scalarIT4_EES5_PKT0_PKT1_PKT2_S8_PT3_21rocsparse_index_base_b, .Lfunc_end31-_ZN9rocsparseL27csrmvn_symm_adaptive_kernelIll21rocsparse_complex_numIfES2_S2_S2_EEvbT_S3_PKS3_NS_24const_host_device_scalarIT4_EES5_PKT0_PKT1_PKT2_S8_PT3_21rocsparse_index_base_b
                                        ; -- End function
	.section	.AMDGPU.csdata,"",@progbits
; Kernel info:
; codeLenInByte = 10996
; NumSgprs: 46
; NumVgprs: 27
; ScratchSize: 0
; MemoryBound: 0
; FloatMode: 240
; IeeeMode: 1
; LDSByteSize: 8192 bytes/workgroup (compile time only)
; SGPRBlocks: 5
; VGPRBlocks: 3
; NumSGPRsForWavesPerEU: 46
; NumVGPRsForWavesPerEU: 27
; Occupancy: 16
; WaveLimiterHint : 1
; COMPUTE_PGM_RSRC2:SCRATCH_EN: 0
; COMPUTE_PGM_RSRC2:USER_SGPR: 15
; COMPUTE_PGM_RSRC2:TRAP_HANDLER: 0
; COMPUTE_PGM_RSRC2:TGID_X_EN: 1
; COMPUTE_PGM_RSRC2:TGID_Y_EN: 0
; COMPUTE_PGM_RSRC2:TGID_Z_EN: 0
; COMPUTE_PGM_RSRC2:TIDIG_COMP_CNT: 0
	.section	.text._ZL33csrmvn_symm_large_adaptive_kernelIll21rocsparse_complex_numIfES1_S1_S1_EvbT_PKS2_N9rocsparse24const_host_device_scalarIT4_EES4_PKT0_PKT1_PKT2_S8_PT3_21rocsparse_index_base_b,"axG",@progbits,_ZL33csrmvn_symm_large_adaptive_kernelIll21rocsparse_complex_numIfES1_S1_S1_EvbT_PKS2_N9rocsparse24const_host_device_scalarIT4_EES4_PKT0_PKT1_PKT2_S8_PT3_21rocsparse_index_base_b,comdat
	.globl	_ZL33csrmvn_symm_large_adaptive_kernelIll21rocsparse_complex_numIfES1_S1_S1_EvbT_PKS2_N9rocsparse24const_host_device_scalarIT4_EES4_PKT0_PKT1_PKT2_S8_PT3_21rocsparse_index_base_b ; -- Begin function _ZL33csrmvn_symm_large_adaptive_kernelIll21rocsparse_complex_numIfES1_S1_S1_EvbT_PKS2_N9rocsparse24const_host_device_scalarIT4_EES4_PKT0_PKT1_PKT2_S8_PT3_21rocsparse_index_base_b
	.p2align	8
	.type	_ZL33csrmvn_symm_large_adaptive_kernelIll21rocsparse_complex_numIfES1_S1_S1_EvbT_PKS2_N9rocsparse24const_host_device_scalarIT4_EES4_PKT0_PKT1_PKT2_S8_PT3_21rocsparse_index_base_b,@function
_ZL33csrmvn_symm_large_adaptive_kernelIll21rocsparse_complex_numIfES1_S1_S1_EvbT_PKS2_N9rocsparse24const_host_device_scalarIT4_EES4_PKT0_PKT1_PKT2_S8_PT3_21rocsparse_index_base_b: ; @_ZL33csrmvn_symm_large_adaptive_kernelIll21rocsparse_complex_numIfES1_S1_S1_EvbT_PKS2_N9rocsparse24const_host_device_scalarIT4_EES4_PKT0_PKT1_PKT2_S8_PT3_21rocsparse_index_base_b
; %bb.0:
	s_clause 0x2
	s_load_b64 s[6:7], s[0:1], 0x50
	s_load_b64 s[8:9], s[0:1], 0x18
	;; [unrolled: 1-line block ×3, first 2 shown]
	s_mov_b32 s4, s15
	s_waitcnt lgkmcnt(0)
	s_bitcmp1_b32 s7, 0
	v_mov_b32_e32 v8, s8
	s_cselect_b32 s5, -1, 0
	s_delay_alu instid0(SALU_CYCLE_1)
	s_and_b32 vcc_lo, exec_lo, s5
	s_xor_b32 s5, s5, -1
	s_cbranch_vccz .LBB32_10
; %bb.1:
	v_cndmask_b32_e64 v2, 0, 1, s5
	v_mov_b32_e32 v9, s9
	s_and_not1_b32 vcc_lo, exec_lo, s5
	s_cbranch_vccz .LBB32_11
.LBB32_2:
	s_delay_alu instid0(VALU_DEP_2)
	v_cmp_ne_u32_e32 vcc_lo, 1, v2
	v_mov_b32_e32 v1, s2
	s_cbranch_vccz .LBB32_12
.LBB32_3:
	v_cmp_ne_u32_e32 vcc_lo, 1, v2
	v_mov_b32_e32 v2, s3
	s_cbranch_vccnz .LBB32_5
.LBB32_4:
	v_dual_mov_b32 v2, s2 :: v_dual_mov_b32 v3, s3
	flat_load_b32 v2, v[2:3] offset:4
.LBB32_5:
	s_waitcnt vmcnt(0) lgkmcnt(0)
	v_cmp_eq_f32_e32 vcc_lo, 0, v8
	v_cmp_eq_f32_e64 s2, 0, v9
	s_delay_alu instid0(VALU_DEP_1)
	s_and_b32 s5, vcc_lo, s2
	s_mov_b32 s2, -1
	s_and_saveexec_b32 s3, s5
; %bb.6:
	v_and_b32_e32 v2, 0x7fffffff, v2
	v_cmp_neq_f32_e32 vcc_lo, 1.0, v1
	s_delay_alu instid0(VALU_DEP_2) | instskip(NEXT) | instid1(VALU_DEP_1)
	v_cmp_ne_u32_e64 s2, 0, v2
	s_or_b32 s2, vcc_lo, s2
	s_delay_alu instid0(SALU_CYCLE_1)
	s_or_not1_b32 s2, s2, exec_lo
; %bb.7:
	s_or_b32 exec_lo, exec_lo, s3
	s_and_saveexec_b32 s3, s2
	s_cbranch_execz .LBB32_55
; %bb.8:
	s_clause 0x1
	s_load_b32 s5, s[0:1], 0x0
	s_load_b64 s[8:9], s[0:1], 0x10
	s_mov_b32 s2, 0
	s_delay_alu instid0(SALU_CYCLE_1)
	s_mov_b32 s3, s2
	v_dual_mov_b32 v1, s2 :: v_dual_lshlrev_b32 v10, 3, v0
	v_mov_b32_e32 v2, s3
	ds_store_2addr_stride64_b64 v10, v[1:2], v[1:2] offset1:4
	ds_store_2addr_stride64_b64 v10, v[1:2], v[1:2] offset0:8 offset1:12
	s_waitcnt lgkmcnt(0)
	s_barrier
	buffer_gl0_inv
	s_bitcmp1_b32 s5, 0
	s_cselect_b32 s7, -1, 0
	s_ashr_i32 s5, s4, 31
	s_delay_alu instid0(SALU_CYCLE_1) | instskip(NEXT) | instid1(SALU_CYCLE_1)
	s_lshl_b64 s[4:5], s[4:5], 3
	s_add_u32 s4, s8, s4
	s_addc_u32 s5, s9, s5
	s_load_b128 s[16:19], s[4:5], 0x0
	s_clause 0x1
	s_load_b256 s[8:15], s[0:1], 0x20
	s_load_b64 s[20:21], s[0:1], 0x48
	v_sub_co_u32 v11, s1, v0, s6
	s_delay_alu instid0(VALU_DEP_1) | instskip(SKIP_2) | instid1(VALU_DEP_1)
	v_sub_co_ci_u32_e64 v12, null, 0, 0, s1
	s_waitcnt lgkmcnt(0)
	v_cmp_lt_i64_e64 s0, s[16:17], s[18:19]
	s_and_b32 vcc_lo, exec_lo, s0
	s_cbranch_vccnz .LBB32_13
; %bb.9:
	s_lshl_b64 s[0:1], s[16:17], 3
	s_delay_alu instid0(SALU_CYCLE_1)
	s_add_u32 s0, s8, s0
	s_addc_u32 s1, s9, s1
	s_load_b64 s[22:23], s[0:1], 0x0
	s_and_not1_b32 vcc_lo, exec_lo, s2
	s_cbranch_vccz .LBB32_14
	s_branch .LBB32_43
.LBB32_10:
	v_dual_mov_b32 v1, s8 :: v_dual_mov_b32 v2, s9
	flat_load_b32 v8, v[1:2]
	v_cndmask_b32_e64 v2, 0, 1, s5
	v_mov_b32_e32 v9, s9
	s_and_not1_b32 vcc_lo, exec_lo, s5
	s_cbranch_vccnz .LBB32_2
.LBB32_11:
	v_dual_mov_b32 v3, s8 :: v_dual_mov_b32 v4, s9
	flat_load_b32 v9, v[3:4] offset:4
	v_cmp_ne_u32_e32 vcc_lo, 1, v2
	v_mov_b32_e32 v1, s2
	s_cbranch_vccnz .LBB32_3
.LBB32_12:
	v_dual_mov_b32 v4, s3 :: v_dual_mov_b32 v3, s2
	flat_load_b32 v1, v[3:4]
	v_cmp_ne_u32_e32 vcc_lo, 1, v2
	v_mov_b32_e32 v2, s3
	s_cbranch_vccz .LBB32_4
	s_branch .LBB32_5
.LBB32_13:
                                        ; implicit-def: $sgpr22_sgpr23
.LBB32_14:
	s_lshl_b64 s[0:1], s[16:17], 3
	v_cmp_gt_u32_e64 s2, 16, v0
	s_add_u32 s0, s8, s0
	s_addc_u32 s1, s9, s1
	v_cmp_gt_u32_e64 s3, 4, v0
	s_waitcnt lgkmcnt(0)
	s_load_b64 s[22:23], s[0:1], 0x0
	v_cmp_gt_u32_e64 s0, 0x100, v0
	v_cmp_gt_u32_e64 s1, 64, v0
	v_cmp_eq_u32_e64 s4, 0, v0
	v_mov_b32_e32 v13, 0
	s_add_u32 s33, s8, 8
	s_addc_u32 s34, s9, 0
	s_add_u32 s35, s12, 4
	s_addc_u32 s36, s13, 0
	s_mov_b64 s[24:25], s[16:17]
	s_waitcnt lgkmcnt(0)
	s_mov_b64 s[26:27], s[22:23]
	s_branch .LBB32_16
.LBB32_15:                              ;   in Loop: Header=BB32_16 Depth=1
	s_or_b32 exec_lo, exec_lo, s5
	s_add_u32 s24, s24, 1
	s_addc_u32 s25, s25, 0
	s_delay_alu instid0(SALU_CYCLE_1) | instskip(NEXT) | instid1(VALU_DEP_1)
	v_cmp_ge_i64_e64 s5, s[24:25], s[18:19]
	s_and_b32 vcc_lo, exec_lo, s5
	s_cbranch_vccnz .LBB32_43
.LBB32_16:                              ; =>This Loop Header: Depth=1
                                        ;     Child Loop BB32_18 Depth 2
                                        ;     Child Loop BB32_32 Depth 2
	;; [unrolled: 1-line block ×5, first 2 shown]
	s_lshl_b64 s[28:29], s[24:25], 3
	s_mov_b64 s[38:39], s[26:27]
	s_add_u32 s30, s33, s28
	s_addc_u32 s31, s34, s29
	v_add_co_u32 v0, vcc_lo, s38, v11
	s_load_b64 s[26:27], s[30:31], 0x0
	v_add_co_ci_u32_e32 v1, vcc_lo, s39, v12, vcc_lo
	v_dual_mov_b32 v3, 0 :: v_dual_mov_b32 v2, 0
	s_mov_b32 s37, exec_lo
	s_waitcnt lgkmcnt(0)
	s_sub_u32 s30, s26, s6
	s_subb_u32 s31, s27, 0
	s_delay_alu instid0(SALU_CYCLE_1)
	v_cmpx_gt_i64_e64 s[30:31], v[0:1]
	s_cbranch_execz .LBB32_20
; %bb.17:                               ;   in Loop: Header=BB32_16 Depth=1
	v_lshlrev_b64 v[6:7], 3, v[0:1]
	v_mov_b32_e32 v3, 0
	s_mov_b32 s38, 0
	s_delay_alu instid0(VALU_DEP_1) | instskip(NEXT) | instid1(VALU_DEP_3)
	v_mov_b32_e32 v2, v3
	v_add_co_u32 v4, vcc_lo, s10, v6
	s_delay_alu instid0(VALU_DEP_4)
	v_add_co_ci_u32_e32 v5, vcc_lo, s11, v7, vcc_lo
	v_add_co_u32 v6, vcc_lo, s35, v6
	v_add_co_ci_u32_e32 v7, vcc_lo, s36, v7, vcc_lo
	s_set_inst_prefetch_distance 0x1
	.p2align	6
.LBB32_18:                              ;   Parent Loop BB32_16 Depth=1
                                        ; =>  This Inner Loop Header: Depth=2
	global_load_b64 v[14:15], v[4:5], off
	global_load_b64 v[16:17], v[6:7], off offset:-4
	s_waitcnt vmcnt(1)
	v_sub_co_u32 v14, vcc_lo, v14, s6
	v_subrev_co_ci_u32_e32 v15, vcc_lo, 0, v15, vcc_lo
	s_waitcnt vmcnt(0)
	v_cndmask_b32_e64 v17, v17, -v17, s7
	s_delay_alu instid0(VALU_DEP_2) | instskip(NEXT) | instid1(VALU_DEP_1)
	v_lshlrev_b64 v[14:15], 3, v[14:15]
	v_add_co_u32 v14, vcc_lo, s14, v14
	s_delay_alu instid0(VALU_DEP_2)
	v_add_co_ci_u32_e32 v15, vcc_lo, s15, v15, vcc_lo
	v_add_co_u32 v0, vcc_lo, 0x100, v0
	v_add_co_ci_u32_e32 v1, vcc_lo, 0, v1, vcc_lo
	global_load_b64 v[14:15], v[14:15], off
	v_add_co_u32 v4, vcc_lo, 0x800, v4
	v_add_co_ci_u32_e32 v5, vcc_lo, 0, v5, vcc_lo
	v_cmp_le_i64_e64 s5, s[30:31], v[0:1]
	v_add_co_u32 v6, vcc_lo, 0x800, v6
	v_add_co_ci_u32_e32 v7, vcc_lo, 0, v7, vcc_lo
	s_delay_alu instid0(VALU_DEP_3) | instskip(SKIP_3) | instid1(VALU_DEP_2)
	s_or_b32 s38, s5, s38
	s_waitcnt vmcnt(0)
	v_fmac_f32_e32 v2, v16, v14
	v_fmac_f32_e32 v3, v17, v14
	v_fma_f32 v2, -v17, v15, v2
	s_delay_alu instid0(VALU_DEP_2)
	v_fmac_f32_e32 v3, v16, v15
	s_and_not1_b32 exec_lo, exec_lo, s38
	s_cbranch_execnz .LBB32_18
; %bb.19:                               ;   in Loop: Header=BB32_16 Depth=1
	s_set_inst_prefetch_distance 0x2
	s_or_b32 exec_lo, exec_lo, s38
.LBB32_20:                              ;   in Loop: Header=BB32_16 Depth=1
	s_delay_alu instid0(SALU_CYCLE_1)
	s_or_b32 exec_lo, exec_lo, s37
	ds_store_b64 v10, v[2:3]
	s_waitcnt lgkmcnt(0)
	s_barrier
	buffer_gl0_inv
	s_and_saveexec_b32 s5, s0
	s_cbranch_execz .LBB32_22
; %bb.21:                               ;   in Loop: Header=BB32_16 Depth=1
	ds_load_2addr_stride64_b64 v[0:3], v10 offset1:4
	ds_load_2addr_stride64_b64 v[4:7], v10 offset0:8 offset1:12
	s_waitcnt lgkmcnt(0)
	v_dual_add_f32 v2, v4, v2 :: v_dual_add_f32 v3, v5, v3
	s_delay_alu instid0(VALU_DEP_1) | instskip(NEXT) | instid1(VALU_DEP_1)
	v_dual_add_f32 v2, v2, v6 :: v_dual_add_f32 v3, v3, v7
	v_dual_add_f32 v0, v2, v0 :: v_dual_add_f32 v1, v3, v1
	ds_store_b64 v10, v[0:1]
.LBB32_22:                              ;   in Loop: Header=BB32_16 Depth=1
	s_or_b32 exec_lo, exec_lo, s5
	s_waitcnt lgkmcnt(0)
	s_barrier
	buffer_gl0_inv
	s_and_saveexec_b32 s5, s1
	s_cbranch_execz .LBB32_24
; %bb.23:                               ;   in Loop: Header=BB32_16 Depth=1
	ds_load_2addr_stride64_b64 v[0:3], v10 offset1:1
	ds_load_2addr_stride64_b64 v[4:7], v10 offset0:2 offset1:3
	s_waitcnt lgkmcnt(0)
	v_dual_add_f32 v2, v4, v2 :: v_dual_add_f32 v3, v5, v3
	s_delay_alu instid0(VALU_DEP_1) | instskip(NEXT) | instid1(VALU_DEP_1)
	v_dual_add_f32 v2, v2, v6 :: v_dual_add_f32 v3, v3, v7
	v_dual_add_f32 v0, v2, v0 :: v_dual_add_f32 v1, v3, v1
	ds_store_b64 v10, v[0:1]
.LBB32_24:                              ;   in Loop: Header=BB32_16 Depth=1
	s_or_b32 exec_lo, exec_lo, s5
	s_waitcnt lgkmcnt(0)
	s_barrier
	buffer_gl0_inv
	s_and_saveexec_b32 s5, s2
	s_cbranch_execz .LBB32_26
; %bb.25:                               ;   in Loop: Header=BB32_16 Depth=1
	ds_load_2addr_b64 v[0:3], v10 offset1:16
	ds_load_2addr_b64 v[4:7], v10 offset0:32 offset1:48
	s_waitcnt lgkmcnt(0)
	v_dual_add_f32 v2, v4, v2 :: v_dual_add_f32 v3, v5, v3
	s_delay_alu instid0(VALU_DEP_1) | instskip(NEXT) | instid1(VALU_DEP_1)
	v_dual_add_f32 v2, v2, v6 :: v_dual_add_f32 v3, v3, v7
	v_dual_add_f32 v0, v2, v0 :: v_dual_add_f32 v1, v3, v1
	ds_store_b64 v10, v[0:1]
.LBB32_26:                              ;   in Loop: Header=BB32_16 Depth=1
	s_or_b32 exec_lo, exec_lo, s5
	s_waitcnt lgkmcnt(0)
	s_barrier
	buffer_gl0_inv
	s_and_saveexec_b32 s5, s3
	s_cbranch_execz .LBB32_28
; %bb.27:                               ;   in Loop: Header=BB32_16 Depth=1
	ds_load_2addr_b64 v[0:3], v10 offset1:4
	ds_load_2addr_b64 v[4:7], v10 offset0:8 offset1:12
	s_waitcnt lgkmcnt(0)
	v_dual_add_f32 v2, v4, v2 :: v_dual_add_f32 v3, v5, v3
	s_delay_alu instid0(VALU_DEP_1) | instskip(NEXT) | instid1(VALU_DEP_1)
	v_dual_add_f32 v2, v2, v6 :: v_dual_add_f32 v3, v3, v7
	v_dual_add_f32 v0, v2, v0 :: v_dual_add_f32 v1, v3, v1
	ds_store_b64 v10, v[0:1]
.LBB32_28:                              ;   in Loop: Header=BB32_16 Depth=1
	s_or_b32 exec_lo, exec_lo, s5
	s_waitcnt lgkmcnt(0)
	s_barrier
	buffer_gl0_inv
	s_and_saveexec_b32 s5, s4
	s_cbranch_execz .LBB32_30
; %bb.29:                               ;   in Loop: Header=BB32_16 Depth=1
	ds_load_b128 v[0:3], v13 offset:16
	ds_load_b64 v[4:5], v13 offset:8
	ds_load_b64 v[6:7], v10
	s_waitcnt lgkmcnt(1)
	v_dual_add_f32 v0, v0, v4 :: v_dual_add_f32 v1, v1, v5
	s_delay_alu instid0(VALU_DEP_1) | instskip(SKIP_1) | instid1(VALU_DEP_1)
	v_dual_add_f32 v0, v0, v2 :: v_dual_add_f32 v1, v1, v3
	s_waitcnt lgkmcnt(0)
	v_dual_add_f32 v0, v0, v6 :: v_dual_add_f32 v1, v1, v7
	ds_store_b64 v10, v[0:1]
.LBB32_30:                              ;   in Loop: Header=BB32_16 Depth=1
	s_or_b32 exec_lo, exec_lo, s5
	s_waitcnt lgkmcnt(0)
	s_barrier
	buffer_gl0_inv
	s_and_saveexec_b32 s5, s4
	s_cbranch_execz .LBB32_15
; %bb.31:                               ;   in Loop: Header=BB32_16 Depth=1
	ds_load_b64 v[0:1], v13
	v_bfrev_b32_e32 v4, 1
	s_mov_b32 s30, exec_lo
	s_waitcnt lgkmcnt(0)
	v_mul_f32_e64 v2, v1, -v9
	s_delay_alu instid0(VALU_DEP_1)
	v_fmac_f32_e32 v2, v8, v0
.LBB32_32:                              ;   Parent Loop BB32_16 Depth=1
                                        ; =>  This Inner Loop Header: Depth=2
	s_ctz_i32_b32 s31, s30
	s_delay_alu instid0(VALU_DEP_1) | instid1(SALU_CYCLE_1)
	v_readlane_b32 s37, v2, s31
	s_lshl_b32 s31, 1, s31
	s_delay_alu instid0(SALU_CYCLE_1) | instskip(NEXT) | instid1(SALU_CYCLE_1)
	s_and_not1_b32 s30, s30, s31
	s_cmp_lg_u32 s30, 0
	s_delay_alu instid0(VALU_DEP_1)
	v_add_f32_e32 v4, s37, v4
	s_cbranch_scc1 .LBB32_32
; %bb.33:                               ;   in Loop: Header=BB32_16 Depth=1
	v_mbcnt_lo_u32_b32 v2, exec_lo, 0
	s_add_u32 s28, s20, s28
	s_addc_u32 s29, s21, s29
	s_mov_b32 s30, exec_lo
	s_delay_alu instid0(VALU_DEP_1)
	v_cmpx_eq_u32_e32 0, v2
	s_xor_b32 s30, exec_lo, s30
	s_cbranch_execz .LBB32_37
; %bb.34:                               ;   in Loop: Header=BB32_16 Depth=1
	global_load_b32 v3, v13, s[28:29]
	s_mov_b32 s31, 0
.LBB32_35:                              ;   Parent Loop BB32_16 Depth=1
                                        ; =>  This Inner Loop Header: Depth=2
	s_waitcnt vmcnt(0)
	v_add_f32_e32 v2, v3, v4
	global_atomic_cmpswap_b32 v2, v13, v[2:3], s[28:29] glc
	s_waitcnt vmcnt(0)
	v_cmp_eq_u32_e32 vcc_lo, v2, v3
	v_mov_b32_e32 v3, v2
	s_or_b32 s31, vcc_lo, s31
	s_delay_alu instid0(SALU_CYCLE_1)
	s_and_not1_b32 exec_lo, exec_lo, s31
	s_cbranch_execnz .LBB32_35
; %bb.36:                               ;   in Loop: Header=BB32_16 Depth=1
	s_or_b32 exec_lo, exec_lo, s31
.LBB32_37:                              ;   in Loop: Header=BB32_16 Depth=1
	s_delay_alu instid0(SALU_CYCLE_1) | instskip(SKIP_3) | instid1(VALU_DEP_2)
	s_or_b32 exec_lo, exec_lo, s30
	v_mul_f32_e32 v1, v1, v8
	v_bfrev_b32_e32 v2, 1
	s_mov_b32 s30, exec_lo
	v_fmac_f32_e32 v1, v9, v0
.LBB32_38:                              ;   Parent Loop BB32_16 Depth=1
                                        ; =>  This Inner Loop Header: Depth=2
	s_ctz_i32_b32 s31, s30
	s_delay_alu instid0(VALU_DEP_1) | instid1(SALU_CYCLE_1)
	v_readlane_b32 s37, v1, s31
	s_lshl_b32 s31, 1, s31
	s_delay_alu instid0(SALU_CYCLE_1) | instskip(NEXT) | instid1(SALU_CYCLE_1)
	s_and_not1_b32 s30, s30, s31
	s_cmp_lg_u32 s30, 0
	s_delay_alu instid0(VALU_DEP_1)
	v_add_f32_e32 v2, s37, v2
	s_cbranch_scc1 .LBB32_38
; %bb.39:                               ;   in Loop: Header=BB32_16 Depth=1
	v_mbcnt_lo_u32_b32 v0, exec_lo, 0
	s_mov_b32 s30, exec_lo
	s_delay_alu instid0(VALU_DEP_1)
	v_cmpx_eq_u32_e32 0, v0
	s_xor_b32 s30, exec_lo, s30
	s_cbranch_execz .LBB32_15
; %bb.40:                               ;   in Loop: Header=BB32_16 Depth=1
	global_load_b32 v1, v13, s[28:29] offset:4
	s_mov_b32 s30, 0
.LBB32_41:                              ;   Parent Loop BB32_16 Depth=1
                                        ; =>  This Inner Loop Header: Depth=2
	s_waitcnt vmcnt(0)
	v_add_f32_e32 v0, v1, v2
	global_atomic_cmpswap_b32 v0, v13, v[0:1], s[28:29] offset:4 glc
	s_waitcnt vmcnt(0)
	v_cmp_eq_u32_e32 vcc_lo, v0, v1
	v_mov_b32_e32 v1, v0
	s_or_b32 s30, vcc_lo, s30
	s_delay_alu instid0(SALU_CYCLE_1)
	s_and_not1_b32 exec_lo, exec_lo, s30
	s_cbranch_execnz .LBB32_41
; %bb.42:                               ;   in Loop: Header=BB32_16 Depth=1
	s_or_b32 exec_lo, exec_lo, s30
	s_branch .LBB32_15
.LBB32_43:
	s_lshl_b64 s[0:1], s[18:19], 3
	s_waitcnt lgkmcnt(0)
	v_add_co_u32 v0, vcc_lo, s22, v11
	s_add_u32 s0, s8, s0
	s_addc_u32 s1, s9, s1
	v_add_co_ci_u32_e32 v1, vcc_lo, s23, v12, vcc_lo
	s_load_b64 s[0:1], s[0:1], 0x0
	s_waitcnt lgkmcnt(0)
	s_sub_u32 s2, s0, s6
	s_subb_u32 s3, s1, 0
	s_delay_alu instid0(SALU_CYCLE_1)
	v_cmp_gt_i64_e32 vcc_lo, s[2:3], v[0:1]
	s_and_b32 exec_lo, exec_lo, vcc_lo
	s_cbranch_execz .LBB32_55
; %bb.44:
	s_add_u32 s4, s18, -1
	s_addc_u32 s5, s19, -1
	s_add_u32 s0, s18, -2
	v_cmp_gt_i64_e64 s18, s[4:5], s[16:17]
	s_addc_u32 s1, s19, -1
	s_delay_alu instid0(SALU_CYCLE_1)
	s_cmp_lg_u64 s[0:1], s[16:17]
	s_cselect_b32 s0, -1, 0
	s_delay_alu instid0(VALU_DEP_1) | instid1(SALU_CYCLE_1)
	s_and_b32 s1, s18, s0
	s_mov_b32 s18, 0
	s_branch .LBB32_46
.LBB32_45:                              ;   in Loop: Header=BB32_46 Depth=1
	s_or_b32 exec_lo, exec_lo, s0
	v_add_co_u32 v0, vcc_lo, 0x100, v0
	v_add_co_ci_u32_e32 v1, vcc_lo, 0, v1, vcc_lo
	s_delay_alu instid0(VALU_DEP_1) | instskip(SKIP_1) | instid1(SALU_CYCLE_1)
	v_cmp_le_i64_e32 vcc_lo, s[2:3], v[0:1]
	s_or_b32 s18, vcc_lo, s18
	s_and_not1_b32 exec_lo, exec_lo, s18
	s_cbranch_execz .LBB32_55
.LBB32_46:                              ; =>This Loop Header: Depth=1
                                        ;     Child Loop BB32_48 Depth 2
                                        ;     Child Loop BB32_52 Depth 2
	;; [unrolled: 1-line block ×3, first 2 shown]
	v_dual_mov_b32 v2, s16 :: v_dual_mov_b32 v3, s17
	v_dual_mov_b32 v4, s4 :: v_dual_mov_b32 v5, s5
	s_and_not1_b32 vcc_lo, exec_lo, s1
	s_cbranch_vccnz .LBB32_50
; %bb.47:                               ;   in Loop: Header=BB32_46 Depth=1
	v_dual_mov_b32 v2, s16 :: v_dual_mov_b32 v3, s17
	v_dual_mov_b32 v4, s4 :: v_dual_mov_b32 v5, s5
	s_mov_b32 s19, 0
	s_set_inst_prefetch_distance 0x1
	.p2align	6
.LBB32_48:                              ;   Parent Loop BB32_46 Depth=1
                                        ; =>  This Inner Loop Header: Depth=2
	s_delay_alu instid0(VALU_DEP_1) | instskip(NEXT) | instid1(VALU_DEP_2)
	v_add_co_u32 v6, vcc_lo, v4, v2
	v_add_co_ci_u32_e32 v7, vcc_lo, v5, v3, vcc_lo
	s_delay_alu instid0(VALU_DEP_1) | instskip(NEXT) | instid1(VALU_DEP_1)
	v_lshrrev_b32_e32 v10, 31, v7
	v_add_co_u32 v6, vcc_lo, v6, v10
	v_add_co_ci_u32_e32 v7, vcc_lo, 0, v7, vcc_lo
	s_delay_alu instid0(VALU_DEP_1) | instskip(NEXT) | instid1(VALU_DEP_1)
	v_ashrrev_i64 v[6:7], 1, v[6:7]
	v_lshlrev_b64 v[10:11], 3, v[6:7]
	s_delay_alu instid0(VALU_DEP_1) | instskip(NEXT) | instid1(VALU_DEP_2)
	v_add_co_u32 v10, vcc_lo, s8, v10
	v_add_co_ci_u32_e32 v11, vcc_lo, s9, v11, vcc_lo
	global_load_b64 v[10:11], v[10:11], off
	s_waitcnt vmcnt(0)
	v_sub_co_u32 v10, vcc_lo, v10, s6
	v_subrev_co_ci_u32_e32 v11, vcc_lo, 0, v11, vcc_lo
	s_delay_alu instid0(VALU_DEP_1) | instskip(SKIP_2) | instid1(VALU_DEP_2)
	v_cmp_gt_i64_e32 vcc_lo, v[10:11], v[0:1]
	v_dual_cndmask_b32 v5, v5, v7 :: v_dual_cndmask_b32 v4, v4, v6
	v_dual_cndmask_b32 v3, v7, v3 :: v_dual_cndmask_b32 v2, v6, v2
	v_add_co_u32 v6, vcc_lo, v4, -1
	s_delay_alu instid0(VALU_DEP_3) | instskip(NEXT) | instid1(VALU_DEP_3)
	v_add_co_ci_u32_e32 v7, vcc_lo, -1, v5, vcc_lo
	v_cmp_ge_i64_e32 vcc_lo, v[2:3], v[4:5]
	s_delay_alu instid0(VALU_DEP_2) | instskip(NEXT) | instid1(VALU_DEP_1)
	v_cmp_eq_u64_e64 s0, v[2:3], v[6:7]
	s_or_b32 s0, vcc_lo, s0
	s_delay_alu instid0(SALU_CYCLE_1) | instskip(NEXT) | instid1(SALU_CYCLE_1)
	s_and_b32 s0, exec_lo, s0
	s_or_b32 s19, s0, s19
	s_delay_alu instid0(SALU_CYCLE_1)
	s_and_not1_b32 exec_lo, exec_lo, s19
	s_cbranch_execnz .LBB32_48
; %bb.49:                               ;   in Loop: Header=BB32_46 Depth=1
	s_set_inst_prefetch_distance 0x2
	s_or_b32 exec_lo, exec_lo, s19
.LBB32_50:                              ;   in Loop: Header=BB32_46 Depth=1
	s_delay_alu instid0(VALU_DEP_1) | instskip(SKIP_1) | instid1(VALU_DEP_1)
	v_lshlrev_b64 v[6:7], 3, v[4:5]
	s_mov_b32 s0, exec_lo
	v_add_co_u32 v6, vcc_lo, s8, v6
	s_delay_alu instid0(VALU_DEP_2) | instskip(SKIP_2) | instid1(VALU_DEP_1)
	v_add_co_ci_u32_e32 v7, vcc_lo, s9, v7, vcc_lo
	global_load_b64 v[10:11], v[6:7], off
	v_lshlrev_b64 v[6:7], 3, v[0:1]
	v_add_co_u32 v12, vcc_lo, s10, v6
	s_delay_alu instid0(VALU_DEP_2) | instskip(SKIP_4) | instid1(VALU_DEP_1)
	v_add_co_ci_u32_e32 v13, vcc_lo, s11, v7, vcc_lo
	global_load_b64 v[12:13], v[12:13], off
	s_waitcnt vmcnt(1)
	v_sub_co_u32 v10, vcc_lo, v10, s6
	v_subrev_co_ci_u32_e32 v11, vcc_lo, 0, v11, vcc_lo
	v_cmp_gt_i64_e32 vcc_lo, v[10:11], v[0:1]
	v_dual_cndmask_b32 v5, v5, v3 :: v_dual_cndmask_b32 v4, v4, v2
	s_waitcnt vmcnt(0)
	v_sub_co_u32 v2, vcc_lo, v12, s6
	v_subrev_co_ci_u32_e32 v3, vcc_lo, 0, v13, vcc_lo
	s_delay_alu instid0(VALU_DEP_1)
	v_cmpx_ne_u64_e64 v[2:3], v[4:5]
	s_cbranch_execz .LBB32_45
; %bb.51:                               ;   in Loop: Header=BB32_46 Depth=1
	v_add_co_u32 v6, vcc_lo, s12, v6
	v_add_co_ci_u32_e32 v7, vcc_lo, s13, v7, vcc_lo
	v_lshlrev_b64 v[4:5], 3, v[4:5]
	v_lshlrev_b64 v[2:3], 3, v[2:3]
	s_mov_b32 s19, 0
	global_load_b64 v[12:13], v[6:7], off
	v_add_co_u32 v4, vcc_lo, s14, v4
	v_add_co_ci_u32_e32 v5, vcc_lo, s15, v5, vcc_lo
	v_add_co_u32 v2, vcc_lo, s20, v2
	v_add_co_ci_u32_e32 v3, vcc_lo, s21, v3, vcc_lo
	global_load_b64 v[4:5], v[4:5], off
	global_load_b32 v7, v[2:3], off
	s_waitcnt vmcnt(2)
	v_cndmask_b32_e64 v6, v13, -v13, s7
	s_delay_alu instid0(VALU_DEP_1) | instskip(SKIP_1) | instid1(VALU_DEP_2)
	v_mul_f32_e32 v10, v6, v8
	v_mul_f32_e64 v11, v6, -v9
	v_fmac_f32_e32 v10, v9, v12
	s_delay_alu instid0(VALU_DEP_2) | instskip(SKIP_1) | instid1(VALU_DEP_2)
	v_fmac_f32_e32 v11, v8, v12
	s_waitcnt vmcnt(1)
	v_mul_f32_e64 v12, v5, -v10
	s_delay_alu instid0(VALU_DEP_1)
	v_fmac_f32_e32 v12, v11, v4
.LBB32_52:                              ;   Parent Loop BB32_46 Depth=1
                                        ; =>  This Inner Loop Header: Depth=2
	s_waitcnt vmcnt(0)
	s_delay_alu instid0(VALU_DEP_1)
	v_add_f32_e32 v6, v7, v12
	global_atomic_cmpswap_b32 v6, v[2:3], v[6:7], off glc
	s_waitcnt vmcnt(0)
	v_cmp_eq_u32_e32 vcc_lo, v6, v7
	v_mov_b32_e32 v7, v6
	s_or_b32 s19, vcc_lo, s19
	s_delay_alu instid0(SALU_CYCLE_1)
	s_and_not1_b32 exec_lo, exec_lo, s19
	s_cbranch_execnz .LBB32_52
; %bb.53:                               ;   in Loop: Header=BB32_46 Depth=1
	s_or_b32 exec_lo, exec_lo, s19
	global_load_b32 v6, v[2:3], off offset:4
	v_mul_f32_e32 v7, v5, v11
	s_mov_b32 s19, 0
	s_delay_alu instid0(VALU_DEP_1)
	v_fmac_f32_e32 v7, v10, v4
.LBB32_54:                              ;   Parent Loop BB32_46 Depth=1
                                        ; =>  This Inner Loop Header: Depth=2
	s_waitcnt vmcnt(0)
	s_delay_alu instid0(VALU_DEP_1)
	v_add_f32_e32 v5, v6, v7
	global_atomic_cmpswap_b32 v4, v[2:3], v[5:6], off offset:4 glc
	s_waitcnt vmcnt(0)
	v_cmp_eq_u32_e32 vcc_lo, v4, v6
	v_mov_b32_e32 v6, v4
	s_or_b32 s19, vcc_lo, s19
	s_delay_alu instid0(SALU_CYCLE_1)
	s_and_not1_b32 exec_lo, exec_lo, s19
	s_cbranch_execnz .LBB32_54
	s_branch .LBB32_45
.LBB32_55:
	s_endpgm
	.section	.rodata,"a",@progbits
	.p2align	6, 0x0
	.amdhsa_kernel _ZL33csrmvn_symm_large_adaptive_kernelIll21rocsparse_complex_numIfES1_S1_S1_EvbT_PKS2_N9rocsparse24const_host_device_scalarIT4_EES4_PKT0_PKT1_PKT2_S8_PT3_21rocsparse_index_base_b
		.amdhsa_group_segment_fixed_size 8192
		.amdhsa_private_segment_fixed_size 0
		.amdhsa_kernarg_size 88
		.amdhsa_user_sgpr_count 15
		.amdhsa_user_sgpr_dispatch_ptr 0
		.amdhsa_user_sgpr_queue_ptr 0
		.amdhsa_user_sgpr_kernarg_segment_ptr 1
		.amdhsa_user_sgpr_dispatch_id 0
		.amdhsa_user_sgpr_private_segment_size 0
		.amdhsa_wavefront_size32 1
		.amdhsa_uses_dynamic_stack 0
		.amdhsa_enable_private_segment 0
		.amdhsa_system_sgpr_workgroup_id_x 1
		.amdhsa_system_sgpr_workgroup_id_y 0
		.amdhsa_system_sgpr_workgroup_id_z 0
		.amdhsa_system_sgpr_workgroup_info 0
		.amdhsa_system_vgpr_workitem_id 0
		.amdhsa_next_free_vgpr 18
		.amdhsa_next_free_sgpr 40
		.amdhsa_reserve_vcc 1
		.amdhsa_float_round_mode_32 0
		.amdhsa_float_round_mode_16_64 0
		.amdhsa_float_denorm_mode_32 3
		.amdhsa_float_denorm_mode_16_64 3
		.amdhsa_dx10_clamp 1
		.amdhsa_ieee_mode 1
		.amdhsa_fp16_overflow 0
		.amdhsa_workgroup_processor_mode 1
		.amdhsa_memory_ordered 1
		.amdhsa_forward_progress 0
		.amdhsa_shared_vgpr_count 0
		.amdhsa_exception_fp_ieee_invalid_op 0
		.amdhsa_exception_fp_denorm_src 0
		.amdhsa_exception_fp_ieee_div_zero 0
		.amdhsa_exception_fp_ieee_overflow 0
		.amdhsa_exception_fp_ieee_underflow 0
		.amdhsa_exception_fp_ieee_inexact 0
		.amdhsa_exception_int_div_zero 0
	.end_amdhsa_kernel
	.section	.text._ZL33csrmvn_symm_large_adaptive_kernelIll21rocsparse_complex_numIfES1_S1_S1_EvbT_PKS2_N9rocsparse24const_host_device_scalarIT4_EES4_PKT0_PKT1_PKT2_S8_PT3_21rocsparse_index_base_b,"axG",@progbits,_ZL33csrmvn_symm_large_adaptive_kernelIll21rocsparse_complex_numIfES1_S1_S1_EvbT_PKS2_N9rocsparse24const_host_device_scalarIT4_EES4_PKT0_PKT1_PKT2_S8_PT3_21rocsparse_index_base_b,comdat
.Lfunc_end32:
	.size	_ZL33csrmvn_symm_large_adaptive_kernelIll21rocsparse_complex_numIfES1_S1_S1_EvbT_PKS2_N9rocsparse24const_host_device_scalarIT4_EES4_PKT0_PKT1_PKT2_S8_PT3_21rocsparse_index_base_b, .Lfunc_end32-_ZL33csrmvn_symm_large_adaptive_kernelIll21rocsparse_complex_numIfES1_S1_S1_EvbT_PKS2_N9rocsparse24const_host_device_scalarIT4_EES4_PKT0_PKT1_PKT2_S8_PT3_21rocsparse_index_base_b
                                        ; -- End function
	.section	.AMDGPU.csdata,"",@progbits
; Kernel info:
; codeLenInByte = 2572
; NumSgprs: 42
; NumVgprs: 18
; ScratchSize: 0
; MemoryBound: 0
; FloatMode: 240
; IeeeMode: 1
; LDSByteSize: 8192 bytes/workgroup (compile time only)
; SGPRBlocks: 5
; VGPRBlocks: 2
; NumSGPRsForWavesPerEU: 42
; NumVGPRsForWavesPerEU: 18
; Occupancy: 16
; WaveLimiterHint : 1
; COMPUTE_PGM_RSRC2:SCRATCH_EN: 0
; COMPUTE_PGM_RSRC2:USER_SGPR: 15
; COMPUTE_PGM_RSRC2:TRAP_HANDLER: 0
; COMPUTE_PGM_RSRC2:TGID_X_EN: 1
; COMPUTE_PGM_RSRC2:TGID_Y_EN: 0
; COMPUTE_PGM_RSRC2:TGID_Z_EN: 0
; COMPUTE_PGM_RSRC2:TIDIG_COMP_CNT: 0
	.section	.text._ZN9rocsparseL22csrmvn_adaptive_kernelIii21rocsparse_complex_numIdES2_S2_S2_EEvbT_PKS3_PjPKT0_NS_24const_host_device_scalarIT4_EES5_S9_PKT1_PKT2_SC_PT3_21rocsparse_index_base_b,"axG",@progbits,_ZN9rocsparseL22csrmvn_adaptive_kernelIii21rocsparse_complex_numIdES2_S2_S2_EEvbT_PKS3_PjPKT0_NS_24const_host_device_scalarIT4_EES5_S9_PKT1_PKT2_SC_PT3_21rocsparse_index_base_b,comdat
	.globl	_ZN9rocsparseL22csrmvn_adaptive_kernelIii21rocsparse_complex_numIdES2_S2_S2_EEvbT_PKS3_PjPKT0_NS_24const_host_device_scalarIT4_EES5_S9_PKT1_PKT2_SC_PT3_21rocsparse_index_base_b ; -- Begin function _ZN9rocsparseL22csrmvn_adaptive_kernelIii21rocsparse_complex_numIdES2_S2_S2_EEvbT_PKS3_PjPKT0_NS_24const_host_device_scalarIT4_EES5_S9_PKT1_PKT2_SC_PT3_21rocsparse_index_base_b
	.p2align	8
	.type	_ZN9rocsparseL22csrmvn_adaptive_kernelIii21rocsparse_complex_numIdES2_S2_S2_EEvbT_PKS3_PjPKT0_NS_24const_host_device_scalarIT4_EES5_S9_PKT1_PKT2_SC_PT3_21rocsparse_index_base_b,@function
_ZN9rocsparseL22csrmvn_adaptive_kernelIii21rocsparse_complex_numIdES2_S2_S2_EEvbT_PKS3_PjPKT0_NS_24const_host_device_scalarIT4_EES5_S9_PKT1_PKT2_SC_PT3_21rocsparse_index_base_b: ; @_ZN9rocsparseL22csrmvn_adaptive_kernelIii21rocsparse_complex_numIdES2_S2_S2_EEvbT_PKS3_PjPKT0_NS_24const_host_device_scalarIT4_EES5_S9_PKT1_PKT2_SC_PT3_21rocsparse_index_base_b
; %bb.0:
	s_clause 0x2
	s_load_b64 s[28:29], s[0:1], 0x68
	s_load_b128 s[8:11], s[0:1], 0x20
	s_load_b128 s[4:7], s[0:1], 0x50
	s_mov_b64 s[2:3], src_private_base
	v_mov_b32_e32 v1, 0
	s_mov_b32 s34, s15
	s_waitcnt lgkmcnt(0)
	s_bitcmp1_b32 s29, 0
	v_dual_mov_b32 v3, s8 :: v_dual_mov_b32 v6, s5
	s_cselect_b32 s2, -1, 0
	v_mov_b32_e32 v4, s9
	s_and_b32 vcc_lo, s2, exec_lo
	s_cselect_b32 s12, s3, s9
	v_cndmask_b32_e64 v1, s8, v1, s2
	v_dual_mov_b32 v5, s4 :: v_dual_mov_b32 v2, s12
	s_clause 0x1
	scratch_store_b64 off, v[3:4], off
	scratch_store_b64 off, v[5:6], off offset:8
	v_dual_mov_b32 v16, s11 :: v_dual_mov_b32 v15, s10
	flat_load_b64 v[13:14], v[1:2]
	s_xor_b32 s10, s2, -1
	s_cbranch_vccnz .LBB33_2
; %bb.1:
	v_dual_mov_b32 v1, s8 :: v_dual_mov_b32 v2, s9
	flat_load_b64 v[15:16], v[1:2] offset:8
.LBB33_2:
	s_and_b32 s8, s2, exec_lo
	s_cselect_b32 s3, s3, s5
	s_delay_alu instid0(SALU_CYCLE_1) | instskip(SKIP_2) | instid1(VALU_DEP_2)
	v_dual_mov_b32 v1, 8 :: v_dual_mov_b32 v2, s3
	v_dual_mov_b32 v12, s7 :: v_dual_mov_b32 v11, s6
	s_and_not1_b32 vcc_lo, exec_lo, s10
	v_cndmask_b32_e64 v1, s4, v1, s2
	flat_load_b64 v[9:10], v[1:2]
	s_cbranch_vccnz .LBB33_4
; %bb.3:
	v_dual_mov_b32 v1, s4 :: v_dual_mov_b32 v2, s5
	flat_load_b64 v[11:12], v[1:2] offset:8
.LBB33_4:
	s_waitcnt vmcnt(1) lgkmcnt(1)
	v_cmp_eq_f64_e32 vcc_lo, 0, v[13:14]
	v_cmp_eq_f64_e64 s2, 0, v[15:16]
	s_delay_alu instid0(VALU_DEP_1)
	s_and_b32 s4, vcc_lo, s2
	s_mov_b32 s2, -1
	s_and_saveexec_b32 s3, s4
	s_cbranch_execz .LBB33_6
; %bb.5:
	s_waitcnt vmcnt(0) lgkmcnt(0)
	v_cmp_neq_f64_e32 vcc_lo, 1.0, v[9:10]
	v_cmp_neq_f64_e64 s2, 0, v[11:12]
	s_delay_alu instid0(VALU_DEP_1) | instskip(NEXT) | instid1(SALU_CYCLE_1)
	s_or_b32 s2, vcc_lo, s2
	s_or_not1_b32 s2, s2, exec_lo
.LBB33_6:
	s_or_b32 exec_lo, exec_lo, s3
	s_and_saveexec_b32 s3, s2
	s_cbranch_execz .LBB33_121
; %bb.7:
	s_clause 0x1
	s_load_b128 s[20:23], s[0:1], 0x0
	s_load_b64 s[4:5], s[0:1], 0x18
	s_waitcnt lgkmcnt(0)
	s_bitcmp1_b32 s20, 0
	s_cselect_b32 s2, -1, 0
	s_ashr_i32 s35, s34, 31
	s_delay_alu instid0(SALU_CYCLE_1) | instskip(NEXT) | instid1(SALU_CYCLE_1)
	s_lshl_b64 s[36:37], s[34:35], 2
	s_add_u32 s6, s22, s36
	s_addc_u32 s7, s23, s37
	s_load_b64 s[24:25], s[6:7], 0x0
	s_clause 0x1
	s_load_b256 s[12:19], s[0:1], 0x30
	s_load_b64 s[22:23], s[0:1], 0x60
	s_waitcnt lgkmcnt(0)
	s_sub_i32 s3, s25, s24
	s_add_u32 s4, s4, s36
	s_addc_u32 s5, s5, s37
	s_ashr_i32 s31, s24, 31
	s_mov_b32 s30, s24
	s_delay_alu instid0(SALU_CYCLE_1) | instskip(NEXT) | instid1(SALU_CYCLE_1)
	s_lshl_b64 s[6:7], s[30:31], 2
	s_add_u32 s26, s12, s6
	s_addc_u32 s27, s13, s7
	s_load_b32 s20, s[4:5], 0x0
	s_load_b32 s29, s[26:27], 0x0
	s_cmp_lt_i32 s3, 2
	s_mov_b32 s4, -1
	s_cbranch_scc0 .LBB33_77
; %bb.8:
	s_cmp_lg_u32 s3, 1
	s_cselect_b32 s3, -1, 0
	s_waitcnt lgkmcnt(0)
	s_cmp_lg_u32 s20, 0
	s_cselect_b32 s4, -1, 0
	s_delay_alu instid0(SALU_CYCLE_1) | instskip(NEXT) | instid1(SALU_CYCLE_1)
	s_or_b32 s3, s3, s4
	s_and_b32 vcc_lo, exec_lo, s3
	s_mov_b32 s3, -1
	s_cbranch_vccnz .LBB33_37
; %bb.9:
	s_cmp_le_i32 s25, s24
	s_cbranch_scc1 .LBB33_36
; %bb.10:
	s_waitcnt vmcnt(0)
	v_cmp_neq_f64_e64 s10, 0, v[9:10]
	v_cmp_neq_f64_e64 s11, 0, v[11:12]
	v_subrev_nc_u32_e32 v8, s28, v0
	v_dual_mov_b32 v20, 0 :: v_dual_lshlrev_b32 v19, 4, v0
	v_cmp_gt_u32_e32 vcc_lo, 0x80, v0
	v_cmp_gt_u32_e64 s3, 64, v0
	v_cmp_gt_u32_e64 s4, 32, v0
	;; [unrolled: 1-line block ×6, first 2 shown]
	v_cmp_eq_u32_e64 s9, 0, v0
	s_mov_b32 s41, s29
	s_mov_b32 s38, s24
	s_or_b32 s33, s10, s11
	s_add_u32 s35, s12, 4
	s_addc_u32 s40, s13, 0
	s_add_u32 s42, s16, 8
	s_addc_u32 s43, s17, 0
	s_branch .LBB33_13
.LBB33_11:                              ;   in Loop: Header=BB33_13 Depth=1
	s_or_b32 exec_lo, exec_lo, s11
	s_lshl_b64 s[44:45], s[38:39], 4
	s_delay_alu instid0(SALU_CYCLE_1)
	s_add_u32 s44, s22, s44
	s_addc_u32 s45, s23, s45
	s_waitcnt lgkmcnt(0)
	global_store_b128 v20, v[1:4], s[44:45]
.LBB33_12:                              ;   in Loop: Header=BB33_13 Depth=1
	s_or_b32 exec_lo, exec_lo, s10
	s_add_i32 s38, s38, 1
	s_delay_alu instid0(SALU_CYCLE_1)
	s_cmp_ge_i32 s38, s25
	s_cbranch_scc1 .LBB33_36
.LBB33_13:                              ; =>This Loop Header: Depth=1
                                        ;     Child Loop BB33_15 Depth 2
	s_ashr_i32 s39, s38, 31
	s_mov_b32 s44, s41
	s_lshl_b64 s[10:11], s[38:39], 2
	v_mov_b32_e32 v3, 0
	s_add_u32 s10, s35, s10
	s_addc_u32 s11, s40, s11
	v_dual_mov_b32 v4, 0 :: v_dual_add_nc_u32 v5, s44, v8
	s_load_b32 s41, s[10:11], 0x0
	v_mov_b32_e32 v1, v3
	s_mov_b32 s44, exec_lo
	s_delay_alu instid0(VALU_DEP_2) | instskip(SKIP_2) | instid1(SALU_CYCLE_1)
	v_mov_b32_e32 v2, v4
	s_waitcnt lgkmcnt(0)
	s_sub_i32 s45, s41, s28
	v_cmpx_gt_i32_e64 s45, v5
	s_cbranch_execz .LBB33_17
; %bb.14:                               ;   in Loop: Header=BB33_13 Depth=1
	v_ashrrev_i32_e32 v6, 31, v5
	v_mov_b32_e32 v3, 0
	v_mov_b32_e32 v4, 0
	s_mov_b32 s46, 0
	s_delay_alu instid0(VALU_DEP_3) | instskip(SKIP_1) | instid1(VALU_DEP_2)
	v_lshlrev_b64 v[1:2], 4, v[5:6]
	v_lshlrev_b64 v[17:18], 2, v[5:6]
	v_add_co_u32 v6, s10, s42, v1
	s_delay_alu instid0(VALU_DEP_1) | instskip(NEXT) | instid1(VALU_DEP_3)
	v_add_co_ci_u32_e64 v7, s10, s43, v2, s10
	v_add_co_u32 v17, s10, s14, v17
	s_delay_alu instid0(VALU_DEP_1)
	v_add_co_ci_u32_e64 v18, s10, s15, v18, s10
	v_dual_mov_b32 v1, v3 :: v_dual_mov_b32 v2, v4
.LBB33_15:                              ;   Parent Loop BB33_13 Depth=1
                                        ; =>  This Inner Loop Header: Depth=2
	global_load_b32 v25, v[17:18], off
	global_load_b128 v[21:24], v[6:7], off offset:-8
	v_add_nc_u32_e32 v5, 0x100, v5
	v_add_co_u32 v17, s11, 0x400, v17
	s_delay_alu instid0(VALU_DEP_1) | instskip(SKIP_4) | instid1(VALU_DEP_2)
	v_add_co_ci_u32_e64 v18, s11, 0, v18, s11
	s_waitcnt vmcnt(1)
	v_subrev_nc_u32_e32 v25, s28, v25
	s_waitcnt vmcnt(0)
	v_xor_b32_e32 v29, 0x80000000, v24
	v_ashrrev_i32_e32 v26, 31, v25
	s_delay_alu instid0(VALU_DEP_2) | instskip(NEXT) | instid1(VALU_DEP_2)
	v_cndmask_b32_e64 v24, v24, v29, s2
	v_lshlrev_b64 v[25:26], 4, v[25:26]
	s_delay_alu instid0(VALU_DEP_2) | instskip(SKIP_1) | instid1(VALU_DEP_3)
	v_mul_f64 v[29:30], v[23:24], -v[15:16]
	v_mul_f64 v[23:24], v[13:14], v[23:24]
	v_add_co_u32 v25, s10, s18, v25
	s_delay_alu instid0(VALU_DEP_1) | instskip(SKIP_1) | instid1(VALU_DEP_1)
	v_add_co_ci_u32_e64 v26, s10, s19, v26, s10
	v_add_co_u32 v6, s10, 0x1000, v6
	v_add_co_ci_u32_e64 v7, s10, 0, v7, s10
	global_load_b128 v[25:28], v[25:26], off
	v_cmp_le_i32_e64 s10, s45, v5
	s_delay_alu instid0(VALU_DEP_1) | instskip(SKIP_3) | instid1(VALU_DEP_2)
	s_or_b32 s46, s10, s46
	v_fma_f64 v[29:30], v[13:14], v[21:22], v[29:30]
	v_fma_f64 v[21:22], v[15:16], v[21:22], v[23:24]
	s_waitcnt vmcnt(0)
	v_fma_f64 v[1:2], v[29:30], v[25:26], v[1:2]
	s_delay_alu instid0(VALU_DEP_2) | instskip(NEXT) | instid1(VALU_DEP_2)
	v_fma_f64 v[3:4], v[21:22], v[25:26], v[3:4]
	v_fma_f64 v[1:2], -v[21:22], v[27:28], v[1:2]
	s_delay_alu instid0(VALU_DEP_2)
	v_fma_f64 v[3:4], v[29:30], v[27:28], v[3:4]
	s_and_not1_b32 exec_lo, exec_lo, s46
	s_cbranch_execnz .LBB33_15
; %bb.16:                               ;   in Loop: Header=BB33_13 Depth=1
	s_or_b32 exec_lo, exec_lo, s46
.LBB33_17:                              ;   in Loop: Header=BB33_13 Depth=1
	s_delay_alu instid0(SALU_CYCLE_1)
	s_or_b32 exec_lo, exec_lo, s44
	ds_store_b128 v19, v[1:4]
	s_waitcnt lgkmcnt(0)
	s_waitcnt_vscnt null, 0x0
	s_barrier
	buffer_gl0_inv
	s_and_saveexec_b32 s10, vcc_lo
	s_cbranch_execz .LBB33_19
; %bb.18:                               ;   in Loop: Header=BB33_13 Depth=1
	ds_load_b128 v[1:4], v19 offset:2048
	ds_load_b128 v[21:24], v19
	s_waitcnt lgkmcnt(0)
	v_add_f64 v[1:2], v[1:2], v[21:22]
	v_add_f64 v[3:4], v[3:4], v[23:24]
	ds_store_b128 v19, v[1:4]
.LBB33_19:                              ;   in Loop: Header=BB33_13 Depth=1
	s_or_b32 exec_lo, exec_lo, s10
	s_waitcnt lgkmcnt(0)
	s_barrier
	buffer_gl0_inv
	s_and_saveexec_b32 s10, s3
	s_cbranch_execz .LBB33_21
; %bb.20:                               ;   in Loop: Header=BB33_13 Depth=1
	ds_load_b128 v[1:4], v19 offset:1024
	ds_load_b128 v[21:24], v19
	s_waitcnt lgkmcnt(0)
	v_add_f64 v[1:2], v[1:2], v[21:22]
	v_add_f64 v[3:4], v[3:4], v[23:24]
	ds_store_b128 v19, v[1:4]
.LBB33_21:                              ;   in Loop: Header=BB33_13 Depth=1
	s_or_b32 exec_lo, exec_lo, s10
	s_waitcnt lgkmcnt(0)
	s_barrier
	buffer_gl0_inv
	s_and_saveexec_b32 s10, s4
	;; [unrolled: 14-line block ×6, first 2 shown]
	s_cbranch_execz .LBB33_31
; %bb.30:                               ;   in Loop: Header=BB33_13 Depth=1
	ds_load_b128 v[1:4], v19
	ds_load_b128 v[21:24], v19 offset:32
	s_waitcnt lgkmcnt(0)
	v_add_f64 v[1:2], v[21:22], v[1:2]
	v_add_f64 v[3:4], v[23:24], v[3:4]
	ds_store_b128 v19, v[1:4]
.LBB33_31:                              ;   in Loop: Header=BB33_13 Depth=1
	s_or_b32 exec_lo, exec_lo, s10
	s_waitcnt lgkmcnt(0)
	s_barrier
	buffer_gl0_inv
	s_and_saveexec_b32 s10, s9
	s_cbranch_execz .LBB33_33
; %bb.32:                               ;   in Loop: Header=BB33_13 Depth=1
	ds_load_b128 v[1:4], v20
	ds_load_b128 v[21:24], v20 offset:16
	s_waitcnt lgkmcnt(0)
	v_add_f64 v[1:2], v[21:22], v[1:2]
	v_add_f64 v[3:4], v[23:24], v[3:4]
	ds_store_b128 v20, v[1:4]
.LBB33_33:                              ;   in Loop: Header=BB33_13 Depth=1
	s_or_b32 exec_lo, exec_lo, s10
	s_waitcnt lgkmcnt(0)
	s_barrier
	buffer_gl0_inv
	s_and_saveexec_b32 s10, s9
	s_cbranch_execz .LBB33_12
; %bb.34:                               ;   in Loop: Header=BB33_13 Depth=1
	ds_load_b128 v[1:4], v20
	s_and_saveexec_b32 s11, s33
	s_cbranch_execz .LBB33_11
; %bb.35:                               ;   in Loop: Header=BB33_13 Depth=1
	s_lshl_b64 s[44:45], s[38:39], 4
	s_delay_alu instid0(SALU_CYCLE_1)
	s_add_u32 s44, s22, s44
	s_addc_u32 s45, s23, s45
	global_load_b128 v[21:24], v20, s[44:45]
	s_waitcnt vmcnt(0) lgkmcnt(0)
	v_fma_f64 v[1:2], v[9:10], v[21:22], v[1:2]
	v_fma_f64 v[3:4], v[11:12], v[21:22], v[3:4]
	s_delay_alu instid0(VALU_DEP_2) | instskip(NEXT) | instid1(VALU_DEP_2)
	v_fma_f64 v[1:2], -v[11:12], v[23:24], v[1:2]
	v_fma_f64 v[3:4], v[9:10], v[23:24], v[3:4]
	s_branch .LBB33_11
.LBB33_36:
	s_mov_b32 s3, 0
.LBB33_37:
	s_delay_alu instid0(SALU_CYCLE_1)
	s_and_not1_b32 vcc_lo, exec_lo, s3
	s_cbranch_vccnz .LBB33_76
; %bb.38:
	s_load_b64 s[6:7], s[0:1], 0x10
	s_sub_i32 s8, s34, s20
	v_mov_b32_e32 v1, 0
	v_or_b32_e32 v3, s20, v0
	v_mov_b32_e32 v2, 0
	s_delay_alu instid0(VALU_DEP_2) | instskip(NEXT) | instid1(VALU_DEP_2)
	v_cmp_eq_u32_e32 vcc_lo, 0, v3
	v_dual_mov_b32 v4, v2 :: v_dual_mov_b32 v3, v1
	s_waitcnt lgkmcnt(0)
	s_add_u32 s4, s6, s36
	s_addc_u32 s5, s7, s37
	s_load_b32 s3, s[4:5], 0x0
	s_and_saveexec_b32 s0, vcc_lo
	s_cbranch_execz .LBB33_42
; %bb.39:
	s_lshl_b64 s[10:11], s[30:31], 4
	v_mov_b32_e32 v17, 0
	s_add_u32 s10, s22, s10
	s_addc_u32 s11, s23, s11
	s_waitcnt vmcnt(0)
	v_add_f64 v[1:2], v[9:10], -1.0
	s_mov_b32 s1, exec_lo
	global_load_b128 v[3:6], v17, s[10:11]
	v_mbcnt_lo_u32_b32 v18, s1, 0
	s_mov_b32 s10, exec_lo
	s_waitcnt vmcnt(0) expcnt(0) lgkmcnt(0)
	s_waitcnt_vscnt null, 0x0
	v_mul_f64 v[7:8], v[5:6], -v[11:12]
	v_mul_f64 v[5:6], v[1:2], v[5:6]
	v_cmpx_eq_u32_e32 0, v18
	s_cbranch_execz .LBB33_41
; %bb.40:
	s_ashr_i32 s9, s8, 31
	s_delay_alu instid0(SALU_CYCLE_1) | instskip(NEXT) | instid1(SALU_CYCLE_1)
	s_lshl_b64 s[34:35], s[8:9], 2
	s_add_u32 s34, s6, s34
	s_addc_u32 s35, s7, s35
	s_bcnt1_i32_b32 s1, s1
	s_delay_alu instid0(SALU_CYCLE_1) | instskip(NEXT) | instid1(SALU_CYCLE_1)
	s_and_b32 s1, s1, 1
	v_mov_b32_e32 v18, s1
	global_atomic_xor_b32 v17, v18, s[34:35]
.LBB33_41:
	s_or_b32 exec_lo, exec_lo, s10
	s_delay_alu instid0(VALU_DEP_3) | instskip(NEXT) | instid1(VALU_DEP_3)
	v_fma_f64 v[1:2], v[1:2], v[3:4], v[7:8]
	v_fma_f64 v[3:4], v[11:12], v[3:4], v[5:6]
.LBB33_42:
	s_or_b32 exec_lo, exec_lo, s0
	s_load_b32 s0, s[26:27], 0x4
	s_mul_i32 s1, s20, 0xc00
	s_sub_i32 s9, s29, s28
	s_delay_alu instid0(SALU_CYCLE_1)
	s_add_i32 s9, s9, s1
	s_mov_b32 s1, exec_lo
	v_add_nc_u32_e32 v5, s9, v0
	s_waitcnt lgkmcnt(0)
	s_sub_i32 s0, s0, s28
	s_delay_alu instid0(VALU_DEP_1) | instid1(SALU_CYCLE_1)
	v_cmpx_gt_i32_e64 s0, v5
	s_cbranch_execz .LBB33_46
; %bb.43:
	v_ashrrev_i32_e32 v6, 31, v5
	s_addk_i32 s9, 0xc00
	s_mov_b32 s10, 0
	s_min_i32 s9, s9, s0
	s_delay_alu instid0(VALU_DEP_1) | instskip(SKIP_1) | instid1(VALU_DEP_2)
	v_lshlrev_b64 v[7:8], 4, v[5:6]
	v_lshlrev_b64 v[17:18], 2, v[5:6]
	v_add_co_u32 v7, vcc_lo, v7, s16
	s_delay_alu instid0(VALU_DEP_3) | instskip(NEXT) | instid1(VALU_DEP_2)
	v_add_co_ci_u32_e32 v8, vcc_lo, s17, v8, vcc_lo
	v_add_co_u32 v6, vcc_lo, v7, 8
	s_delay_alu instid0(VALU_DEP_2)
	v_add_co_ci_u32_e32 v7, vcc_lo, 0, v8, vcc_lo
	v_add_co_u32 v17, vcc_lo, s14, v17
	v_add_co_ci_u32_e32 v18, vcc_lo, s15, v18, vcc_lo
	s_set_inst_prefetch_distance 0x1
	.p2align	6
.LBB33_44:                              ; =>This Inner Loop Header: Depth=1
	global_load_b32 v8, v[17:18], off
	global_load_b128 v[19:22], v[6:7], off offset:-8
	v_add_nc_u32_e32 v5, 0x100, v5
	v_add_co_u32 v17, s0, 0x400, v17
	s_delay_alu instid0(VALU_DEP_1) | instskip(SKIP_4) | instid1(VALU_DEP_2)
	v_add_co_ci_u32_e64 v18, s0, 0, v18, s0
	s_waitcnt vmcnt(1)
	v_subrev_nc_u32_e32 v23, s28, v8
	s_waitcnt vmcnt(0)
	v_xor_b32_e32 v8, 0x80000000, v22
	v_ashrrev_i32_e32 v24, 31, v23
	s_delay_alu instid0(VALU_DEP_2) | instskip(NEXT) | instid1(VALU_DEP_2)
	v_cndmask_b32_e64 v22, v22, v8, s2
	v_lshlrev_b64 v[23:24], 4, v[23:24]
	s_delay_alu instid0(VALU_DEP_2) | instskip(SKIP_1) | instid1(VALU_DEP_3)
	v_mul_f64 v[27:28], v[21:22], -v[15:16]
	v_mul_f64 v[21:22], v[13:14], v[21:22]
	v_add_co_u32 v23, vcc_lo, s18, v23
	s_delay_alu instid0(VALU_DEP_4)
	v_add_co_ci_u32_e32 v24, vcc_lo, s19, v24, vcc_lo
	v_add_co_u32 v6, vcc_lo, 0x1000, v6
	v_add_co_ci_u32_e32 v7, vcc_lo, 0, v7, vcc_lo
	global_load_b128 v[23:26], v[23:24], off
	v_cmp_le_i32_e32 vcc_lo, s9, v5
	s_or_b32 s10, vcc_lo, s10
	v_fma_f64 v[27:28], v[13:14], v[19:20], v[27:28]
	v_fma_f64 v[19:20], v[15:16], v[19:20], v[21:22]
	s_waitcnt vmcnt(0)
	s_delay_alu instid0(VALU_DEP_2) | instskip(NEXT) | instid1(VALU_DEP_2)
	v_fma_f64 v[1:2], v[27:28], v[23:24], v[1:2]
	v_fma_f64 v[3:4], v[19:20], v[23:24], v[3:4]
	s_delay_alu instid0(VALU_DEP_2) | instskip(NEXT) | instid1(VALU_DEP_2)
	v_fma_f64 v[1:2], -v[19:20], v[25:26], v[1:2]
	v_fma_f64 v[3:4], v[27:28], v[25:26], v[3:4]
	s_and_not1_b32 exec_lo, exec_lo, s10
	s_cbranch_execnz .LBB33_44
; %bb.45:
	s_set_inst_prefetch_distance 0x2
	s_or_b32 exec_lo, exec_lo, s10
.LBB33_46:
	s_delay_alu instid0(SALU_CYCLE_1)
	s_or_b32 exec_lo, exec_lo, s1
	v_lshlrev_b32_e32 v5, 4, v0
	s_mov_b32 s0, exec_lo
	ds_store_b128 v5, v[1:4]
	s_waitcnt vmcnt(0) lgkmcnt(0)
	s_waitcnt_vscnt null, 0x0
	s_barrier
	buffer_gl0_inv
	v_cmpx_gt_u32_e32 0x80, v0
	s_cbranch_execz .LBB33_48
; %bb.47:
	ds_load_b128 v[1:4], v5 offset:2048
	ds_load_b128 v[17:20], v5
	s_waitcnt lgkmcnt(0)
	v_add_f64 v[1:2], v[1:2], v[17:18]
	v_add_f64 v[3:4], v[3:4], v[19:20]
	ds_store_b128 v5, v[1:4]
.LBB33_48:
	s_or_b32 exec_lo, exec_lo, s0
	s_delay_alu instid0(SALU_CYCLE_1)
	s_mov_b32 s0, exec_lo
	s_waitcnt lgkmcnt(0)
	s_barrier
	buffer_gl0_inv
	v_cmpx_gt_u32_e32 64, v0
	s_cbranch_execz .LBB33_50
; %bb.49:
	ds_load_b128 v[1:4], v5 offset:1024
	ds_load_b128 v[17:20], v5
	s_waitcnt lgkmcnt(0)
	v_add_f64 v[1:2], v[1:2], v[17:18]
	v_add_f64 v[3:4], v[3:4], v[19:20]
	ds_store_b128 v5, v[1:4]
.LBB33_50:
	s_or_b32 exec_lo, exec_lo, s0
	s_delay_alu instid0(SALU_CYCLE_1)
	s_mov_b32 s0, exec_lo
	s_waitcnt lgkmcnt(0)
	;; [unrolled: 16-line block ×6, first 2 shown]
	s_barrier
	buffer_gl0_inv
	v_cmpx_gt_u32_e32 2, v0
	s_cbranch_execz .LBB33_60
; %bb.59:
	ds_load_b128 v[1:4], v5
	ds_load_b128 v[17:20], v5 offset:32
	s_waitcnt lgkmcnt(0)
	v_add_f64 v[1:2], v[17:18], v[1:2]
	v_add_f64 v[3:4], v[19:20], v[3:4]
	ds_store_b128 v5, v[1:4]
.LBB33_60:
	s_or_b32 exec_lo, exec_lo, s0
	v_cmp_eq_u32_e32 vcc_lo, 0, v0
	s_waitcnt lgkmcnt(0)
	s_barrier
	buffer_gl0_inv
	s_and_saveexec_b32 s0, vcc_lo
	s_cbranch_execz .LBB33_62
; %bb.61:
	v_mov_b32_e32 v17, 0
	ds_load_b128 v[1:4], v17
	ds_load_b128 v[5:8], v17 offset:16
	s_waitcnt lgkmcnt(0)
	v_add_f64 v[1:2], v[5:6], v[1:2]
	v_add_f64 v[3:4], v[7:8], v[3:4]
	ds_store_b128 v17, v[1:4]
.LBB33_62:
	s_or_b32 exec_lo, exec_lo, s0
	s_waitcnt lgkmcnt(0)
	s_barrier
	buffer_gl0_inv
	s_and_saveexec_b32 s10, vcc_lo
	s_cbranch_execz .LBB33_75
; %bb.63:
	s_cmp_eq_u32 s20, 0
	s_cbranch_scc1 .LBB33_69
; %bb.64:
	s_ashr_i32 s9, s8, 31
	v_mov_b32_e32 v1, 0
	s_lshl_b64 s[0:1], s[8:9], 2
	s_delay_alu instid0(SALU_CYCLE_1)
	s_add_u32 s0, s6, s0
	s_addc_u32 s1, s7, s1
	s_branch .LBB33_66
.LBB33_65:                              ;   in Loop: Header=BB33_66 Depth=1
	s_or_b32 exec_lo, exec_lo, s6
	s_waitcnt vmcnt(0)
	v_readfirstlane_b32 s6, v2
	s_delay_alu instid0(VALU_DEP_1)
	s_cmp_eq_u32 s6, s3
	s_cbranch_scc0 .LBB33_68
.LBB33_66:                              ; =>This Inner Loop Header: Depth=1
	v_mbcnt_lo_u32_b32 v2, exec_lo, 0
	s_delay_alu instid0(VALU_DEP_1)
	v_cmp_eq_u32_e32 vcc_lo, 0, v2
                                        ; implicit-def: $vgpr2
	s_and_saveexec_b32 s6, vcc_lo
	s_cbranch_execz .LBB33_65
; %bb.67:                               ;   in Loop: Header=BB33_66 Depth=1
	global_load_b32 v2, v1, s[0:1] glc
	s_branch .LBB33_65
.LBB33_68:
	v_mov_b32_e32 v1, 0
	global_load_b32 v2, v1, s[4:5]
	s_waitcnt vmcnt(0)
	v_xor_b32_e32 v2, 1, v2
	global_store_b32 v1, v2, s[4:5]
.LBB33_69:
	v_mov_b32_e32 v17, 0
	s_mov_b32 s4, exec_lo
	s_lshl_b64 s[0:1], s[30:31], 4
	v_mbcnt_lo_u32_b32 v5, s4, 0
	s_add_u32 s0, s22, s0
	ds_load_b128 v[1:4], v17
	s_addc_u32 s1, s23, s1
	s_mov_b32 s3, exec_lo
	v_cmpx_eq_u32_e32 0, v5
	s_cbranch_execz .LBB33_72
; %bb.70:
	global_load_b64 v[7:8], v17, s[0:1]
	s_bcnt1_i32_b32 s4, s4
	s_delay_alu instid0(SALU_CYCLE_1) | instskip(SKIP_2) | instid1(VALU_DEP_1)
	v_cvt_f64_u32_e32 v[5:6], s4
	s_mov_b32 s4, 0
	s_waitcnt lgkmcnt(0)
	v_mul_f64 v[1:2], v[1:2], v[5:6]
.LBB33_71:                              ; =>This Inner Loop Header: Depth=1
	s_waitcnt vmcnt(0)
	s_delay_alu instid0(VALU_DEP_1)
	v_add_f64 v[5:6], v[7:8], v[1:2]
	global_atomic_cmpswap_b64 v[5:6], v17, v[5:8], s[0:1] glc
	s_waitcnt vmcnt(0)
	v_cmp_eq_u64_e32 vcc_lo, v[5:6], v[7:8]
	v_dual_mov_b32 v8, v6 :: v_dual_mov_b32 v7, v5
	s_or_b32 s4, vcc_lo, s4
	s_delay_alu instid0(SALU_CYCLE_1)
	s_and_not1_b32 exec_lo, exec_lo, s4
	s_cbranch_execnz .LBB33_71
.LBB33_72:
	s_or_b32 exec_lo, exec_lo, s3
	s_delay_alu instid0(SALU_CYCLE_1) | instskip(SKIP_3) | instid1(VALU_DEP_1)
	s_mov_b32 s4, exec_lo
	s_mov_b32 s3, 0
	s_waitcnt lgkmcnt(0)
	v_mbcnt_lo_u32_b32 v1, s4, 0
	v_cmp_eq_u32_e32 vcc_lo, 0, v1
	s_and_b32 s5, exec_lo, vcc_lo
	s_delay_alu instid0(SALU_CYCLE_1)
	s_mov_b32 exec_lo, s5
	s_cbranch_execz .LBB33_75
; %bb.73:
	v_mov_b32_e32 v7, 0
	s_bcnt1_i32_b32 s4, s4
	s_delay_alu instid0(SALU_CYCLE_1)
	v_cvt_f64_u32_e32 v[1:2], s4
	global_load_b64 v[5:6], v7, s[0:1] offset:8
	v_mul_f64 v[1:2], v[3:4], v[1:2]
.LBB33_74:                              ; =>This Inner Loop Header: Depth=1
	s_waitcnt vmcnt(0)
	s_delay_alu instid0(VALU_DEP_1)
	v_add_f64 v[3:4], v[5:6], v[1:2]
	global_atomic_cmpswap_b64 v[3:4], v7, v[3:6], s[0:1] offset:8 glc
	s_waitcnt vmcnt(0)
	v_cmp_eq_u64_e32 vcc_lo, v[3:4], v[5:6]
	v_dual_mov_b32 v6, v4 :: v_dual_mov_b32 v5, v3
	s_or_b32 s3, vcc_lo, s3
	s_delay_alu instid0(SALU_CYCLE_1)
	s_and_not1_b32 exec_lo, exec_lo, s3
	s_cbranch_execnz .LBB33_74
.LBB33_75:
	s_or_b32 exec_lo, exec_lo, s10
.LBB33_76:
	s_mov_b32 s4, 0
.LBB33_77:
	s_delay_alu instid0(SALU_CYCLE_1)
	s_and_not1_b32 vcc_lo, exec_lo, s4
	s_cbranch_vccnz .LBB33_121
; %bb.78:
	v_subrev_nc_u32_e32 v1, s28, v0
	s_mov_b32 s0, exec_lo
	s_waitcnt lgkmcnt(0)
	s_delay_alu instid0(VALU_DEP_1) | instskip(NEXT) | instid1(VALU_DEP_1)
	v_add_nc_u32_e32 v1, s29, v1
	v_add_nc_u32_e32 v2, 0x300, v1
	s_delay_alu instid0(VALU_DEP_1)
	v_cmpx_le_i32_e64 s21, v2
	s_xor_b32 s0, exec_lo, s0
	s_cbranch_execz .LBB33_83
; %bb.79:
	s_ashr_i32 s5, s25, 31
	s_mov_b32 s4, s25
	s_mov_b32 s3, exec_lo
	s_lshl_b64 s[4:5], s[4:5], 2
	s_delay_alu instid0(SALU_CYCLE_1) | instskip(SKIP_4) | instid1(SALU_CYCLE_1)
	s_add_u32 s4, s12, s4
	s_addc_u32 s5, s13, s5
	s_load_b32 s1, s[4:5], 0x0
	s_waitcnt lgkmcnt(0)
	s_sub_i32 s1, s1, s28
	v_cmpx_gt_i32_e64 s1, v1
	s_cbranch_execz .LBB33_82
; %bb.80:
	v_lshlrev_b32_e32 v3, 4, v0
	s_mov_b32 s4, 0
.LBB33_81:                              ; =>This Inner Loop Header: Depth=1
	v_ashrrev_i32_e32 v2, 31, v1
	s_delay_alu instid0(VALU_DEP_1) | instskip(NEXT) | instid1(VALU_DEP_1)
	v_lshlrev_b64 v[4:5], 2, v[1:2]
	v_add_co_u32 v4, vcc_lo, s14, v4
	s_delay_alu instid0(VALU_DEP_2) | instskip(SKIP_3) | instid1(VALU_DEP_2)
	v_add_co_ci_u32_e32 v5, vcc_lo, s15, v5, vcc_lo
	global_load_b32 v8, v[4:5], off
	v_lshlrev_b64 v[4:5], 4, v[1:2]
	v_add_nc_u32_e32 v1, 0x100, v1
	v_add_co_u32 v4, vcc_lo, s16, v4
	s_delay_alu instid0(VALU_DEP_3) | instskip(SKIP_3) | instid1(VALU_DEP_1)
	v_add_co_ci_u32_e32 v5, vcc_lo, s17, v5, vcc_lo
	global_load_b128 v[4:7], v[4:5], off
	s_waitcnt vmcnt(1)
	v_subrev_nc_u32_e32 v17, s28, v8
	v_ashrrev_i32_e32 v18, 31, v17
	s_delay_alu instid0(VALU_DEP_1) | instskip(SKIP_2) | instid1(VALU_DEP_2)
	v_lshlrev_b64 v[17:18], 4, v[17:18]
	s_waitcnt vmcnt(0)
	v_xor_b32_e32 v2, 0x80000000, v7
	v_add_co_u32 v17, vcc_lo, s18, v17
	s_delay_alu instid0(VALU_DEP_3) | instskip(NEXT) | instid1(VALU_DEP_3)
	v_add_co_ci_u32_e32 v18, vcc_lo, s19, v18, vcc_lo
	v_cndmask_b32_e64 v7, v7, v2, s2
	v_cmp_le_i32_e32 vcc_lo, s1, v1
	global_load_b128 v[17:20], v[17:18], off
	v_mul_f64 v[21:22], v[13:14], v[6:7]
	v_mul_f64 v[6:7], v[6:7], -v[15:16]
	s_or_b32 s4, vcc_lo, s4
	s_delay_alu instid0(VALU_DEP_2) | instskip(NEXT) | instid1(VALU_DEP_2)
	v_fma_f64 v[21:22], v[15:16], v[4:5], v[21:22]
	v_fma_f64 v[4:5], v[13:14], v[4:5], v[6:7]
	s_waitcnt vmcnt(0)
	s_delay_alu instid0(VALU_DEP_2) | instskip(NEXT) | instid1(VALU_DEP_2)
	v_mul_f64 v[6:7], v[19:20], -v[21:22]
	v_mul_f64 v[19:20], v[4:5], v[19:20]
	s_delay_alu instid0(VALU_DEP_2) | instskip(NEXT) | instid1(VALU_DEP_2)
	v_fma_f64 v[4:5], v[4:5], v[17:18], v[6:7]
	v_fma_f64 v[6:7], v[21:22], v[17:18], v[19:20]
	ds_store_b128 v3, v[4:7]
	v_add_nc_u32_e32 v3, 0x1000, v3
	s_and_not1_b32 exec_lo, exec_lo, s4
	s_cbranch_execnz .LBB33_81
.LBB33_82:
	s_or_b32 exec_lo, exec_lo, s3
                                        ; implicit-def: $vgpr1
                                        ; implicit-def: $vgpr15_vgpr16
                                        ; implicit-def: $vgpr13_vgpr14
.LBB33_83:
	s_or_saveexec_b32 s0, s0
	v_lshlrev_b32_e32 v17, 4, v0
	s_xor_b32 exec_lo, exec_lo, s0
	s_cbranch_execz .LBB33_85
; %bb.84:
	v_ashrrev_i32_e32 v2, 31, v1
	s_delay_alu instid0(VALU_DEP_1) | instskip(SKIP_1) | instid1(VALU_DEP_2)
	v_lshlrev_b64 v[3:4], 2, v[1:2]
	v_lshlrev_b64 v[1:2], 4, v[1:2]
	v_add_co_u32 v3, vcc_lo, s14, v3
	s_delay_alu instid0(VALU_DEP_3) | instskip(NEXT) | instid1(VALU_DEP_3)
	v_add_co_ci_u32_e32 v4, vcc_lo, s15, v4, vcc_lo
	v_add_co_u32 v5, vcc_lo, s16, v1
	s_delay_alu instid0(VALU_DEP_4)
	v_add_co_ci_u32_e32 v6, vcc_lo, s17, v2, vcc_lo
	s_clause 0x3
	global_load_b32 v26, v[3:4], off
	global_load_b32 v27, v[3:4], off offset:1024
	global_load_b32 v29, v[3:4], off offset:2048
	;; [unrolled: 1-line block ×3, first 2 shown]
	v_add_co_u32 v18, vcc_lo, v5, 0x2000
	v_add_co_ci_u32_e32 v19, vcc_lo, 0, v6, vcc_lo
	v_add_co_u32 v22, vcc_lo, 0x3000, v5
	global_load_b128 v[1:4], v[5:6], off
	v_add_co_ci_u32_e32 v23, vcc_lo, 0, v6, vcc_lo
	s_clause 0x2
	global_load_b128 v[5:8], v[18:19], off offset:-4096
	global_load_b128 v[18:21], v[18:19], off
	global_load_b128 v[22:25], v[22:23], off
	s_waitcnt vmcnt(7)
	v_subrev_nc_u32_e32 v26, s28, v26
	s_waitcnt vmcnt(6)
	v_subrev_nc_u32_e32 v28, s28, v27
	;; [unrolled: 2-line block ×4, first 2 shown]
	v_ashrrev_i32_e32 v27, 31, v26
	v_ashrrev_i32_e32 v29, 31, v28
	v_ashrrev_i32_e32 v31, 31, v30
	s_delay_alu instid0(VALU_DEP_4) | instskip(NEXT) | instid1(VALU_DEP_4)
	v_ashrrev_i32_e32 v33, 31, v32
	v_lshlrev_b64 v[26:27], 4, v[26:27]
	s_delay_alu instid0(VALU_DEP_4) | instskip(NEXT) | instid1(VALU_DEP_4)
	v_lshlrev_b64 v[28:29], 4, v[28:29]
	v_lshlrev_b64 v[30:31], 4, v[30:31]
	s_delay_alu instid0(VALU_DEP_4)
	v_lshlrev_b64 v[32:33], 4, v[32:33]
	s_waitcnt vmcnt(3)
	v_xor_b32_e32 v42, 0x80000000, v4
	s_waitcnt vmcnt(2)
	v_xor_b32_e32 v43, 0x80000000, v8
	v_add_co_u32 v26, vcc_lo, s18, v26
	v_add_co_ci_u32_e32 v27, vcc_lo, s19, v27, vcc_lo
	v_add_co_u32 v34, vcc_lo, s18, v28
	v_add_co_ci_u32_e32 v35, vcc_lo, s19, v29, vcc_lo
	;; [unrolled: 2-line block ×3, first 2 shown]
	v_add_co_u32 v38, vcc_lo, s18, v32
	global_load_b128 v[26:29], v[26:27], off
	v_add_co_ci_u32_e32 v39, vcc_lo, s19, v33, vcc_lo
	s_clause 0x2
	global_load_b128 v[30:33], v[34:35], off
	global_load_b128 v[34:37], v[36:37], off
	;; [unrolled: 1-line block ×3, first 2 shown]
	s_waitcnt vmcnt(5)
	v_xor_b32_e32 v44, 0x80000000, v21
	s_waitcnt vmcnt(4)
	v_xor_b32_e32 v45, 0x80000000, v25
	v_cndmask_b32_e64 v4, v4, v42, s2
	v_cndmask_b32_e64 v8, v8, v43, s2
	;; [unrolled: 1-line block ×3, first 2 shown]
	s_delay_alu instid0(VALU_DEP_4) | instskip(NEXT) | instid1(VALU_DEP_4)
	v_cndmask_b32_e64 v25, v25, v45, s2
	v_mul_f64 v[42:43], v[3:4], -v[15:16]
	v_mul_f64 v[3:4], v[13:14], v[3:4]
	v_mul_f64 v[44:45], v[13:14], v[7:8]
	v_mul_f64 v[7:8], v[7:8], -v[15:16]
	v_mul_f64 v[46:47], v[13:14], v[20:21]
	v_mul_f64 v[20:21], v[20:21], -v[15:16]
	;; [unrolled: 2-line block ×3, first 2 shown]
	v_fma_f64 v[3:4], v[15:16], v[1:2], v[3:4]
	v_fma_f64 v[1:2], v[13:14], v[1:2], v[42:43]
	;; [unrolled: 1-line block ×8, first 2 shown]
	s_waitcnt vmcnt(3)
	v_mul_f64 v[7:8], v[28:29], -v[3:4]
	v_mul_f64 v[13:14], v[1:2], v[28:29]
	s_waitcnt vmcnt(2)
	v_mul_f64 v[15:16], v[32:33], -v[42:43]
	v_mul_f64 v[24:25], v[5:6], v[32:33]
	;; [unrolled: 3-line block ×4, first 2 shown]
	v_fma_f64 v[1:2], v[1:2], v[26:27], v[7:8]
	v_fma_f64 v[3:4], v[3:4], v[26:27], v[13:14]
	;; [unrolled: 1-line block ×8, first 2 shown]
	ds_store_b128 v17, v[1:4]
	ds_store_b128 v17, v[5:8] offset:4096
	ds_store_b128 v17, v[13:16] offset:8192
	ds_store_b128 v17, v[18:21] offset:12288
.LBB33_85:
	s_or_b32 exec_lo, exec_lo, s0
	s_cmp_lt_i32 s20, 2
	s_mov_b32 s0, -1
	s_waitcnt vmcnt(0) lgkmcnt(0)
	s_waitcnt_vscnt null, 0x0
	s_barrier
	buffer_gl0_inv
	s_cbranch_scc0 .LBB33_96
; %bb.86:
	v_add_nc_u32_e32 v5, s24, v0
	s_mov_b32 s1, exec_lo
	s_delay_alu instid0(VALU_DEP_1)
	v_cmpx_gt_i32_e64 s25, v5
	s_cbranch_execz .LBB33_95
; %bb.87:
	v_cmp_neq_f64_e32 vcc_lo, 0, v[9:10]
	v_cmp_neq_f64_e64 s0, 0, v[11:12]
	s_lshl_b32 s4, s29, 4
	s_mov_b32 s2, 0
	s_sub_i32 s4, 0, s4
	s_delay_alu instid0(VALU_DEP_1)
	s_or_b32 s3, vcc_lo, s0
	s_branch .LBB33_89
.LBB33_88:                              ;   in Loop: Header=BB33_89 Depth=1
	s_or_b32 exec_lo, exec_lo, s0
	v_add_nc_u32_e32 v5, 0x100, v5
	s_delay_alu instid0(VALU_DEP_2) | instskip(NEXT) | instid1(VALU_DEP_1)
	v_add_co_u32 v6, s0, s22, v6
	v_add_co_ci_u32_e64 v7, s0, s23, v7, s0
	s_delay_alu instid0(VALU_DEP_3) | instskip(SKIP_2) | instid1(SALU_CYCLE_1)
	v_cmp_le_i32_e32 vcc_lo, s25, v5
	global_store_b128 v[6:7], v[1:4], off
	s_or_b32 s2, vcc_lo, s2
	s_and_not1_b32 exec_lo, exec_lo, s2
	s_cbranch_execz .LBB33_95
.LBB33_89:                              ; =>This Loop Header: Depth=1
                                        ;     Child Loop BB33_91 Depth 2
	v_ashrrev_i32_e32 v6, 31, v5
	v_mov_b32_e32 v3, 0
	v_mov_b32_e32 v4, 0
	s_mov_b32 s0, exec_lo
	s_delay_alu instid0(VALU_DEP_3) | instskip(NEXT) | instid1(VALU_DEP_1)
	v_lshlrev_b64 v[1:2], 2, v[5:6]
	v_add_co_u32 v1, vcc_lo, s12, v1
	s_delay_alu instid0(VALU_DEP_2)
	v_add_co_ci_u32_e32 v2, vcc_lo, s13, v2, vcc_lo
	global_load_b64 v[7:8], v[1:2], off
	v_dual_mov_b32 v1, v3 :: v_dual_mov_b32 v2, v4
	s_waitcnt vmcnt(0)
	v_cmpx_lt_i32_e64 v7, v8
	s_cbranch_execz .LBB33_93
; %bb.90:                               ;   in Loop: Header=BB33_89 Depth=1
	v_mov_b32_e32 v3, 0
	v_mov_b32_e32 v4, 0
	v_subrev_nc_u32_e32 v8, s29, v8
	v_subrev_nc_u32_e32 v13, s29, v7
	v_lshl_add_u32 v7, v7, 4, s4
	s_delay_alu instid0(VALU_DEP_4)
	v_dual_mov_b32 v1, v3 :: v_dual_mov_b32 v2, v4
	s_mov_b32 s5, 0
.LBB33_91:                              ;   Parent Loop BB33_89 Depth=1
                                        ; =>  This Inner Loop Header: Depth=2
	ds_load_b128 v[18:21], v7
	v_add_nc_u32_e32 v13, 1, v13
	v_add_nc_u32_e32 v7, 16, v7
	s_delay_alu instid0(VALU_DEP_2)
	v_cmp_ge_i32_e32 vcc_lo, v13, v8
	s_or_b32 s5, vcc_lo, s5
	s_waitcnt lgkmcnt(0)
	v_add_f64 v[1:2], v[1:2], v[18:19]
	v_add_f64 v[3:4], v[3:4], v[20:21]
	s_and_not1_b32 exec_lo, exec_lo, s5
	s_cbranch_execnz .LBB33_91
; %bb.92:                               ;   in Loop: Header=BB33_89 Depth=1
	s_or_b32 exec_lo, exec_lo, s5
.LBB33_93:                              ;   in Loop: Header=BB33_89 Depth=1
	s_delay_alu instid0(SALU_CYCLE_1)
	s_or_b32 exec_lo, exec_lo, s0
	v_lshlrev_b64 v[6:7], 4, v[5:6]
	s_and_saveexec_b32 s0, s3
	s_cbranch_execz .LBB33_88
; %bb.94:                               ;   in Loop: Header=BB33_89 Depth=1
	s_delay_alu instid0(VALU_DEP_1) | instskip(NEXT) | instid1(VALU_DEP_2)
	v_add_co_u32 v13, vcc_lo, s22, v6
	v_add_co_ci_u32_e32 v14, vcc_lo, s23, v7, vcc_lo
	global_load_b128 v[13:16], v[13:14], off
	s_waitcnt vmcnt(0)
	v_fma_f64 v[1:2], v[9:10], v[13:14], v[1:2]
	v_fma_f64 v[3:4], v[11:12], v[13:14], v[3:4]
	s_delay_alu instid0(VALU_DEP_2) | instskip(NEXT) | instid1(VALU_DEP_2)
	v_fma_f64 v[1:2], -v[11:12], v[15:16], v[1:2]
	v_fma_f64 v[3:4], v[9:10], v[15:16], v[3:4]
	s_branch .LBB33_88
.LBB33_95:
	s_or_b32 exec_lo, exec_lo, s1
	s_mov_b32 s0, 0
.LBB33_96:
	s_delay_alu instid0(SALU_CYCLE_1)
	s_and_not1_b32 vcc_lo, exec_lo, s0
	s_cbranch_vccnz .LBB33_121
; %bb.97:
	s_clz_i32_u32 s0, s20
	s_mov_b32 s1, exec_lo
	s_xor_b32 s0, s0, 31
	s_delay_alu instid0(SALU_CYCLE_1) | instskip(SKIP_1) | instid1(SALU_CYCLE_1)
	v_lshrrev_b32_e32 v7, s0, v0
	s_add_i32 s0, s20, -1
	v_dual_mov_b32 v1, 0 :: v_dual_and_b32 v6, s0, v0
	s_delay_alu instid0(VALU_DEP_2) | instskip(NEXT) | instid1(VALU_DEP_1)
	v_dual_mov_b32 v2, 0 :: v_dual_add_nc_u32 v5, s24, v7
	v_dual_mov_b32 v4, v2 :: v_dual_mov_b32 v3, v1
	s_delay_alu instid0(VALU_DEP_2)
	v_cmp_le_i32_e32 vcc_lo, s25, v5
	v_cmpx_gt_i32_e64 s25, v5
	s_cbranch_execz .LBB33_103
; %bb.98:
	v_dual_mov_b32 v3, 0 :: v_dual_lshlrev_b32 v0, 2, v7
	v_subrev_nc_u32_e32 v7, s29, v6
	s_mov_b32 s2, exec_lo
	global_load_b64 v[1:2], v0, s[26:27]
	s_waitcnt vmcnt(0)
	v_dual_mov_b32 v4, 0 :: v_dual_add_nc_u32 v7, v1, v7
	v_subrev_nc_u32_e32 v0, s29, v2
	s_delay_alu instid0(VALU_DEP_2) | instskip(NEXT) | instid1(VALU_DEP_2)
	v_dual_mov_b32 v1, v3 :: v_dual_mov_b32 v2, v4
	v_cmpx_lt_i32_e64 v7, v0
	s_cbranch_execz .LBB33_102
; %bb.99:
	v_dual_mov_b32 v3, 0 :: v_dual_lshlrev_b32 v8, 4, v7
	v_mov_b32_e32 v4, 0
	s_delay_alu instid0(VALU_DEP_2) | instskip(SKIP_2) | instid1(VALU_DEP_2)
	v_mov_b32_e32 v1, v3
	s_lshl_b32 s4, s20, 4
	s_mov_b32 s3, 0
	v_mov_b32_e32 v2, v4
.LBB33_100:                             ; =>This Inner Loop Header: Depth=1
	ds_load_b128 v[13:16], v8
	v_add_nc_u32_e32 v7, s20, v7
	v_add_nc_u32_e32 v8, s4, v8
	s_delay_alu instid0(VALU_DEP_2) | instskip(NEXT) | instid1(VALU_DEP_1)
	v_cmp_ge_i32_e64 s0, v7, v0
	s_or_b32 s3, s0, s3
	s_waitcnt lgkmcnt(0)
	v_add_f64 v[1:2], v[1:2], v[13:14]
	v_add_f64 v[3:4], v[3:4], v[15:16]
	s_and_not1_b32 exec_lo, exec_lo, s3
	s_cbranch_execnz .LBB33_100
; %bb.101:
	s_or_b32 exec_lo, exec_lo, s3
.LBB33_102:
	s_delay_alu instid0(SALU_CYCLE_1)
	s_or_b32 exec_lo, exec_lo, s2
.LBB33_103:
	s_delay_alu instid0(SALU_CYCLE_1)
	s_or_b32 exec_lo, exec_lo, s1
	s_cmpk_lt_i32 s20, 0x81
	s_waitcnt_vscnt null, 0x0
	s_barrier
	buffer_gl0_inv
	ds_store_b128 v17, v[1:4]
	s_waitcnt lgkmcnt(0)
	s_barrier
	buffer_gl0_inv
	s_cbranch_scc1 .LBB33_105
; %bb.104:
	ds_load_b128 v[13:16], v17 offset:2048
	s_waitcnt lgkmcnt(0)
	s_barrier
	buffer_gl0_inv
	v_add_f64 v[1:2], v[1:2], v[13:14]
	v_add_f64 v[3:4], v[3:4], v[15:16]
	ds_store_b128 v17, v[1:4]
.LBB33_105:
	s_cmpk_lt_i32 s20, 0x41
	s_waitcnt lgkmcnt(0)
	s_barrier
	buffer_gl0_inv
	s_cbranch_scc1 .LBB33_107
; %bb.106:
	ds_load_b128 v[13:16], v17 offset:1024
	s_waitcnt lgkmcnt(0)
	s_barrier
	buffer_gl0_inv
	v_add_f64 v[1:2], v[1:2], v[13:14]
	v_add_f64 v[3:4], v[3:4], v[15:16]
	ds_store_b128 v17, v[1:4]
.LBB33_107:
	s_cmp_lt_i32 s20, 33
	s_waitcnt lgkmcnt(0)
	s_barrier
	buffer_gl0_inv
	s_cbranch_scc1 .LBB33_109
; %bb.108:
	ds_load_b128 v[13:16], v17 offset:512
	s_waitcnt lgkmcnt(0)
	s_barrier
	buffer_gl0_inv
	v_add_f64 v[1:2], v[1:2], v[13:14]
	v_add_f64 v[3:4], v[3:4], v[15:16]
	ds_store_b128 v17, v[1:4]
.LBB33_109:
	s_cmp_lt_i32 s20, 17
	;; [unrolled: 14-line block ×4, first 2 shown]
	s_waitcnt lgkmcnt(0)
	s_barrier
	buffer_gl0_inv
	s_cbranch_scc1 .LBB33_115
; %bb.114:
	ds_load_b128 v[13:16], v17 offset:64
	s_waitcnt lgkmcnt(0)
	s_barrier
	buffer_gl0_inv
	v_add_f64 v[1:2], v[1:2], v[13:14]
	v_add_f64 v[3:4], v[3:4], v[15:16]
	ds_store_b128 v17, v[1:4]
.LBB33_115:
	s_cmp_eq_u32 s20, 2
	s_waitcnt lgkmcnt(0)
	s_barrier
	buffer_gl0_inv
	s_cbranch_scc1 .LBB33_117
; %bb.116:
	ds_load_b128 v[13:16], v17 offset:32
	s_waitcnt lgkmcnt(0)
	s_barrier
	buffer_gl0_inv
	v_add_f64 v[1:2], v[1:2], v[13:14]
	v_add_f64 v[3:4], v[3:4], v[15:16]
	ds_store_b128 v17, v[1:4]
.LBB33_117:
	s_waitcnt lgkmcnt(0)
	s_barrier
	buffer_gl0_inv
	ds_load_b128 v[13:16], v17 offset:16
	v_cmp_eq_u32_e64 s0, 0, v6
	s_xor_b32 s1, vcc_lo, -1
	s_waitcnt lgkmcnt(0)
	s_barrier
	buffer_gl0_inv
	s_and_b32 s0, s0, s1
	v_add_f64 v[0:1], v[1:2], v[13:14]
	v_add_f64 v[2:3], v[3:4], v[15:16]
	ds_store_b128 v17, v[0:3]
	s_and_b32 exec_lo, exec_lo, s0
	s_cbranch_execz .LBB33_121
; %bb.118:
	v_cmp_neq_f64_e32 vcc_lo, 0, v[9:10]
	v_cmp_neq_f64_e64 s0, 0, v[11:12]
	v_ashrrev_i32_e32 v6, 31, v5
	s_delay_alu instid0(VALU_DEP_1) | instskip(NEXT) | instid1(VALU_DEP_3)
	v_lshlrev_b64 v[4:5], 4, v[5:6]
	s_or_b32 s1, vcc_lo, s0
	s_delay_alu instid0(SALU_CYCLE_1)
	s_and_saveexec_b32 s0, s1
	s_cbranch_execz .LBB33_120
; %bb.119:
	s_delay_alu instid0(VALU_DEP_1) | instskip(NEXT) | instid1(VALU_DEP_2)
	v_add_co_u32 v6, vcc_lo, s22, v4
	v_add_co_ci_u32_e32 v7, vcc_lo, s23, v5, vcc_lo
	global_load_b128 v[13:16], v[6:7], off
	s_waitcnt vmcnt(0)
	v_fma_f64 v[0:1], v[9:10], v[13:14], v[0:1]
	v_fma_f64 v[2:3], v[11:12], v[13:14], v[2:3]
	s_delay_alu instid0(VALU_DEP_2) | instskip(NEXT) | instid1(VALU_DEP_2)
	v_fma_f64 v[0:1], -v[11:12], v[15:16], v[0:1]
	v_fma_f64 v[2:3], v[9:10], v[15:16], v[2:3]
.LBB33_120:
	s_or_b32 exec_lo, exec_lo, s0
	s_delay_alu instid0(VALU_DEP_1)
	v_add_co_u32 v4, vcc_lo, s22, v4
	v_add_co_ci_u32_e32 v5, vcc_lo, s23, v5, vcc_lo
	global_store_b128 v[4:5], v[0:3], off
.LBB33_121:
	s_endpgm
	.section	.rodata,"a",@progbits
	.p2align	6, 0x0
	.amdhsa_kernel _ZN9rocsparseL22csrmvn_adaptive_kernelIii21rocsparse_complex_numIdES2_S2_S2_EEvbT_PKS3_PjPKT0_NS_24const_host_device_scalarIT4_EES5_S9_PKT1_PKT2_SC_PT3_21rocsparse_index_base_b
		.amdhsa_group_segment_fixed_size 16384
		.amdhsa_private_segment_fixed_size 24
		.amdhsa_kernarg_size 112
		.amdhsa_user_sgpr_count 15
		.amdhsa_user_sgpr_dispatch_ptr 0
		.amdhsa_user_sgpr_queue_ptr 0
		.amdhsa_user_sgpr_kernarg_segment_ptr 1
		.amdhsa_user_sgpr_dispatch_id 0
		.amdhsa_user_sgpr_private_segment_size 0
		.amdhsa_wavefront_size32 1
		.amdhsa_uses_dynamic_stack 0
		.amdhsa_enable_private_segment 1
		.amdhsa_system_sgpr_workgroup_id_x 1
		.amdhsa_system_sgpr_workgroup_id_y 0
		.amdhsa_system_sgpr_workgroup_id_z 0
		.amdhsa_system_sgpr_workgroup_info 0
		.amdhsa_system_vgpr_workitem_id 0
		.amdhsa_next_free_vgpr 50
		.amdhsa_next_free_sgpr 47
		.amdhsa_reserve_vcc 1
		.amdhsa_float_round_mode_32 0
		.amdhsa_float_round_mode_16_64 0
		.amdhsa_float_denorm_mode_32 3
		.amdhsa_float_denorm_mode_16_64 3
		.amdhsa_dx10_clamp 1
		.amdhsa_ieee_mode 1
		.amdhsa_fp16_overflow 0
		.amdhsa_workgroup_processor_mode 1
		.amdhsa_memory_ordered 1
		.amdhsa_forward_progress 0
		.amdhsa_shared_vgpr_count 0
		.amdhsa_exception_fp_ieee_invalid_op 0
		.amdhsa_exception_fp_denorm_src 0
		.amdhsa_exception_fp_ieee_div_zero 0
		.amdhsa_exception_fp_ieee_overflow 0
		.amdhsa_exception_fp_ieee_underflow 0
		.amdhsa_exception_fp_ieee_inexact 0
		.amdhsa_exception_int_div_zero 0
	.end_amdhsa_kernel
	.section	.text._ZN9rocsparseL22csrmvn_adaptive_kernelIii21rocsparse_complex_numIdES2_S2_S2_EEvbT_PKS3_PjPKT0_NS_24const_host_device_scalarIT4_EES5_S9_PKT1_PKT2_SC_PT3_21rocsparse_index_base_b,"axG",@progbits,_ZN9rocsparseL22csrmvn_adaptive_kernelIii21rocsparse_complex_numIdES2_S2_S2_EEvbT_PKS3_PjPKT0_NS_24const_host_device_scalarIT4_EES5_S9_PKT1_PKT2_SC_PT3_21rocsparse_index_base_b,comdat
.Lfunc_end33:
	.size	_ZN9rocsparseL22csrmvn_adaptive_kernelIii21rocsparse_complex_numIdES2_S2_S2_EEvbT_PKS3_PjPKT0_NS_24const_host_device_scalarIT4_EES5_S9_PKT1_PKT2_SC_PT3_21rocsparse_index_base_b, .Lfunc_end33-_ZN9rocsparseL22csrmvn_adaptive_kernelIii21rocsparse_complex_numIdES2_S2_S2_EEvbT_PKS3_PjPKT0_NS_24const_host_device_scalarIT4_EES5_S9_PKT1_PKT2_SC_PT3_21rocsparse_index_base_b
                                        ; -- End function
	.section	.AMDGPU.csdata,"",@progbits
; Kernel info:
; codeLenInByte = 6072
; NumSgprs: 49
; NumVgprs: 50
; ScratchSize: 24
; MemoryBound: 0
; FloatMode: 240
; IeeeMode: 1
; LDSByteSize: 16384 bytes/workgroup (compile time only)
; SGPRBlocks: 6
; VGPRBlocks: 6
; NumSGPRsForWavesPerEU: 49
; NumVGPRsForWavesPerEU: 50
; Occupancy: 16
; WaveLimiterHint : 1
; COMPUTE_PGM_RSRC2:SCRATCH_EN: 1
; COMPUTE_PGM_RSRC2:USER_SGPR: 15
; COMPUTE_PGM_RSRC2:TRAP_HANDLER: 0
; COMPUTE_PGM_RSRC2:TGID_X_EN: 1
; COMPUTE_PGM_RSRC2:TGID_Y_EN: 0
; COMPUTE_PGM_RSRC2:TGID_Z_EN: 0
; COMPUTE_PGM_RSRC2:TIDIG_COMP_CNT: 0
	.section	.text._ZN9rocsparseL22partial_scale_y_kernelIi21rocsparse_complex_numIdES2_EEvT_S3_S3_NS_24const_host_device_scalarIT1_EEPT0_b,"axG",@progbits,_ZN9rocsparseL22partial_scale_y_kernelIi21rocsparse_complex_numIdES2_EEvT_S3_S3_NS_24const_host_device_scalarIT1_EEPT0_b,comdat
	.globl	_ZN9rocsparseL22partial_scale_y_kernelIi21rocsparse_complex_numIdES2_EEvT_S3_S3_NS_24const_host_device_scalarIT1_EEPT0_b ; -- Begin function _ZN9rocsparseL22partial_scale_y_kernelIi21rocsparse_complex_numIdES2_EEvT_S3_S3_NS_24const_host_device_scalarIT1_EEPT0_b
	.p2align	8
	.type	_ZN9rocsparseL22partial_scale_y_kernelIi21rocsparse_complex_numIdES2_EEvT_S3_S3_NS_24const_host_device_scalarIT1_EEPT0_b,@function
_ZN9rocsparseL22partial_scale_y_kernelIi21rocsparse_complex_numIdES2_EEvT_S3_S3_NS_24const_host_device_scalarIT1_EEPT0_b: ; @_ZN9rocsparseL22partial_scale_y_kernelIi21rocsparse_complex_numIdES2_EEvT_S3_S3_NS_24const_host_device_scalarIT1_EEPT0_b
; %bb.0:
	s_load_b64 s[0:1], s[0:1], 0x4
	s_clause 0x1
	s_load_b32 s8, s[2:3], 0x28
	s_load_b128 s[4:7], s[2:3], 0x10
	v_and_b32_e32 v4, 0x3ff, v0
	v_bfe_u32 v2, v0, 10, 10
	v_bfe_u32 v0, v0, 20, 10
	s_waitcnt lgkmcnt(0)
	s_lshr_b32 s0, s0, 16
	s_delay_alu instid0(SALU_CYCLE_1) | instskip(NEXT) | instid1(SALU_CYCLE_1)
	s_mul_i32 s0, s0, s1
	v_mul_lo_u32 v1, s0, v4
	s_and_b32 s0, 1, s8
	s_delay_alu instid0(SALU_CYCLE_1) | instskip(SKIP_1) | instid1(VALU_DEP_1)
	s_cmp_eq_u32 s0, 1
	s_cselect_b32 vcc_lo, -1, 0
	v_mad_u32_u24 v1, v2, s1, v1
	s_mov_b64 s[0:1], src_shared_base
	s_delay_alu instid0(VALU_DEP_1) | instskip(NEXT) | instid1(VALU_DEP_1)
	v_add_lshl_u32 v5, v1, v0, 3
	v_cndmask_b32_e32 v0, s4, v5, vcc_lo
	s_and_b32 vcc_lo, vcc_lo, exec_lo
	s_cselect_b32 s0, s1, s5
	s_delay_alu instid0(SALU_CYCLE_1)
	v_dual_mov_b32 v2, s4 :: v_dual_mov_b32 v1, s0
	v_mov_b32_e32 v3, s5
	ds_store_b64 v5, v[2:3]
	flat_load_b64 v[0:1], v[0:1]
	v_dual_mov_b32 v2, s6 :: v_dual_mov_b32 v3, s7
	s_cbranch_vccnz .LBB34_2
; %bb.1:
	v_dual_mov_b32 v2, s4 :: v_dual_mov_b32 v3, s5
	flat_load_b64 v[2:3], v[2:3] offset:8
.LBB34_2:
	s_waitcnt vmcnt(0) lgkmcnt(0)
	v_cmp_neq_f64_e32 vcc_lo, 1.0, v[0:1]
	s_delay_alu instid0(VALU_DEP_2) | instskip(NEXT) | instid1(VALU_DEP_1)
	v_cmp_neq_f64_e64 s0, 0, v[2:3]
	s_or_b32 s0, vcc_lo, s0
	s_delay_alu instid0(SALU_CYCLE_1)
	s_and_saveexec_b32 s1, s0
	s_cbranch_execz .LBB34_15
; %bb.3:
	s_load_b128 s[4:7], s[2:3], 0x0
	v_lshl_or_b32 v4, s15, 8, v4
	s_waitcnt lgkmcnt(0)
	s_add_i32 s0, s5, s4
	s_delay_alu instid0(SALU_CYCLE_1)
	s_sub_i32 s0, s0, s6
	s_delay_alu instid0(VALU_DEP_1) | instid1(SALU_CYCLE_1)
	v_cmp_gt_i32_e32 vcc_lo, s0, v4
	s_and_b32 exec_lo, exec_lo, vcc_lo
	s_cbranch_execz .LBB34_15
; %bb.4:
	v_cmp_neq_f64_e32 vcc_lo, 0, v[0:1]
	v_cmp_neq_f64_e64 s0, 0, v[2:3]
	s_load_b64 s[2:3], s[2:3], 0x20
	v_cmp_le_i32_e64 s1, s5, v4
	s_delay_alu instid0(VALU_DEP_2) | instskip(NEXT) | instid1(VALU_DEP_1)
	s_or_b32 s0, vcc_lo, s0
	s_and_saveexec_b32 s4, s1
	s_delay_alu instid0(SALU_CYCLE_1)
	s_xor_b32 s1, exec_lo, s4
	s_cbranch_execz .LBB34_10
; %bb.5:
	v_subrev_nc_u32_e32 v4, s5, v4
	s_delay_alu instid0(VALU_DEP_1) | instskip(NEXT) | instid1(VALU_DEP_1)
	v_add_nc_u32_e32 v4, s6, v4
	v_ashrrev_i32_e32 v5, 31, v4
	s_delay_alu instid0(VALU_DEP_1) | instskip(SKIP_1) | instid1(VALU_DEP_1)
	v_lshlrev_b64 v[4:5], 4, v[4:5]
	s_waitcnt lgkmcnt(0)
	v_add_co_u32 v4, vcc_lo, s2, v4
	s_delay_alu instid0(VALU_DEP_2) | instskip(SKIP_1) | instid1(SALU_CYCLE_1)
	v_add_co_ci_u32_e32 v5, vcc_lo, s3, v5, vcc_lo
	s_and_saveexec_b32 s4, s0
	s_xor_b32 s4, exec_lo, s4
	s_cbranch_execz .LBB34_7
; %bb.6:
	global_load_b128 v[6:9], v[4:5], off
	s_waitcnt vmcnt(0)
	v_mul_f64 v[10:11], v[2:3], -v[8:9]
	v_mul_f64 v[2:3], v[2:3], v[6:7]
	s_delay_alu instid0(VALU_DEP_2) | instskip(NEXT) | instid1(VALU_DEP_2)
	v_fma_f64 v[6:7], v[6:7], v[0:1], v[10:11]
	v_fma_f64 v[8:9], v[8:9], v[0:1], v[2:3]
	global_store_b128 v[4:5], v[6:9], off
                                        ; implicit-def: $vgpr4_vgpr5
.LBB34_7:
	s_and_not1_saveexec_b32 s4, s4
	s_cbranch_execz .LBB34_9
; %bb.8:
	v_mov_b32_e32 v0, 0
	s_delay_alu instid0(VALU_DEP_1)
	v_mov_b32_e32 v1, v0
	v_mov_b32_e32 v2, v0
	;; [unrolled: 1-line block ×3, first 2 shown]
	global_store_b128 v[4:5], v[0:3], off
.LBB34_9:
	s_or_b32 exec_lo, exec_lo, s4
                                        ; implicit-def: $vgpr4
                                        ; implicit-def: $vgpr2_vgpr3
                                        ; implicit-def: $vgpr0_vgpr1
.LBB34_10:
	s_and_not1_saveexec_b32 s1, s1
	s_cbranch_execz .LBB34_15
; %bb.11:
	v_ashrrev_i32_e32 v5, 31, v4
	s_delay_alu instid0(VALU_DEP_1) | instskip(SKIP_1) | instid1(VALU_DEP_1)
	v_lshlrev_b64 v[4:5], 4, v[4:5]
	s_waitcnt lgkmcnt(0)
	v_add_co_u32 v4, vcc_lo, s2, v4
	s_delay_alu instid0(VALU_DEP_2) | instskip(SKIP_1) | instid1(SALU_CYCLE_1)
	v_add_co_ci_u32_e32 v5, vcc_lo, s3, v5, vcc_lo
	s_and_saveexec_b32 s1, s0
	s_xor_b32 s0, exec_lo, s1
	s_cbranch_execz .LBB34_13
; %bb.12:
	global_load_b128 v[6:9], v[4:5], off
	s_waitcnt vmcnt(0)
	v_mul_f64 v[10:11], v[2:3], -v[8:9]
	v_mul_f64 v[2:3], v[2:3], v[6:7]
	s_delay_alu instid0(VALU_DEP_2) | instskip(NEXT) | instid1(VALU_DEP_2)
	v_fma_f64 v[6:7], v[6:7], v[0:1], v[10:11]
	v_fma_f64 v[8:9], v[8:9], v[0:1], v[2:3]
	global_store_b128 v[4:5], v[6:9], off
                                        ; implicit-def: $vgpr4_vgpr5
.LBB34_13:
	s_and_not1_saveexec_b32 s0, s0
	s_cbranch_execz .LBB34_15
; %bb.14:
	v_mov_b32_e32 v0, 0
	s_delay_alu instid0(VALU_DEP_1)
	v_mov_b32_e32 v1, v0
	v_mov_b32_e32 v2, v0
	;; [unrolled: 1-line block ×3, first 2 shown]
	global_store_b128 v[4:5], v[0:3], off
.LBB34_15:
	s_nop 0
	s_sendmsg sendmsg(MSG_DEALLOC_VGPRS)
	s_endpgm
	.section	.rodata,"a",@progbits
	.p2align	6, 0x0
	.amdhsa_kernel _ZN9rocsparseL22partial_scale_y_kernelIi21rocsparse_complex_numIdES2_EEvT_S3_S3_NS_24const_host_device_scalarIT1_EEPT0_b
		.amdhsa_group_segment_fixed_size 2048
		.amdhsa_private_segment_fixed_size 0
		.amdhsa_kernarg_size 44
		.amdhsa_user_sgpr_count 15
		.amdhsa_user_sgpr_dispatch_ptr 1
		.amdhsa_user_sgpr_queue_ptr 0
		.amdhsa_user_sgpr_kernarg_segment_ptr 1
		.amdhsa_user_sgpr_dispatch_id 0
		.amdhsa_user_sgpr_private_segment_size 0
		.amdhsa_wavefront_size32 1
		.amdhsa_uses_dynamic_stack 0
		.amdhsa_enable_private_segment 0
		.amdhsa_system_sgpr_workgroup_id_x 1
		.amdhsa_system_sgpr_workgroup_id_y 0
		.amdhsa_system_sgpr_workgroup_id_z 0
		.amdhsa_system_sgpr_workgroup_info 0
		.amdhsa_system_vgpr_workitem_id 2
		.amdhsa_next_free_vgpr 12
		.amdhsa_next_free_sgpr 16
		.amdhsa_reserve_vcc 1
		.amdhsa_float_round_mode_32 0
		.amdhsa_float_round_mode_16_64 0
		.amdhsa_float_denorm_mode_32 3
		.amdhsa_float_denorm_mode_16_64 3
		.amdhsa_dx10_clamp 1
		.amdhsa_ieee_mode 1
		.amdhsa_fp16_overflow 0
		.amdhsa_workgroup_processor_mode 1
		.amdhsa_memory_ordered 1
		.amdhsa_forward_progress 0
		.amdhsa_shared_vgpr_count 0
		.amdhsa_exception_fp_ieee_invalid_op 0
		.amdhsa_exception_fp_denorm_src 0
		.amdhsa_exception_fp_ieee_div_zero 0
		.amdhsa_exception_fp_ieee_overflow 0
		.amdhsa_exception_fp_ieee_underflow 0
		.amdhsa_exception_fp_ieee_inexact 0
		.amdhsa_exception_int_div_zero 0
	.end_amdhsa_kernel
	.section	.text._ZN9rocsparseL22partial_scale_y_kernelIi21rocsparse_complex_numIdES2_EEvT_S3_S3_NS_24const_host_device_scalarIT1_EEPT0_b,"axG",@progbits,_ZN9rocsparseL22partial_scale_y_kernelIi21rocsparse_complex_numIdES2_EEvT_S3_S3_NS_24const_host_device_scalarIT1_EEPT0_b,comdat
.Lfunc_end34:
	.size	_ZN9rocsparseL22partial_scale_y_kernelIi21rocsparse_complex_numIdES2_EEvT_S3_S3_NS_24const_host_device_scalarIT1_EEPT0_b, .Lfunc_end34-_ZN9rocsparseL22partial_scale_y_kernelIi21rocsparse_complex_numIdES2_EEvT_S3_S3_NS_24const_host_device_scalarIT1_EEPT0_b
                                        ; -- End function
	.section	.AMDGPU.csdata,"",@progbits
; Kernel info:
; codeLenInByte = 640
; NumSgprs: 18
; NumVgprs: 12
; ScratchSize: 0
; MemoryBound: 0
; FloatMode: 240
; IeeeMode: 1
; LDSByteSize: 2048 bytes/workgroup (compile time only)
; SGPRBlocks: 2
; VGPRBlocks: 1
; NumSGPRsForWavesPerEU: 18
; NumVGPRsForWavesPerEU: 12
; Occupancy: 16
; WaveLimiterHint : 0
; COMPUTE_PGM_RSRC2:SCRATCH_EN: 0
; COMPUTE_PGM_RSRC2:USER_SGPR: 15
; COMPUTE_PGM_RSRC2:TRAP_HANDLER: 0
; COMPUTE_PGM_RSRC2:TGID_X_EN: 1
; COMPUTE_PGM_RSRC2:TGID_Y_EN: 0
; COMPUTE_PGM_RSRC2:TGID_Z_EN: 0
; COMPUTE_PGM_RSRC2:TIDIG_COMP_CNT: 2
	.section	.text._ZN9rocsparseL27csrmvn_symm_adaptive_kernelIii21rocsparse_complex_numIdES2_S2_S2_EEvbT_S3_PKS3_NS_24const_host_device_scalarIT4_EES5_PKT0_PKT1_PKT2_S8_PT3_21rocsparse_index_base_b,"axG",@progbits,_ZN9rocsparseL27csrmvn_symm_adaptive_kernelIii21rocsparse_complex_numIdES2_S2_S2_EEvbT_S3_PKS3_NS_24const_host_device_scalarIT4_EES5_PKT0_PKT1_PKT2_S8_PT3_21rocsparse_index_base_b,comdat
	.globl	_ZN9rocsparseL27csrmvn_symm_adaptive_kernelIii21rocsparse_complex_numIdES2_S2_S2_EEvbT_S3_PKS3_NS_24const_host_device_scalarIT4_EES5_PKT0_PKT1_PKT2_S8_PT3_21rocsparse_index_base_b ; -- Begin function _ZN9rocsparseL27csrmvn_symm_adaptive_kernelIii21rocsparse_complex_numIdES2_S2_S2_EEvbT_S3_PKS3_NS_24const_host_device_scalarIT4_EES5_PKT0_PKT1_PKT2_S8_PT3_21rocsparse_index_base_b
	.p2align	8
	.type	_ZN9rocsparseL27csrmvn_symm_adaptive_kernelIii21rocsparse_complex_numIdES2_S2_S2_EEvbT_S3_PKS3_NS_24const_host_device_scalarIT4_EES5_PKT0_PKT1_PKT2_S8_PT3_21rocsparse_index_base_b,@function
_ZN9rocsparseL27csrmvn_symm_adaptive_kernelIii21rocsparse_complex_numIdES2_S2_S2_EEvbT_S3_PKS3_NS_24const_host_device_scalarIT4_EES5_PKT0_PKT1_PKT2_S8_PT3_21rocsparse_index_base_b: ; @_ZN9rocsparseL27csrmvn_symm_adaptive_kernelIii21rocsparse_complex_numIdES2_S2_S2_EEvbT_S3_PKS3_NS_24const_host_device_scalarIT4_EES5_PKT0_PKT1_PKT2_S8_PT3_21rocsparse_index_base_b
; %bb.0:
	s_clause 0x2
	s_load_b64 s[24:25], s[0:1], 0x60
	s_load_b128 s[8:11], s[0:1], 0x18
	s_load_b128 s[4:7], s[0:1], 0x48
	s_mov_b64 s[2:3], src_private_base
	v_mov_b32_e32 v1, 0
	s_mov_b32 s12, s15
	s_waitcnt lgkmcnt(0)
	s_bitcmp1_b32 s25, 0
	v_dual_mov_b32 v3, s8 :: v_dual_mov_b32 v6, s5
	s_cselect_b32 s2, -1, 0
	v_mov_b32_e32 v4, s9
	s_and_b32 vcc_lo, s2, exec_lo
	s_cselect_b32 s13, s3, s9
	v_cndmask_b32_e64 v1, s8, v1, s2
	v_dual_mov_b32 v5, s4 :: v_dual_mov_b32 v2, s13
	s_clause 0x1
	scratch_store_b64 off, v[3:4], off
	scratch_store_b64 off, v[5:6], off offset:8
	v_dual_mov_b32 v14, s11 :: v_dual_mov_b32 v13, s10
	flat_load_b64 v[11:12], v[1:2]
	s_xor_b32 s10, s2, -1
	s_cbranch_vccnz .LBB35_2
; %bb.1:
	v_dual_mov_b32 v1, s8 :: v_dual_mov_b32 v2, s9
	flat_load_b64 v[13:14], v[1:2] offset:8
.LBB35_2:
	s_and_b32 s8, s2, exec_lo
	s_cselect_b32 s3, s3, s5
	s_delay_alu instid0(SALU_CYCLE_1) | instskip(SKIP_2) | instid1(VALU_DEP_2)
	v_dual_mov_b32 v1, 8 :: v_dual_mov_b32 v2, s3
	v_dual_mov_b32 v3, s6 :: v_dual_mov_b32 v4, s7
	s_and_not1_b32 vcc_lo, exec_lo, s10
	v_cndmask_b32_e64 v1, s4, v1, s2
	flat_load_b64 v[1:2], v[1:2]
	s_cbranch_vccnz .LBB35_4
; %bb.3:
	v_dual_mov_b32 v3, s4 :: v_dual_mov_b32 v4, s5
	flat_load_b64 v[3:4], v[3:4] offset:8
.LBB35_4:
	s_waitcnt vmcnt(1) lgkmcnt(1)
	v_cmp_eq_f64_e32 vcc_lo, 0, v[11:12]
	v_cmp_eq_f64_e64 s2, 0, v[13:14]
	s_delay_alu instid0(VALU_DEP_1)
	s_and_b32 s4, vcc_lo, s2
	s_mov_b32 s2, -1
	s_and_saveexec_b32 s3, s4
	s_cbranch_execz .LBB35_6
; %bb.5:
	s_waitcnt vmcnt(0) lgkmcnt(0)
	v_cmp_neq_f64_e32 vcc_lo, 1.0, v[1:2]
	v_cmp_neq_f64_e64 s2, 0, v[3:4]
	s_delay_alu instid0(VALU_DEP_1) | instskip(NEXT) | instid1(SALU_CYCLE_1)
	s_or_b32 s2, vcc_lo, s2
	s_or_not1_b32 s2, s2, exec_lo
.LBB35_6:
	s_or_b32 exec_lo, exec_lo, s3
	s_and_saveexec_b32 s3, s2
	s_cbranch_execz .LBB35_226
; %bb.7:
	s_clause 0x1
	s_load_b128 s[8:11], s[0:1], 0x0
	s_load_b64 s[14:15], s[0:1], 0x10
	s_mov_b32 s4, 0
	v_subrev_nc_u32_e32 v24, s24, v0
	s_mov_b32 s5, s4
	s_mov_b32 s6, s4
	;; [unrolled: 1-line block ×3, first 2 shown]
	s_waitcnt vmcnt(0) lgkmcnt(0)
	v_dual_mov_b32 v1, s4 :: v_dual_mov_b32 v4, s7
	v_dual_mov_b32 v2, s5 :: v_dual_lshlrev_b32 v23, 4, v0
	v_mov_b32_e32 v3, s6
	ds_store_b128 v23, v[1:4]
	ds_store_b128 v23, v[1:4] offset:4096
	ds_store_b128 v23, v[1:4] offset:8192
	ds_store_b128 v23, v[1:4] offset:12288
	s_waitcnt lgkmcnt(0)
	s_waitcnt_vscnt null, 0x0
	s_barrier
	s_bitcmp1_b32 s8, 0
	buffer_gl0_inv
	s_cselect_b32 s2, -1, 0
	s_ashr_i32 s13, s12, 31
	s_mov_b32 s3, -1
	s_lshl_b64 s[4:5], s[12:13], 2
	s_delay_alu instid0(SALU_CYCLE_1)
	s_add_u32 s4, s14, s4
	s_addc_u32 s5, s15, s5
	s_load_b64 s[22:23], s[4:5], 0x0
	s_clause 0x1
	s_load_b64 s[20:21], s[0:1], 0x58
	s_load_b256 s[12:19], s[0:1], 0x28
	s_waitcnt lgkmcnt(0)
	s_sub_i32 s11, s23, s22
	s_delay_alu instid0(SALU_CYCLE_1)
	s_cmp_gt_i32 s11, 2
	s_cbranch_scc1 .LBB35_53
; %bb.8:
	s_cmp_gt_i32 s23, s22
	s_cbranch_scc1 .LBB35_10
; %bb.9:
	s_ashr_i32 s5, s22, 31
	s_mov_b32 s4, s22
	s_delay_alu instid0(SALU_CYCLE_1) | instskip(NEXT) | instid1(SALU_CYCLE_1)
	s_lshl_b64 s[4:5], s[4:5], 2
	s_add_u32 s4, s12, s4
	s_addc_u32 s5, s13, s5
	s_load_b32 s25, s[4:5], 0x0
	s_cbranch_execz .LBB35_11
	s_branch .LBB35_40
.LBB35_10:
                                        ; implicit-def: $sgpr25
	s_and_not1_b32 vcc_lo, exec_lo, s3
	s_cbranch_vccnz .LBB35_40
.LBB35_11:
	s_ashr_i32 s5, s22, 31
	s_mov_b32 s4, s22
	v_cmp_gt_u32_e32 vcc_lo, 0x100, v0
	s_lshl_b64 s[4:5], s[4:5], 2
	v_cmp_gt_u32_e64 s3, 64, v0
	s_add_u32 s4, s12, s4
	s_addc_u32 s5, s13, s5
	v_cmp_eq_u32_e64 s6, 0, v0
	s_waitcnt lgkmcnt(0)
	s_load_b32 s25, s[4:5], 0x0
	v_cmp_gt_u32_e64 s4, 16, v0
	v_cmp_gt_u32_e64 s5, 4, v0
	v_mov_b32_e32 v15, 0
	s_add_u32 s30, s12, 4
	s_addc_u32 s31, s13, 0
	s_add_u32 s33, s16, 8
	s_addc_u32 s34, s17, 0
	s_mov_b32 s26, s22
	s_waitcnt lgkmcnt(0)
	s_mov_b32 s35, s25
	s_branch .LBB35_13
.LBB35_12:                              ;   in Loop: Header=BB35_13 Depth=1
	s_or_b32 exec_lo, exec_lo, s8
	s_add_i32 s26, s26, 1
	s_delay_alu instid0(SALU_CYCLE_1)
	s_cmp_ge_i32 s26, s23
	s_cbranch_scc1 .LBB35_40
.LBB35_13:                              ; =>This Loop Header: Depth=1
                                        ;     Child Loop BB35_15 Depth 2
                                        ;     Child Loop BB35_29 Depth 2
	;; [unrolled: 1-line block ×5, first 2 shown]
	s_ashr_i32 s27, s26, 31
	s_mov_b32 s7, s35
	s_lshl_b64 s[28:29], s[26:27], 2
	v_mov_b32_e32 v3, 0
	s_add_u32 s28, s30, s28
	s_addc_u32 s29, s31, s29
	v_dual_mov_b32 v4, 0 :: v_dual_add_nc_u32 v5, s7, v24
	s_load_b32 s35, s[28:29], 0x0
	v_mov_b32_e32 v1, v3
	s_mov_b32 s28, exec_lo
	s_delay_alu instid0(VALU_DEP_2) | instskip(SKIP_2) | instid1(SALU_CYCLE_1)
	v_mov_b32_e32 v2, v4
	s_waitcnt lgkmcnt(0)
	s_sub_i32 s29, s35, s24
	v_cmpx_gt_i32_e64 s29, v5
	s_cbranch_execz .LBB35_17
; %bb.14:                               ;   in Loop: Header=BB35_13 Depth=1
	v_ashrrev_i32_e32 v6, 31, v5
	v_mov_b32_e32 v3, 0
	v_mov_b32_e32 v4, 0
	s_mov_b32 s36, 0
	s_delay_alu instid0(VALU_DEP_3) | instskip(SKIP_1) | instid1(VALU_DEP_2)
	v_lshlrev_b64 v[1:2], 2, v[5:6]
	v_lshlrev_b64 v[8:9], 4, v[5:6]
	v_add_co_u32 v6, s7, s14, v1
	s_delay_alu instid0(VALU_DEP_1) | instskip(NEXT) | instid1(VALU_DEP_3)
	v_add_co_ci_u32_e64 v7, s7, s15, v2, s7
	v_add_co_u32 v8, s7, s33, v8
	s_delay_alu instid0(VALU_DEP_1)
	v_add_co_ci_u32_e64 v9, s7, s34, v9, s7
	v_dual_mov_b32 v1, v3 :: v_dual_mov_b32 v2, v4
	s_set_inst_prefetch_distance 0x1
	.p2align	6
.LBB35_15:                              ;   Parent Loop BB35_13 Depth=1
                                        ; =>  This Inner Loop Header: Depth=2
	global_load_b32 v10, v[6:7], off
	v_add_nc_u32_e32 v5, 0x100, v5
	s_waitcnt vmcnt(0)
	v_subrev_nc_u32_e32 v16, s24, v10
	s_delay_alu instid0(VALU_DEP_1) | instskip(NEXT) | instid1(VALU_DEP_1)
	v_ashrrev_i32_e32 v17, 31, v16
	v_lshlrev_b64 v[20:21], 4, v[16:17]
	global_load_b128 v[16:19], v[8:9], off offset:-8
	v_add_co_u32 v8, s8, 0x1000, v8
	s_delay_alu instid0(VALU_DEP_1) | instskip(SKIP_1) | instid1(VALU_DEP_1)
	v_add_co_ci_u32_e64 v9, s8, 0, v9, s8
	v_add_co_u32 v20, s7, s18, v20
	v_add_co_ci_u32_e64 v21, s7, s19, v21, s7
	v_add_co_u32 v6, s7, 0x400, v6
	s_delay_alu instid0(VALU_DEP_1) | instskip(SKIP_2) | instid1(VALU_DEP_1)
	v_add_co_ci_u32_e64 v7, s7, 0, v7, s7
	global_load_b128 v[25:28], v[20:21], off
	v_cmp_le_i32_e64 s7, s29, v5
	s_or_b32 s36, s7, s36
	s_waitcnt vmcnt(1)
	v_xor_b32_e32 v10, 0x80000000, v19
	s_delay_alu instid0(VALU_DEP_1) | instskip(SKIP_2) | instid1(VALU_DEP_2)
	v_cndmask_b32_e64 v19, v19, v10, s2
	s_waitcnt vmcnt(0)
	v_fma_f64 v[1:2], v[16:17], v[25:26], v[1:2]
	v_fma_f64 v[3:4], v[18:19], v[25:26], v[3:4]
	s_delay_alu instid0(VALU_DEP_2) | instskip(NEXT) | instid1(VALU_DEP_2)
	v_fma_f64 v[1:2], -v[18:19], v[27:28], v[1:2]
	v_fma_f64 v[3:4], v[16:17], v[27:28], v[3:4]
	s_and_not1_b32 exec_lo, exec_lo, s36
	s_cbranch_execnz .LBB35_15
; %bb.16:                               ;   in Loop: Header=BB35_13 Depth=1
	s_set_inst_prefetch_distance 0x2
	s_or_b32 exec_lo, exec_lo, s36
.LBB35_17:                              ;   in Loop: Header=BB35_13 Depth=1
	s_delay_alu instid0(SALU_CYCLE_1)
	s_or_b32 exec_lo, exec_lo, s28
	ds_store_b128 v23, v[1:4]
	s_waitcnt lgkmcnt(0)
	s_barrier
	buffer_gl0_inv
	s_and_saveexec_b32 s7, vcc_lo
	s_cbranch_execz .LBB35_19
; %bb.18:                               ;   in Loop: Header=BB35_13 Depth=1
	ds_load_b128 v[1:4], v23 offset:4096
	ds_load_b128 v[5:8], v23 offset:8192
	ds_load_b128 v[16:19], v23 offset:12288
	ds_load_b128 v[25:28], v23
	s_waitcnt lgkmcnt(2)
	v_add_f64 v[1:2], v[5:6], v[1:2]
	v_add_f64 v[3:4], v[7:8], v[3:4]
	s_waitcnt lgkmcnt(1)
	s_delay_alu instid0(VALU_DEP_2) | instskip(NEXT) | instid1(VALU_DEP_2)
	v_add_f64 v[1:2], v[1:2], v[16:17]
	v_add_f64 v[3:4], v[3:4], v[18:19]
	s_waitcnt lgkmcnt(0)
	s_delay_alu instid0(VALU_DEP_2) | instskip(NEXT) | instid1(VALU_DEP_2)
	v_add_f64 v[1:2], v[1:2], v[25:26]
	v_add_f64 v[3:4], v[3:4], v[27:28]
	ds_store_b128 v23, v[1:4]
.LBB35_19:                              ;   in Loop: Header=BB35_13 Depth=1
	s_or_b32 exec_lo, exec_lo, s7
	s_waitcnt lgkmcnt(0)
	s_barrier
	buffer_gl0_inv
	s_and_saveexec_b32 s7, s3
	s_cbranch_execz .LBB35_21
; %bb.20:                               ;   in Loop: Header=BB35_13 Depth=1
	ds_load_b128 v[1:4], v23 offset:1024
	ds_load_b128 v[5:8], v23 offset:2048
	ds_load_b128 v[16:19], v23 offset:3072
	ds_load_b128 v[25:28], v23
	s_waitcnt lgkmcnt(2)
	v_add_f64 v[1:2], v[5:6], v[1:2]
	v_add_f64 v[3:4], v[7:8], v[3:4]
	s_waitcnt lgkmcnt(1)
	s_delay_alu instid0(VALU_DEP_2) | instskip(NEXT) | instid1(VALU_DEP_2)
	v_add_f64 v[1:2], v[1:2], v[16:17]
	v_add_f64 v[3:4], v[3:4], v[18:19]
	s_waitcnt lgkmcnt(0)
	s_delay_alu instid0(VALU_DEP_2) | instskip(NEXT) | instid1(VALU_DEP_2)
	v_add_f64 v[1:2], v[1:2], v[25:26]
	v_add_f64 v[3:4], v[3:4], v[27:28]
	ds_store_b128 v23, v[1:4]
.LBB35_21:                              ;   in Loop: Header=BB35_13 Depth=1
	s_or_b32 exec_lo, exec_lo, s7
	s_waitcnt lgkmcnt(0)
	s_barrier
	buffer_gl0_inv
	s_and_saveexec_b32 s7, s4
	;; [unrolled: 24-line block ×5, first 2 shown]
	s_cbranch_execz .LBB35_12
; %bb.28:                               ;   in Loop: Header=BB35_13 Depth=1
	ds_load_b128 v[1:4], v15
	v_mov_b32_e32 v9, 0
	v_bfrev_b32_e32 v10, 1
	s_mov_b32 s7, exec_lo
	s_waitcnt lgkmcnt(0)
	v_mul_f64 v[5:6], v[3:4], -v[13:14]
	s_delay_alu instid0(VALU_DEP_1)
	v_fma_f64 v[5:6], v[11:12], v[1:2], v[5:6]
.LBB35_29:                              ;   Parent Loop BB35_13 Depth=1
                                        ; =>  This Inner Loop Header: Depth=2
	s_ctz_i32_b32 s36, s7
	s_delay_alu instid0(VALU_DEP_1) | instid1(SALU_CYCLE_1)
	v_readlane_b32 s29, v6, s36
	s_delay_alu instid0(VALU_DEP_2) | instskip(NEXT) | instid1(VALU_DEP_1)
	v_readlane_b32 s28, v5, s36
	v_add_f64 v[9:10], v[9:10], s[28:29]
	s_lshl_b32 s28, 1, s36
	s_delay_alu instid0(SALU_CYCLE_1) | instskip(NEXT) | instid1(SALU_CYCLE_1)
	s_and_not1_b32 s7, s7, s28
	s_cmp_lg_u32 s7, 0
	s_cbranch_scc1 .LBB35_29
; %bb.30:                               ;   in Loop: Header=BB35_13 Depth=1
	v_mbcnt_lo_u32_b32 v5, exec_lo, 0
	s_lshl_b64 s[28:29], s[26:27], 4
	s_mov_b32 s27, exec_lo
	s_add_u32 s28, s20, s28
	s_addc_u32 s29, s21, s29
	v_cmpx_eq_u32_e32 0, v5
	s_xor_b32 s27, exec_lo, s27
	s_cbranch_execz .LBB35_34
; %bb.31:                               ;   in Loop: Header=BB35_13 Depth=1
	global_load_b64 v[7:8], v15, s[28:29]
	s_mov_b32 s36, 0
.LBB35_32:                              ;   Parent Loop BB35_13 Depth=1
                                        ; =>  This Inner Loop Header: Depth=2
	s_waitcnt vmcnt(0)
	v_add_f64 v[5:6], v[7:8], v[9:10]
	global_atomic_cmpswap_b64 v[5:6], v15, v[5:8], s[28:29] glc
	s_waitcnt vmcnt(0)
	v_cmp_eq_u64_e64 s7, v[5:6], v[7:8]
	v_dual_mov_b32 v8, v6 :: v_dual_mov_b32 v7, v5
	s_delay_alu instid0(VALU_DEP_2) | instskip(NEXT) | instid1(SALU_CYCLE_1)
	s_or_b32 s36, s7, s36
	s_and_not1_b32 exec_lo, exec_lo, s36
	s_cbranch_execnz .LBB35_32
; %bb.33:                               ;   in Loop: Header=BB35_13 Depth=1
	s_or_b32 exec_lo, exec_lo, s36
.LBB35_34:                              ;   in Loop: Header=BB35_13 Depth=1
	s_delay_alu instid0(SALU_CYCLE_1) | instskip(SKIP_4) | instid1(VALU_DEP_3)
	s_or_b32 exec_lo, exec_lo, s27
	v_mul_f64 v[3:4], v[11:12], v[3:4]
	v_mov_b32_e32 v5, 0
	v_bfrev_b32_e32 v6, 1
	s_mov_b32 s7, exec_lo
	v_fma_f64 v[1:2], v[13:14], v[1:2], v[3:4]
.LBB35_35:                              ;   Parent Loop BB35_13 Depth=1
                                        ; =>  This Inner Loop Header: Depth=2
	s_ctz_i32_b32 s27, s7
	s_delay_alu instid0(VALU_DEP_1) | instid1(SALU_CYCLE_1)
	v_readlane_b32 s37, v2, s27
	s_delay_alu instid0(VALU_DEP_2) | instskip(SKIP_1) | instid1(SALU_CYCLE_1)
	v_readlane_b32 s36, v1, s27
	s_lshl_b32 s27, 1, s27
	s_and_not1_b32 s7, s7, s27
	s_delay_alu instid0(VALU_DEP_1)
	v_add_f64 v[5:6], v[5:6], s[36:37]
	s_cmp_lg_u32 s7, 0
	s_cbranch_scc1 .LBB35_35
; %bb.36:                               ;   in Loop: Header=BB35_13 Depth=1
	v_mbcnt_lo_u32_b32 v1, exec_lo, 0
	s_mov_b32 s27, exec_lo
	s_delay_alu instid0(VALU_DEP_1)
	v_cmpx_eq_u32_e32 0, v1
	s_xor_b32 s27, exec_lo, s27
	s_cbranch_execz .LBB35_12
; %bb.37:                               ;   in Loop: Header=BB35_13 Depth=1
	global_load_b64 v[3:4], v15, s[28:29] offset:8
	s_mov_b32 s27, 0
.LBB35_38:                              ;   Parent Loop BB35_13 Depth=1
                                        ; =>  This Inner Loop Header: Depth=2
	s_waitcnt vmcnt(0)
	v_add_f64 v[1:2], v[3:4], v[5:6]
	global_atomic_cmpswap_b64 v[1:2], v15, v[1:4], s[28:29] offset:8 glc
	s_waitcnt vmcnt(0)
	v_cmp_eq_u64_e64 s7, v[1:2], v[3:4]
	v_dual_mov_b32 v4, v2 :: v_dual_mov_b32 v3, v1
	s_delay_alu instid0(VALU_DEP_2) | instskip(NEXT) | instid1(SALU_CYCLE_1)
	s_or_b32 s27, s7, s27
	s_and_not1_b32 exec_lo, exec_lo, s27
	s_cbranch_execnz .LBB35_38
; %bb.39:                               ;   in Loop: Header=BB35_13 Depth=1
	s_or_b32 exec_lo, exec_lo, s27
	s_branch .LBB35_12
.LBB35_40:
	s_ashr_i32 s5, s23, 31
	s_mov_b32 s4, s23
	s_waitcnt lgkmcnt(0)
	v_add_nc_u32_e32 v9, s25, v24
	s_lshl_b64 s[4:5], s[4:5], 2
	s_delay_alu instid0(SALU_CYCLE_1)
	s_add_u32 s4, s12, s4
	s_addc_u32 s5, s13, s5
	s_load_b32 s3, s[4:5], 0x0
	s_mov_b32 s5, exec_lo
	s_waitcnt lgkmcnt(0)
	s_sub_i32 s4, s3, s24
	s_delay_alu instid0(SALU_CYCLE_1)
	v_cmpx_gt_i32_e64 s4, v9
	s_cbranch_execz .LBB35_52
; %bb.41:
	s_add_i32 s6, s23, -1
	s_mov_b32 s8, 0
	s_cmp_gt_i32 s6, s22
	s_cselect_b32 s3, -1, 0
	s_add_i32 s7, s23, -2
	s_delay_alu instid0(SALU_CYCLE_1) | instskip(SKIP_1) | instid1(SALU_CYCLE_1)
	s_cmp_lg_u32 s7, s22
	s_cselect_b32 s7, -1, 0
	s_and_b32 s7, s3, s7
	s_branch .LBB35_43
.LBB35_42:                              ;   in Loop: Header=BB35_43 Depth=1
	s_or_b32 exec_lo, exec_lo, s3
	v_add_nc_u32_e32 v9, 0x100, v9
	s_delay_alu instid0(VALU_DEP_1) | instskip(SKIP_1) | instid1(SALU_CYCLE_1)
	v_cmp_le_i32_e32 vcc_lo, s4, v9
	s_or_b32 s8, vcc_lo, s8
	s_and_not1_b32 exec_lo, exec_lo, s8
	s_cbranch_execz .LBB35_52
.LBB35_43:                              ; =>This Loop Header: Depth=1
                                        ;     Child Loop BB35_45 Depth 2
                                        ;     Child Loop BB35_49 Depth 2
	;; [unrolled: 1-line block ×3, first 2 shown]
	v_mov_b32_e32 v3, s22
	v_mov_b32_e32 v1, s6
	s_and_not1_b32 vcc_lo, exec_lo, s7
	s_cbranch_vccnz .LBB35_47
; %bb.44:                               ;   in Loop: Header=BB35_43 Depth=1
	v_mov_b32_e32 v3, s22
	v_mov_b32_e32 v1, s6
	s_mov_b32 s25, 0
	.p2align	6
.LBB35_45:                              ;   Parent Loop BB35_43 Depth=1
                                        ; =>  This Inner Loop Header: Depth=2
	s_delay_alu instid0(VALU_DEP_1) | instskip(NEXT) | instid1(VALU_DEP_1)
	v_add_nc_u32_e32 v2, v1, v3
	v_lshrrev_b32_e32 v4, 31, v2
	s_delay_alu instid0(VALU_DEP_1) | instskip(NEXT) | instid1(VALU_DEP_1)
	v_add_nc_u32_e32 v2, v2, v4
	v_ashrrev_i32_e32 v4, 1, v2
	s_delay_alu instid0(VALU_DEP_1) | instskip(NEXT) | instid1(VALU_DEP_1)
	v_ashrrev_i32_e32 v5, 31, v4
	v_lshlrev_b64 v[5:6], 2, v[4:5]
	s_delay_alu instid0(VALU_DEP_1) | instskip(NEXT) | instid1(VALU_DEP_2)
	v_add_co_u32 v5, vcc_lo, s12, v5
	v_add_co_ci_u32_e32 v6, vcc_lo, s13, v6, vcc_lo
	global_load_b32 v2, v[5:6], off
	s_waitcnt vmcnt(0)
	v_subrev_nc_u32_e32 v2, s24, v2
	s_delay_alu instid0(VALU_DEP_1) | instskip(SKIP_2) | instid1(VALU_DEP_1)
	v_cmp_gt_i32_e32 vcc_lo, v2, v9
	v_cndmask_b32_e32 v3, v4, v3, vcc_lo
	v_cndmask_b32_e32 v1, v1, v4, vcc_lo
	v_add_nc_u32_e32 v2, -1, v1
	s_delay_alu instid0(VALU_DEP_3) | instskip(NEXT) | instid1(VALU_DEP_2)
	v_cmp_ge_i32_e32 vcc_lo, v3, v1
	v_cmp_eq_u32_e64 s3, v3, v2
	s_delay_alu instid0(VALU_DEP_1) | instskip(NEXT) | instid1(SALU_CYCLE_1)
	s_or_b32 s3, vcc_lo, s3
	s_and_b32 s3, exec_lo, s3
	s_delay_alu instid0(SALU_CYCLE_1) | instskip(NEXT) | instid1(SALU_CYCLE_1)
	s_or_b32 s25, s3, s25
	s_and_not1_b32 exec_lo, exec_lo, s25
	s_cbranch_execnz .LBB35_45
; %bb.46:                               ;   in Loop: Header=BB35_43 Depth=1
	s_or_b32 exec_lo, exec_lo, s25
.LBB35_47:                              ;   in Loop: Header=BB35_43 Depth=1
	s_delay_alu instid0(VALU_DEP_1) | instskip(SKIP_2) | instid1(VALU_DEP_2)
	v_ashrrev_i32_e32 v2, 31, v1
	v_ashrrev_i32_e32 v10, 31, v9
	s_mov_b32 s3, exec_lo
	v_lshlrev_b64 v[4:5], 2, v[1:2]
	s_delay_alu instid0(VALU_DEP_2) | instskip(NEXT) | instid1(VALU_DEP_2)
	v_lshlrev_b64 v[6:7], 2, v[9:10]
	v_add_co_u32 v4, vcc_lo, s12, v4
	s_delay_alu instid0(VALU_DEP_3)
	v_add_co_ci_u32_e32 v5, vcc_lo, s13, v5, vcc_lo
	global_load_b32 v2, v[4:5], off
	v_add_co_u32 v4, vcc_lo, s14, v6
	v_add_co_ci_u32_e32 v5, vcc_lo, s15, v7, vcc_lo
	global_load_b32 v4, v[4:5], off
	s_waitcnt vmcnt(1)
	v_subrev_nc_u32_e32 v2, s24, v2
	s_delay_alu instid0(VALU_DEP_1) | instskip(SKIP_3) | instid1(VALU_DEP_1)
	v_cmp_gt_i32_e32 vcc_lo, v2, v9
	s_waitcnt vmcnt(0)
	v_subrev_nc_u32_e32 v5, s24, v4
	v_cndmask_b32_e32 v1, v1, v3, vcc_lo
	v_cmpx_ne_u32_e64 v5, v1
	s_cbranch_execz .LBB35_42
; %bb.48:                               ;   in Loop: Header=BB35_43 Depth=1
	v_lshlrev_b64 v[2:3], 4, v[9:10]
	v_ashrrev_i32_e32 v6, 31, v5
	s_mov_b32 s25, 0
	s_delay_alu instid0(VALU_DEP_1) | instskip(NEXT) | instid1(VALU_DEP_3)
	v_lshlrev_b64 v[5:6], 4, v[5:6]
	v_add_co_u32 v2, vcc_lo, s16, v2
	s_delay_alu instid0(VALU_DEP_4) | instskip(SKIP_2) | instid1(VALU_DEP_1)
	v_add_co_ci_u32_e32 v3, vcc_lo, s17, v3, vcc_lo
	global_load_b128 v[19:22], v[2:3], off
	v_ashrrev_i32_e32 v2, 31, v1
	v_lshlrev_b64 v[1:2], 4, v[1:2]
	s_delay_alu instid0(VALU_DEP_1) | instskip(NEXT) | instid1(VALU_DEP_2)
	v_add_co_u32 v1, vcc_lo, s18, v1
	v_add_co_ci_u32_e32 v2, vcc_lo, s19, v2, vcc_lo
	v_add_co_u32 v15, vcc_lo, s20, v5
	v_add_co_ci_u32_e32 v16, vcc_lo, s21, v6, vcc_lo
	global_load_b128 v[1:4], v[1:2], off
	global_load_b64 v[7:8], v[15:16], off
	s_waitcnt vmcnt(2)
	v_xor_b32_e32 v5, 0x80000000, v22
	s_delay_alu instid0(VALU_DEP_1) | instskip(NEXT) | instid1(VALU_DEP_1)
	v_cndmask_b32_e64 v22, v22, v5, s2
	v_mul_f64 v[5:6], v[11:12], v[21:22]
	v_mul_f64 v[21:22], v[21:22], -v[13:14]
	s_delay_alu instid0(VALU_DEP_2) | instskip(NEXT) | instid1(VALU_DEP_2)
	v_fma_f64 v[17:18], v[13:14], v[19:20], v[5:6]
	v_fma_f64 v[19:20], v[11:12], v[19:20], v[21:22]
	s_waitcnt vmcnt(1)
	s_delay_alu instid0(VALU_DEP_2) | instskip(NEXT) | instid1(VALU_DEP_1)
	v_mul_f64 v[5:6], v[3:4], -v[17:18]
	v_fma_f64 v[21:22], v[19:20], v[1:2], v[5:6]
.LBB35_49:                              ;   Parent Loop BB35_43 Depth=1
                                        ; =>  This Inner Loop Header: Depth=2
	s_waitcnt vmcnt(0)
	s_delay_alu instid0(VALU_DEP_1)
	v_add_f64 v[5:6], v[7:8], v[21:22]
	global_atomic_cmpswap_b64 v[5:6], v[15:16], v[5:8], off glc
	s_waitcnt vmcnt(0)
	v_cmp_eq_u64_e32 vcc_lo, v[5:6], v[7:8]
	v_dual_mov_b32 v8, v6 :: v_dual_mov_b32 v7, v5
	s_or_b32 s25, vcc_lo, s25
	s_delay_alu instid0(SALU_CYCLE_1)
	s_and_not1_b32 exec_lo, exec_lo, s25
	s_cbranch_execnz .LBB35_49
; %bb.50:                               ;   in Loop: Header=BB35_43 Depth=1
	s_or_b32 exec_lo, exec_lo, s25
	global_load_b64 v[5:6], v[15:16], off offset:8
	v_mul_f64 v[3:4], v[3:4], v[19:20]
	s_mov_b32 s25, 0
	s_delay_alu instid0(VALU_DEP_1)
	v_fma_f64 v[1:2], v[17:18], v[1:2], v[3:4]
.LBB35_51:                              ;   Parent Loop BB35_43 Depth=1
                                        ; =>  This Inner Loop Header: Depth=2
	s_waitcnt vmcnt(0)
	s_delay_alu instid0(VALU_DEP_1)
	v_add_f64 v[3:4], v[5:6], v[1:2]
	global_atomic_cmpswap_b64 v[3:4], v[15:16], v[3:6], off offset:8 glc
	s_waitcnt vmcnt(0)
	v_cmp_eq_u64_e32 vcc_lo, v[3:4], v[5:6]
	v_dual_mov_b32 v6, v4 :: v_dual_mov_b32 v5, v3
	s_or_b32 s25, vcc_lo, s25
	s_delay_alu instid0(SALU_CYCLE_1)
	s_and_not1_b32 exec_lo, exec_lo, s25
	s_cbranch_execnz .LBB35_51
	s_branch .LBB35_42
.LBB35_52:
	s_or_b32 exec_lo, exec_lo, s5
	s_mov_b32 s3, 0
.LBB35_53:
	s_delay_alu instid0(SALU_CYCLE_1)
	s_and_b32 vcc_lo, exec_lo, s3
	s_cbranch_vccz .LBB35_226
; %bb.54:
	s_ashr_i32 s5, s22, 31
	s_mov_b32 s4, s22
	s_sub_i32 s3, 0, s11
	s_lshl_b64 s[4:5], s[4:5], 2
	v_cvt_f32_u32_e32 v1, s11
	s_add_u32 s4, s12, s4
	s_addc_u32 s5, s13, s5
	s_load_b32 s1, s[0:1], 0x74
	s_load_b32 s6, s[4:5], 0x0
	v_rcp_iflag_f32_e32 v1, v1
	s_waitcnt_depctr 0xfff
	v_mul_f32_e32 v1, 0x4f7ffffe, v1
	s_delay_alu instid0(VALU_DEP_1) | instskip(SKIP_2) | instid1(VALU_DEP_2)
	v_cvt_u32_f32_e32 v1, v1
	s_waitcnt lgkmcnt(0)
	v_add_nc_u32_e32 v9, s6, v24
	v_readfirstlane_b32 s7, v1
	s_delay_alu instid0(VALU_DEP_2) | instskip(NEXT) | instid1(VALU_DEP_2)
	v_add_nc_u32_e32 v20, 0x300, v9
	s_mul_i32 s3, s3, s7
	s_delay_alu instid0(SALU_CYCLE_1) | instskip(NEXT) | instid1(VALU_DEP_1)
	s_mul_hi_u32 s8, s7, s3
	v_cmp_le_i32_e32 vcc_lo, s9, v20
	s_and_saveexec_b32 s0, vcc_lo
	s_delay_alu instid0(SALU_CYCLE_1)
	s_xor_b32 s3, exec_lo, s0
	s_cbranch_execz .LBB35_59
; %bb.55:
	s_ashr_i32 s27, s23, 31
	s_mov_b32 s26, s23
	s_mov_b32 s25, exec_lo
	s_lshl_b64 s[26:27], s[26:27], 2
	s_delay_alu instid0(SALU_CYCLE_1) | instskip(SKIP_4) | instid1(SALU_CYCLE_1)
	s_add_u32 s26, s12, s26
	s_addc_u32 s27, s13, s27
	s_load_b32 s0, s[26:27], 0x0
	s_waitcnt lgkmcnt(0)
	s_sub_i32 s9, s0, s6
	v_cmpx_gt_i32_e64 s9, v0
	s_cbranch_execz .LBB35_58
; %bb.56:
	v_dual_mov_b32 v1, v0 :: v_dual_mov_b32 v2, v23
	s_sub_i32 s26, s6, s24
	s_mov_b32 s27, 0
	s_set_inst_prefetch_distance 0x1
	.p2align	6
.LBB35_57:                              ; =>This Inner Loop Header: Depth=1
	s_delay_alu instid0(VALU_DEP_1) | instskip(SKIP_1) | instid1(VALU_DEP_2)
	v_add_nc_u32_e32 v3, s26, v1
	v_add_nc_u32_e32 v1, 0x100, v1
	v_ashrrev_i32_e32 v4, 31, v3
	s_delay_alu instid0(VALU_DEP_1) | instskip(NEXT) | instid1(VALU_DEP_1)
	v_lshlrev_b64 v[3:4], 4, v[3:4]
	v_add_co_u32 v3, s0, s16, v3
	s_delay_alu instid0(VALU_DEP_1)
	v_add_co_ci_u32_e64 v4, s0, s17, v4, s0
	v_cmp_le_i32_e64 s0, s9, v1
	global_load_b128 v[3:6], v[3:4], off
	s_or_b32 s27, s0, s27
	s_waitcnt vmcnt(0)
	v_xor_b32_e32 v7, 0x80000000, v6
	s_delay_alu instid0(VALU_DEP_1) | instskip(NEXT) | instid1(VALU_DEP_1)
	v_cndmask_b32_e64 v6, v6, v7, s2
	v_mul_f64 v[7:8], v[5:6], -v[13:14]
	v_mul_f64 v[15:16], v[11:12], v[5:6]
	s_delay_alu instid0(VALU_DEP_2) | instskip(NEXT) | instid1(VALU_DEP_2)
	v_fma_f64 v[5:6], v[11:12], v[3:4], v[7:8]
	v_fma_f64 v[7:8], v[13:14], v[3:4], v[15:16]
	ds_store_b128 v2, v[5:8]
	v_add_nc_u32_e32 v2, 0x1000, v2
	s_and_not1_b32 exec_lo, exec_lo, s27
	s_cbranch_execnz .LBB35_57
.LBB35_58:
	s_set_inst_prefetch_distance 0x2
	s_or_b32 exec_lo, exec_lo, s25
                                        ; implicit-def: $vgpr13_vgpr14
                                        ; implicit-def: $vgpr11_vgpr12
.LBB35_59:
	s_or_saveexec_b32 s3, s3
	v_ashrrev_i32_e32 v10, 31, v9
	s_and_b32 s1, s1, 0xffff
	s_add_i32 s7, s7, s8
	s_xor_b32 exec_lo, exec_lo, s3
	s_cbranch_execz .LBB35_61
; %bb.60:
	v_lshlrev_b64 v[1:2], 4, v[9:10]
	s_delay_alu instid0(VALU_DEP_1) | instskip(NEXT) | instid1(VALU_DEP_1)
	v_add_co_u32 v5, s0, s16, v1
	v_add_co_ci_u32_e64 v6, s0, s17, v2, s0
	s_delay_alu instid0(VALU_DEP_2) | instskip(SKIP_3) | instid1(VALU_DEP_1)
	v_add_co_u32 v15, s0, v5, 0x2000
	global_load_b128 v[1:4], v[5:6], off
	v_add_co_ci_u32_e64 v16, s0, 0, v6, s0
	v_add_co_u32 v21, s0, 0x3000, v5
	v_add_co_ci_u32_e64 v22, s0, 0, v6, s0
	s_clause 0x2
	global_load_b128 v[5:8], v[15:16], off offset:-4096
	global_load_b128 v[15:18], v[15:16], off
	global_load_b128 v[24:27], v[21:22], off
	s_waitcnt vmcnt(3)
	v_xor_b32_e32 v19, 0x80000000, v4
	s_delay_alu instid0(VALU_DEP_1)
	v_cndmask_b32_e64 v4, v4, v19, s2
	s_waitcnt vmcnt(2)
	v_xor_b32_e32 v21, 0x80000000, v8
	s_waitcnt vmcnt(1)
	v_xor_b32_e32 v19, 0x80000000, v18
	;; [unrolled: 2-line block ×3, first 2 shown]
	v_cndmask_b32_e64 v8, v8, v21, s2
	s_delay_alu instid0(VALU_DEP_3) | instskip(NEXT) | instid1(VALU_DEP_3)
	v_cndmask_b32_e64 v18, v18, v19, s2
	v_cndmask_b32_e64 v27, v27, v28, s2
	v_mul_f64 v[21:22], v[3:4], -v[13:14]
	v_mul_f64 v[3:4], v[11:12], v[3:4]
	v_mul_f64 v[30:31], v[7:8], -v[13:14]
	v_mul_f64 v[7:8], v[11:12], v[7:8]
	;; [unrolled: 2-line block ×4, first 2 shown]
	v_fma_f64 v[26:27], v[11:12], v[1:2], v[21:22]
	v_fma_f64 v[28:29], v[13:14], v[1:2], v[3:4]
	;; [unrolled: 1-line block ×8, first 2 shown]
	ds_store_b128 v23, v[26:29]
	ds_store_b128 v23, v[1:4] offset:4096
	ds_store_b128 v23, v[5:8] offset:8192
	;; [unrolled: 1-line block ×3, first 2 shown]
.LBB35_61:
	s_or_b32 exec_lo, exec_lo, s3
	s_mul_hi_u32 s7, s1, s7
	s_mov_b32 s8, exec_lo
	v_cmpx_gt_i32_e64 s10, v0
	s_cbranch_execz .LBB35_64
; %bb.62:
	s_mov_b32 s2, 0
	v_lshl_add_u32 v5, v0, 4, 0x4000
	s_mov_b32 s3, s2
	s_mov_b32 s16, s2
	;; [unrolled: 1-line block ×3, first 2 shown]
	v_dual_mov_b32 v1, s2 :: v_dual_mov_b32 v2, s3
	v_dual_mov_b32 v3, s16 :: v_dual_mov_b32 v4, s17
	v_mov_b32_e32 v6, v0
.LBB35_63:                              ; =>This Inner Loop Header: Depth=1
	s_delay_alu instid0(VALU_DEP_1) | instskip(SKIP_3) | instid1(VALU_DEP_1)
	v_add_nc_u32_e32 v6, 0x100, v6
	ds_store_2addr_b64 v5, v[1:2], v[3:4] offset1:1
	v_add_nc_u32_e32 v5, 0x1000, v5
	v_cmp_le_i32_e64 s0, s10, v6
	s_or_b32 s2, s0, s2
	s_delay_alu instid0(SALU_CYCLE_1)
	s_and_not1_b32 exec_lo, exec_lo, s2
	s_cbranch_execnz .LBB35_63
.LBB35_64:
	s_or_b32 exec_lo, exec_lo, s8
	s_sub_i32 s0, s23, s10
	s_cmp_ge_i32 s23, s10
	s_waitcnt lgkmcnt(0)
	s_cselect_b32 s8, s0, 0
	s_barrier
	buffer_gl0_inv
	s_and_saveexec_b32 s0, vcc_lo
	s_delay_alu instid0(SALU_CYCLE_1)
	s_xor_b32 s2, exec_lo, s0
	s_cbranch_execz .LBB35_89
; %bb.65:
	s_ashr_i32 s17, s23, 31
	s_mov_b32 s16, s23
	s_mov_b32 s9, exec_lo
	s_lshl_b64 s[16:17], s[16:17], 2
	s_delay_alu instid0(SALU_CYCLE_1) | instskip(SKIP_4) | instid1(SALU_CYCLE_1)
	s_add_u32 s16, s12, s16
	s_addc_u32 s17, s13, s17
	s_load_b32 s0, s[16:17], 0x0
	s_waitcnt lgkmcnt(0)
	s_sub_i32 s3, s0, s6
	v_cmpx_gt_i32_e64 s3, v0
	s_cbranch_execz .LBB35_88
; %bb.66:
	s_add_i32 s16, s23, -1
	s_mov_b32 s26, 0
	s_cmp_gt_i32 s16, s22
	s_mov_b32 s27, 0
	s_cselect_b32 s17, -1, 0
	s_add_i32 s25, s23, -2
	s_delay_alu instid0(SALU_CYCLE_1) | instskip(SKIP_1) | instid1(SALU_CYCLE_1)
	s_cmp_lg_u32 s25, s22
	s_cselect_b32 s25, -1, 0
	s_and_b32 s17, s17, s25
	s_sub_i32 s25, s0, s24
	s_branch .LBB35_69
.LBB35_67:                              ;   in Loop: Header=BB35_69 Depth=1
	s_or_b32 exec_lo, exec_lo, s0
.LBB35_68:                              ;   in Loop: Header=BB35_69 Depth=1
	s_delay_alu instid0(SALU_CYCLE_1) | instskip(SKIP_2) | instid1(VALU_DEP_1)
	s_or_b32 exec_lo, exec_lo, s28
	v_ashrrev_i32_e32 v11, 31, v10
	s_addk_i32 s27, 0x100
	v_lshlrev_b64 v[5:6], 4, v[10:11]
	s_delay_alu instid0(VALU_DEP_1) | instskip(NEXT) | instid1(VALU_DEP_2)
	v_add_co_u32 v5, vcc_lo, s18, v5
	v_add_co_ci_u32_e32 v6, vcc_lo, s19, v6, vcc_lo
	global_load_b128 v[5:8], v[5:6], off
	s_waitcnt vmcnt(0)
	v_mul_f64 v[10:11], v[7:8], v[12:13]
	v_mul_f64 v[7:8], v[7:8], v[1:2]
	s_delay_alu instid0(VALU_DEP_2) | instskip(NEXT) | instid1(VALU_DEP_2)
	v_fma_f64 v[1:2], v[1:2], v[5:6], v[10:11]
	v_fma_f64 v[3:4], v[3:4], v[5:6], v[7:8]
	v_add_nc_u32_e32 v5, s27, v0
	s_delay_alu instid0(VALU_DEP_1)
	v_cmp_le_i32_e32 vcc_lo, s3, v5
	s_or_b32 s26, vcc_lo, s26
	ds_store_b128 v20, v[1:4]
	s_and_not1_b32 exec_lo, exec_lo, s26
	s_cbranch_execz .LBB35_88
.LBB35_69:                              ; =>This Loop Header: Depth=1
                                        ;     Child Loop BB35_71 Depth 2
                                        ;     Child Loop BB35_78 Depth 2
	;; [unrolled: 1-line block ×5, first 2 shown]
	v_add_nc_u32_e32 v1, s27, v9
	v_mov_b32_e32 v5, s22
	v_mov_b32_e32 v3, s16
	s_and_not1_b32 vcc_lo, exec_lo, s17
	s_cbranch_vccnz .LBB35_73
; %bb.70:                               ;   in Loop: Header=BB35_69 Depth=1
	v_mov_b32_e32 v5, s22
	v_mov_b32_e32 v3, s16
	s_mov_b32 s28, 0
	.p2align	6
.LBB35_71:                              ;   Parent Loop BB35_69 Depth=1
                                        ; =>  This Inner Loop Header: Depth=2
	s_delay_alu instid0(VALU_DEP_1) | instskip(NEXT) | instid1(VALU_DEP_1)
	v_add_nc_u32_e32 v2, v3, v5
	v_lshrrev_b32_e32 v4, 31, v2
	s_delay_alu instid0(VALU_DEP_1) | instskip(NEXT) | instid1(VALU_DEP_1)
	v_add_nc_u32_e32 v2, v2, v4
	v_ashrrev_i32_e32 v6, 1, v2
	s_delay_alu instid0(VALU_DEP_1) | instskip(NEXT) | instid1(VALU_DEP_1)
	v_ashrrev_i32_e32 v7, 31, v6
	v_lshlrev_b64 v[7:8], 2, v[6:7]
	s_delay_alu instid0(VALU_DEP_1) | instskip(NEXT) | instid1(VALU_DEP_2)
	v_add_co_u32 v7, vcc_lo, s12, v7
	v_add_co_ci_u32_e32 v8, vcc_lo, s13, v8, vcc_lo
	global_load_b32 v2, v[7:8], off
	s_waitcnt vmcnt(0)
	v_subrev_nc_u32_e32 v2, s24, v2
	s_delay_alu instid0(VALU_DEP_1) | instskip(SKIP_1) | instid1(VALU_DEP_1)
	v_cmp_gt_i32_e32 vcc_lo, v2, v1
	v_cndmask_b32_e32 v3, v3, v6, vcc_lo
	v_dual_cndmask_b32 v5, v6, v5 :: v_dual_add_nc_u32 v2, -1, v3
	s_delay_alu instid0(VALU_DEP_1) | instskip(NEXT) | instid1(VALU_DEP_2)
	v_cmp_ge_i32_e32 vcc_lo, v5, v3
	v_cmp_eq_u32_e64 s0, v5, v2
	s_delay_alu instid0(VALU_DEP_1) | instskip(NEXT) | instid1(SALU_CYCLE_1)
	s_or_b32 s0, vcc_lo, s0
	s_and_b32 s0, exec_lo, s0
	s_delay_alu instid0(SALU_CYCLE_1) | instskip(NEXT) | instid1(SALU_CYCLE_1)
	s_or_b32 s28, s0, s28
	s_and_not1_b32 exec_lo, exec_lo, s28
	s_cbranch_execnz .LBB35_71
; %bb.72:                               ;   in Loop: Header=BB35_69 Depth=1
	s_or_b32 exec_lo, exec_lo, s28
.LBB35_73:                              ;   in Loop: Header=BB35_69 Depth=1
	s_delay_alu instid0(VALU_DEP_1) | instskip(SKIP_3) | instid1(VALU_DEP_4)
	v_ashrrev_i32_e32 v4, 31, v3
	v_ashrrev_i32_e32 v2, 31, v1
	v_cmp_le_i32_e64 s0, s25, v1
	v_lshl_add_u32 v20, s27, 4, v23
                                        ; implicit-def: $vgpr12_vgpr13
	v_lshlrev_b64 v[6:7], 2, v[3:4]
	s_delay_alu instid0(VALU_DEP_4) | instskip(NEXT) | instid1(VALU_DEP_2)
	v_lshlrev_b64 v[10:11], 2, v[1:2]
	v_add_co_u32 v6, vcc_lo, s12, v6
	s_delay_alu instid0(VALU_DEP_3) | instskip(NEXT) | instid1(VALU_DEP_3)
	v_add_co_ci_u32_e32 v7, vcc_lo, s13, v7, vcc_lo
	v_add_co_u32 v10, vcc_lo, s14, v10
	s_delay_alu instid0(VALU_DEP_4)
	v_add_co_ci_u32_e32 v11, vcc_lo, s15, v11, vcc_lo
	global_load_b32 v2, v[6:7], off
	global_load_b32 v4, v[10:11], off
	s_waitcnt vmcnt(1)
	v_subrev_nc_u32_e32 v2, s24, v2
	s_waitcnt vmcnt(0)
	v_subrev_nc_u32_e32 v10, s24, v4
	s_delay_alu instid0(VALU_DEP_2) | instskip(SKIP_1) | instid1(VALU_DEP_1)
	v_cmp_gt_i32_e32 vcc_lo, v2, v1
                                        ; implicit-def: $vgpr1_vgpr2
	v_cndmask_b32_e32 v5, v3, v5, vcc_lo
	v_cmp_eq_u32_e32 vcc_lo, v10, v5
	s_or_b32 s0, vcc_lo, s0
	s_delay_alu instid0(SALU_CYCLE_1) | instskip(NEXT) | instid1(SALU_CYCLE_1)
	s_and_saveexec_b32 s28, s0
	s_xor_b32 s0, exec_lo, s28
	s_cbranch_execz .LBB35_75
; %bb.74:                               ;   in Loop: Header=BB35_69 Depth=1
	ds_load_b128 v[1:4], v20
                                        ; implicit-def: $vgpr5
	s_waitcnt lgkmcnt(0)
	v_xor_b32_e32 v13, 0x80000000, v4
	v_mov_b32_e32 v12, v3
.LBB35_75:                              ;   in Loop: Header=BB35_69 Depth=1
	s_and_not1_saveexec_b32 s28, s0
	s_cbranch_execz .LBB35_68
; %bb.76:                               ;   in Loop: Header=BB35_69 Depth=1
	v_ashrrev_i32_e32 v6, 31, v5
	v_cmp_le_i32_e64 s0, s23, v10
	s_delay_alu instid0(VALU_DEP_2) | instskip(NEXT) | instid1(VALU_DEP_1)
	v_lshlrev_b64 v[1:2], 4, v[5:6]
	v_add_co_u32 v1, vcc_lo, s18, v1
	s_delay_alu instid0(VALU_DEP_2)
	v_add_co_ci_u32_e32 v2, vcc_lo, s19, v2, vcc_lo
	v_cmp_gt_i32_e32 vcc_lo, s8, v10
	global_load_b128 v[5:8], v[1:2], off
	ds_load_b128 v[1:4], v20
	s_or_b32 s0, vcc_lo, s0
	s_waitcnt lgkmcnt(0)
	v_xor_b32_e32 v13, 0x80000000, v4
	s_waitcnt vmcnt(0)
	v_mul_f64 v[11:12], v[7:8], -v[3:4]
	v_mul_f64 v[7:8], v[7:8], v[1:2]
	s_delay_alu instid0(VALU_DEP_2) | instskip(NEXT) | instid1(VALU_DEP_2)
	v_fma_f64 v[16:17], v[1:2], v[5:6], v[11:12]
	v_fma_f64 v[14:15], v[3:4], v[5:6], v[7:8]
	v_mov_b32_e32 v12, v3
	s_and_saveexec_b32 s29, s0
	s_delay_alu instid0(SALU_CYCLE_1)
	s_xor_b32 s0, exec_lo, s29
	s_cbranch_execz .LBB35_82
; %bb.77:                               ;   in Loop: Header=BB35_69 Depth=1
	v_ashrrev_i32_e32 v11, 31, v10
	s_mov_b32 s29, 0
	s_delay_alu instid0(VALU_DEP_1) | instskip(NEXT) | instid1(VALU_DEP_1)
	v_lshlrev_b64 v[5:6], 4, v[10:11]
	v_add_co_u32 v18, vcc_lo, s20, v5
	s_delay_alu instid0(VALU_DEP_2)
	v_add_co_ci_u32_e32 v19, vcc_lo, s21, v6, vcc_lo
	global_load_b64 v[7:8], v[18:19], off
.LBB35_78:                              ;   Parent Loop BB35_69 Depth=1
                                        ; =>  This Inner Loop Header: Depth=2
	s_waitcnt vmcnt(0)
	v_add_f64 v[5:6], v[7:8], v[16:17]
	global_atomic_cmpswap_b64 v[5:6], v[18:19], v[5:8], off glc
	s_waitcnt vmcnt(0)
	v_cmp_eq_u64_e32 vcc_lo, v[5:6], v[7:8]
	v_dual_mov_b32 v8, v6 :: v_dual_mov_b32 v7, v5
	s_or_b32 s29, vcc_lo, s29
	s_delay_alu instid0(SALU_CYCLE_1)
	s_and_not1_b32 exec_lo, exec_lo, s29
	s_cbranch_execnz .LBB35_78
; %bb.79:                               ;   in Loop: Header=BB35_69 Depth=1
	s_or_b32 exec_lo, exec_lo, s29
	global_load_b64 v[7:8], v[18:19], off offset:8
	s_mov_b32 s29, 0
.LBB35_80:                              ;   Parent Loop BB35_69 Depth=1
                                        ; =>  This Inner Loop Header: Depth=2
	s_waitcnt vmcnt(0)
	v_add_f64 v[5:6], v[7:8], v[14:15]
	global_atomic_cmpswap_b64 v[5:6], v[18:19], v[5:8], off offset:8 glc
	s_waitcnt vmcnt(0)
	v_cmp_eq_u64_e32 vcc_lo, v[5:6], v[7:8]
	v_dual_mov_b32 v8, v6 :: v_dual_mov_b32 v7, v5
	s_or_b32 s29, vcc_lo, s29
	s_delay_alu instid0(SALU_CYCLE_1)
	s_and_not1_b32 exec_lo, exec_lo, s29
	s_cbranch_execnz .LBB35_80
; %bb.81:                               ;   in Loop: Header=BB35_69 Depth=1
	s_or_b32 exec_lo, exec_lo, s29
                                        ; implicit-def: $vgpr14_vgpr15
                                        ; implicit-def: $vgpr16_vgpr17
.LBB35_82:                              ;   in Loop: Header=BB35_69 Depth=1
	s_and_not1_saveexec_b32 s0, s0
	s_cbranch_execz .LBB35_67
; %bb.83:                               ;   in Loop: Header=BB35_69 Depth=1
	v_subrev_nc_u32_e32 v5, s8, v10
	s_mov_b32 s29, 0
	s_delay_alu instid0(VALU_DEP_1)
	v_lshl_add_u32 v7, v5, 4, 0x4000
	ds_load_b64 v[5:6], v7
.LBB35_84:                              ;   Parent Loop BB35_69 Depth=1
                                        ; =>  This Inner Loop Header: Depth=2
	s_waitcnt lgkmcnt(0)
	v_add_f64 v[18:19], v[5:6], v[16:17]
	ds_cmpstore_rtn_b64 v[18:19], v7, v[18:19], v[5:6]
	s_waitcnt lgkmcnt(0)
	v_cmp_eq_u64_e32 vcc_lo, v[18:19], v[5:6]
	v_dual_mov_b32 v5, v18 :: v_dual_mov_b32 v6, v19
	s_or_b32 s29, vcc_lo, s29
	s_delay_alu instid0(SALU_CYCLE_1)
	s_and_not1_b32 exec_lo, exec_lo, s29
	s_cbranch_execnz .LBB35_84
; %bb.85:                               ;   in Loop: Header=BB35_69 Depth=1
	s_or_b32 exec_lo, exec_lo, s29
	ds_load_b64 v[5:6], v7 offset:8
	s_mov_b32 s29, 0
.LBB35_86:                              ;   Parent Loop BB35_69 Depth=1
                                        ; =>  This Inner Loop Header: Depth=2
	s_waitcnt lgkmcnt(0)
	v_add_f64 v[16:17], v[5:6], v[14:15]
	ds_cmpstore_rtn_b64 v[16:17], v7, v[16:17], v[5:6] offset:8
	s_waitcnt lgkmcnt(0)
	v_cmp_eq_u64_e32 vcc_lo, v[16:17], v[5:6]
	v_dual_mov_b32 v5, v16 :: v_dual_mov_b32 v6, v17
	s_or_b32 s29, vcc_lo, s29
	s_delay_alu instid0(SALU_CYCLE_1)
	s_and_not1_b32 exec_lo, exec_lo, s29
	s_cbranch_execnz .LBB35_86
; %bb.87:                               ;   in Loop: Header=BB35_69 Depth=1
	s_or_b32 exec_lo, exec_lo, s29
	s_branch .LBB35_67
.LBB35_88:
	s_or_b32 exec_lo, exec_lo, s9
                                        ; implicit-def: $vgpr20
                                        ; implicit-def: $vgpr9
.LBB35_89:
	s_and_not1_saveexec_b32 s9, s2
	s_cbranch_execz .LBB35_179
; %bb.90:
	s_add_i32 s16, s23, -1
	v_mov_b32_e32 v3, s22
	s_cmp_le_i32 s16, s22
	v_mov_b32_e32 v1, s16
	s_cselect_b32 s0, -1, 0
	s_add_i32 s2, s23, -2
	s_delay_alu instid0(SALU_CYCLE_1) | instskip(SKIP_1) | instid1(SALU_CYCLE_1)
	s_cmp_eq_u32 s2, s22
	s_cselect_b32 s2, -1, 0
	s_or_b32 s2, s0, s2
	s_delay_alu instid0(SALU_CYCLE_1)
	s_and_b32 vcc_lo, exec_lo, s2
	s_cbranch_vccnz .LBB35_94
; %bb.91:
	v_mov_b32_e32 v3, s22
	v_mov_b32_e32 v1, s16
	s_mov_b32 s3, 0
	.p2align	6
.LBB35_92:                              ; =>This Inner Loop Header: Depth=1
	s_delay_alu instid0(VALU_DEP_1) | instskip(NEXT) | instid1(VALU_DEP_1)
	v_add_nc_u32_e32 v2, v1, v3
	v_lshrrev_b32_e32 v4, 31, v2
	s_delay_alu instid0(VALU_DEP_1) | instskip(NEXT) | instid1(VALU_DEP_1)
	v_add_nc_u32_e32 v2, v2, v4
	v_ashrrev_i32_e32 v4, 1, v2
	s_delay_alu instid0(VALU_DEP_1) | instskip(NEXT) | instid1(VALU_DEP_1)
	v_ashrrev_i32_e32 v5, 31, v4
	v_lshlrev_b64 v[5:6], 2, v[4:5]
	s_delay_alu instid0(VALU_DEP_1) | instskip(NEXT) | instid1(VALU_DEP_2)
	v_add_co_u32 v5, vcc_lo, s12, v5
	v_add_co_ci_u32_e32 v6, vcc_lo, s13, v6, vcc_lo
	global_load_b32 v2, v[5:6], off
	s_waitcnt vmcnt(0)
	v_subrev_nc_u32_e32 v2, s24, v2
	s_delay_alu instid0(VALU_DEP_1) | instskip(SKIP_2) | instid1(VALU_DEP_1)
	v_cmp_gt_i32_e32 vcc_lo, v2, v9
	v_cndmask_b32_e32 v3, v4, v3, vcc_lo
	v_cndmask_b32_e32 v1, v1, v4, vcc_lo
	v_add_nc_u32_e32 v2, -1, v1
	s_delay_alu instid0(VALU_DEP_3) | instskip(NEXT) | instid1(VALU_DEP_2)
	v_cmp_ge_i32_e32 vcc_lo, v3, v1
	v_cmp_eq_u32_e64 s0, v3, v2
	s_delay_alu instid0(VALU_DEP_1) | instskip(NEXT) | instid1(SALU_CYCLE_1)
	s_or_b32 s0, vcc_lo, s0
	s_and_b32 s0, exec_lo, s0
	s_delay_alu instid0(SALU_CYCLE_1) | instskip(NEXT) | instid1(SALU_CYCLE_1)
	s_or_b32 s3, s0, s3
	s_and_not1_b32 exec_lo, exec_lo, s3
	s_cbranch_execnz .LBB35_92
; %bb.93:
	s_or_b32 exec_lo, exec_lo, s3
.LBB35_94:
	v_ashrrev_i32_e32 v2, 31, v1
	v_lshlrev_b64 v[6:7], 2, v[9:10]
	s_xor_b32 s17, s2, -1
	s_ashr_i32 s3, s23, 31
	s_mov_b32 s2, s23
	v_lshlrev_b64 v[4:5], 2, v[1:2]
	s_lshl_b64 s[2:3], s[2:3], 2
	s_mov_b32 s0, exec_lo
	s_add_u32 s2, s12, s2
	s_addc_u32 s3, s13, s3
	s_delay_alu instid0(VALU_DEP_1)
	v_add_co_u32 v4, vcc_lo, s12, v4
	v_add_co_ci_u32_e32 v5, vcc_lo, s13, v5, vcc_lo
	v_add_co_u32 v10, vcc_lo, s14, v6
	v_add_co_ci_u32_e32 v11, vcc_lo, s15, v7, vcc_lo
	global_load_b32 v2, v[4:5], off
	global_load_b32 v4, v[10:11], off
	s_waitcnt vmcnt(1)
	v_subrev_nc_u32_e32 v2, s24, v2
	s_waitcnt vmcnt(0)
	v_subrev_nc_u32_e32 v12, s24, v4
	s_delay_alu instid0(VALU_DEP_2) | instskip(SKIP_1) | instid1(VALU_DEP_1)
	v_cmp_gt_i32_e32 vcc_lo, v2, v9
	v_cndmask_b32_e32 v5, v1, v3, vcc_lo
                                        ; implicit-def: $vgpr1_vgpr2
	v_cmpx_ne_u32_e64 v12, v5
	s_xor_b32 s14, exec_lo, s0
	s_cbranch_execz .LBB35_110
; %bb.95:
	s_load_b32 s0, s[2:3], 0x0
	ds_load_b128 v[1:4], v23
	s_mov_b32 s15, exec_lo
	s_waitcnt lgkmcnt(0)
	s_sub_i32 s0, s0, s24
	s_delay_alu instid0(SALU_CYCLE_1)
	v_cmpx_gt_i32_e64 s0, v9
	s_cbranch_execz .LBB35_109
; %bb.96:
	v_ashrrev_i32_e32 v6, 31, v5
	v_cmp_le_i32_e64 s0, s23, v12
	s_delay_alu instid0(VALU_DEP_2) | instskip(NEXT) | instid1(VALU_DEP_1)
	v_lshlrev_b64 v[5:6], 4, v[5:6]
	v_add_co_u32 v5, vcc_lo, s18, v5
	s_delay_alu instid0(VALU_DEP_2)
	v_add_co_ci_u32_e32 v6, vcc_lo, s19, v6, vcc_lo
	v_cmp_gt_i32_e32 vcc_lo, s8, v12
	global_load_b128 v[5:8], v[5:6], off
	s_or_b32 s0, vcc_lo, s0
	s_waitcnt vmcnt(0)
	v_mul_f64 v[13:14], v[7:8], -v[3:4]
	v_mul_f64 v[7:8], v[7:8], v[1:2]
	s_delay_alu instid0(VALU_DEP_2) | instskip(NEXT) | instid1(VALU_DEP_2)
	v_fma_f64 v[16:17], v[1:2], v[5:6], v[13:14]
	v_fma_f64 v[14:15], v[3:4], v[5:6], v[7:8]
	s_and_saveexec_b32 s25, s0
	s_delay_alu instid0(SALU_CYCLE_1)
	s_xor_b32 s0, exec_lo, s25
	s_cbranch_execz .LBB35_102
; %bb.97:
	v_ashrrev_i32_e32 v13, 31, v12
	s_mov_b32 s25, 0
	s_delay_alu instid0(VALU_DEP_1) | instskip(NEXT) | instid1(VALU_DEP_1)
	v_lshlrev_b64 v[5:6], 4, v[12:13]
	v_add_co_u32 v18, vcc_lo, s20, v5
	s_delay_alu instid0(VALU_DEP_2)
	v_add_co_ci_u32_e32 v19, vcc_lo, s21, v6, vcc_lo
	global_load_b64 v[7:8], v[18:19], off
.LBB35_98:                              ; =>This Inner Loop Header: Depth=1
	s_waitcnt vmcnt(0)
	v_add_f64 v[5:6], v[7:8], v[16:17]
	global_atomic_cmpswap_b64 v[5:6], v[18:19], v[5:8], off glc
	s_waitcnt vmcnt(0)
	v_cmp_eq_u64_e32 vcc_lo, v[5:6], v[7:8]
	v_dual_mov_b32 v8, v6 :: v_dual_mov_b32 v7, v5
	s_or_b32 s25, vcc_lo, s25
	s_delay_alu instid0(SALU_CYCLE_1)
	s_and_not1_b32 exec_lo, exec_lo, s25
	s_cbranch_execnz .LBB35_98
; %bb.99:
	s_or_b32 exec_lo, exec_lo, s25
	global_load_b64 v[7:8], v[18:19], off offset:8
	s_mov_b32 s25, 0
.LBB35_100:                             ; =>This Inner Loop Header: Depth=1
	s_waitcnt vmcnt(0)
	v_add_f64 v[5:6], v[7:8], v[14:15]
	global_atomic_cmpswap_b64 v[5:6], v[18:19], v[5:8], off offset:8 glc
	s_waitcnt vmcnt(0)
	v_cmp_eq_u64_e32 vcc_lo, v[5:6], v[7:8]
	v_dual_mov_b32 v8, v6 :: v_dual_mov_b32 v7, v5
	s_or_b32 s25, vcc_lo, s25
	s_delay_alu instid0(SALU_CYCLE_1)
	s_and_not1_b32 exec_lo, exec_lo, s25
	s_cbranch_execnz .LBB35_100
; %bb.101:
	s_or_b32 exec_lo, exec_lo, s25
                                        ; implicit-def: $vgpr14_vgpr15
                                        ; implicit-def: $vgpr16_vgpr17
.LBB35_102:
	s_and_not1_saveexec_b32 s0, s0
	s_cbranch_execz .LBB35_108
; %bb.103:
	v_subrev_nc_u32_e32 v5, s8, v12
	s_mov_b32 s25, 0
	s_delay_alu instid0(VALU_DEP_1)
	v_lshl_add_u32 v7, v5, 4, 0x4000
	ds_load_b64 v[5:6], v7
.LBB35_104:                             ; =>This Inner Loop Header: Depth=1
	s_waitcnt lgkmcnt(0)
	v_add_f64 v[18:19], v[5:6], v[16:17]
	ds_cmpstore_rtn_b64 v[18:19], v7, v[18:19], v[5:6]
	s_waitcnt lgkmcnt(0)
	v_cmp_eq_u64_e32 vcc_lo, v[18:19], v[5:6]
	v_dual_mov_b32 v5, v18 :: v_dual_mov_b32 v6, v19
	s_or_b32 s25, vcc_lo, s25
	s_delay_alu instid0(SALU_CYCLE_1)
	s_and_not1_b32 exec_lo, exec_lo, s25
	s_cbranch_execnz .LBB35_104
; %bb.105:
	s_or_b32 exec_lo, exec_lo, s25
	ds_load_b64 v[5:6], v7 offset:8
	s_mov_b32 s25, 0
.LBB35_106:                             ; =>This Inner Loop Header: Depth=1
	s_waitcnt lgkmcnt(0)
	v_add_f64 v[16:17], v[5:6], v[14:15]
	ds_cmpstore_rtn_b64 v[16:17], v7, v[16:17], v[5:6] offset:8
	s_waitcnt lgkmcnt(0)
	v_cmp_eq_u64_e32 vcc_lo, v[16:17], v[5:6]
	v_dual_mov_b32 v5, v16 :: v_dual_mov_b32 v6, v17
	s_or_b32 s25, vcc_lo, s25
	s_delay_alu instid0(SALU_CYCLE_1)
	s_and_not1_b32 exec_lo, exec_lo, s25
	s_cbranch_execnz .LBB35_106
; %bb.107:
	s_or_b32 exec_lo, exec_lo, s25
.LBB35_108:
	s_delay_alu instid0(SALU_CYCLE_1)
	s_or_b32 exec_lo, exec_lo, s0
.LBB35_109:
	s_delay_alu instid0(SALU_CYCLE_1)
	s_or_b32 exec_lo, exec_lo, s15
.LBB35_110:
	s_and_not1_saveexec_b32 s0, s14
	s_cbranch_execz .LBB35_112
; %bb.111:
	ds_load_b128 v[1:4], v23
.LBB35_112:
	s_or_b32 exec_lo, exec_lo, s0
	v_ashrrev_i32_e32 v13, 31, v12
	v_cndmask_b32_e64 v21, 0, 1, s17
	s_delay_alu instid0(VALU_DEP_2) | instskip(NEXT) | instid1(VALU_DEP_1)
	v_lshlrev_b64 v[5:6], 4, v[12:13]
	v_add_co_u32 v5, vcc_lo, s18, v5
	s_delay_alu instid0(VALU_DEP_2)
	v_add_co_ci_u32_e32 v6, vcc_lo, s19, v6, vcc_lo
	s_and_not1_b32 vcc_lo, exec_lo, s17
	global_load_b128 v[5:8], v[5:6], off
	s_waitcnt vmcnt(0) lgkmcnt(0)
	v_mul_f64 v[12:13], v[7:8], -v[3:4]
	v_mul_f64 v[7:8], v[7:8], v[1:2]
	s_delay_alu instid0(VALU_DEP_2) | instskip(NEXT) | instid1(VALU_DEP_2)
	v_fma_f64 v[12:13], v[1:2], v[5:6], v[12:13]
	v_fma_f64 v[14:15], v[3:4], v[5:6], v[7:8]
	v_dual_mov_b32 v3, s22 :: v_dual_add_nc_u32 v6, 0x100, v9
	v_mov_b32_e32 v1, s16
	ds_store_b128 v23, v[12:15]
	s_cbranch_vccnz .LBB35_116
; %bb.113:
	v_mov_b32_e32 v3, s22
	v_mov_b32_e32 v1, s16
	s_mov_b32 s14, 0
	.p2align	6
.LBB35_114:                             ; =>This Inner Loop Header: Depth=1
	s_delay_alu instid0(VALU_DEP_1) | instskip(NEXT) | instid1(VALU_DEP_1)
	v_add_nc_u32_e32 v2, v1, v3
	v_lshrrev_b32_e32 v4, 31, v2
	s_delay_alu instid0(VALU_DEP_1) | instskip(NEXT) | instid1(VALU_DEP_1)
	v_add_nc_u32_e32 v2, v2, v4
	v_ashrrev_i32_e32 v4, 1, v2
	s_delay_alu instid0(VALU_DEP_1) | instskip(NEXT) | instid1(VALU_DEP_1)
	v_ashrrev_i32_e32 v5, 31, v4
	v_lshlrev_b64 v[7:8], 2, v[4:5]
	s_delay_alu instid0(VALU_DEP_1) | instskip(NEXT) | instid1(VALU_DEP_2)
	v_add_co_u32 v7, vcc_lo, s12, v7
	v_add_co_ci_u32_e32 v8, vcc_lo, s13, v8, vcc_lo
	global_load_b32 v2, v[7:8], off
	s_waitcnt vmcnt(0)
	v_subrev_nc_u32_e32 v2, s24, v2
	s_delay_alu instid0(VALU_DEP_1) | instskip(SKIP_2) | instid1(VALU_DEP_1)
	v_cmp_gt_i32_e32 vcc_lo, v2, v6
	v_cndmask_b32_e32 v3, v4, v3, vcc_lo
	v_cndmask_b32_e32 v1, v1, v4, vcc_lo
	v_add_nc_u32_e32 v2, -1, v1
	s_delay_alu instid0(VALU_DEP_3) | instskip(NEXT) | instid1(VALU_DEP_2)
	v_cmp_ge_i32_e32 vcc_lo, v3, v1
	v_cmp_eq_u32_e64 s0, v3, v2
	s_delay_alu instid0(VALU_DEP_1) | instskip(NEXT) | instid1(SALU_CYCLE_1)
	s_or_b32 s0, vcc_lo, s0
	s_and_b32 s0, exec_lo, s0
	s_delay_alu instid0(SALU_CYCLE_1) | instskip(NEXT) | instid1(SALU_CYCLE_1)
	s_or_b32 s14, s0, s14
	s_and_not1_b32 exec_lo, exec_lo, s14
	s_cbranch_execnz .LBB35_114
; %bb.115:
	s_or_b32 exec_lo, exec_lo, s14
.LBB35_116:
	v_ashrrev_i32_e32 v2, 31, v1
	s_mov_b32 s0, exec_lo
	s_delay_alu instid0(VALU_DEP_1) | instskip(NEXT) | instid1(VALU_DEP_1)
	v_lshlrev_b64 v[4:5], 2, v[1:2]
	v_add_co_u32 v4, vcc_lo, s12, v4
	s_delay_alu instid0(VALU_DEP_2)
	v_add_co_ci_u32_e32 v5, vcc_lo, s13, v5, vcc_lo
	global_load_b32 v2, v[4:5], off
	global_load_b32 v4, v[10:11], off offset:1024
	s_waitcnt vmcnt(1)
	v_subrev_nc_u32_e32 v2, s24, v2
	s_waitcnt vmcnt(0)
	v_subrev_nc_u32_e32 v12, s24, v4
	s_delay_alu instid0(VALU_DEP_2) | instskip(SKIP_1) | instid1(VALU_DEP_1)
	v_cmp_gt_i32_e32 vcc_lo, v2, v6
	v_cndmask_b32_e32 v5, v1, v3, vcc_lo
                                        ; implicit-def: $vgpr1_vgpr2
	v_cmpx_ne_u32_e64 v12, v5
	s_xor_b32 s14, exec_lo, s0
	s_cbranch_execz .LBB35_132
; %bb.117:
	s_load_b32 s0, s[2:3], 0x0
	ds_load_b128 v[1:4], v23 offset:4096
	s_mov_b32 s15, exec_lo
	s_waitcnt lgkmcnt(0)
	s_sub_i32 s0, s0, s24
	s_delay_alu instid0(SALU_CYCLE_1)
	v_cmpx_gt_i32_e64 s0, v6
	s_cbranch_execz .LBB35_131
; %bb.118:
	v_ashrrev_i32_e32 v6, 31, v5
	v_cmp_le_i32_e64 s0, s23, v12
	s_delay_alu instid0(VALU_DEP_2) | instskip(NEXT) | instid1(VALU_DEP_1)
	v_lshlrev_b64 v[5:6], 4, v[5:6]
	v_add_co_u32 v5, vcc_lo, s18, v5
	s_delay_alu instid0(VALU_DEP_2)
	v_add_co_ci_u32_e32 v6, vcc_lo, s19, v6, vcc_lo
	v_cmp_gt_i32_e32 vcc_lo, s8, v12
	global_load_b128 v[5:8], v[5:6], off
	s_or_b32 s0, vcc_lo, s0
	s_waitcnt vmcnt(0)
	v_mul_f64 v[13:14], v[7:8], -v[3:4]
	v_mul_f64 v[7:8], v[7:8], v[1:2]
	s_delay_alu instid0(VALU_DEP_2) | instskip(NEXT) | instid1(VALU_DEP_2)
	v_fma_f64 v[16:17], v[1:2], v[5:6], v[13:14]
	v_fma_f64 v[14:15], v[3:4], v[5:6], v[7:8]
	s_and_saveexec_b32 s17, s0
	s_delay_alu instid0(SALU_CYCLE_1)
	s_xor_b32 s0, exec_lo, s17
	s_cbranch_execz .LBB35_124
; %bb.119:
	v_ashrrev_i32_e32 v13, 31, v12
	s_mov_b32 s17, 0
	s_delay_alu instid0(VALU_DEP_1) | instskip(NEXT) | instid1(VALU_DEP_1)
	v_lshlrev_b64 v[5:6], 4, v[12:13]
	v_add_co_u32 v18, vcc_lo, s20, v5
	s_delay_alu instid0(VALU_DEP_2)
	v_add_co_ci_u32_e32 v19, vcc_lo, s21, v6, vcc_lo
	global_load_b64 v[7:8], v[18:19], off
.LBB35_120:                             ; =>This Inner Loop Header: Depth=1
	s_waitcnt vmcnt(0)
	v_add_f64 v[5:6], v[7:8], v[16:17]
	global_atomic_cmpswap_b64 v[5:6], v[18:19], v[5:8], off glc
	s_waitcnt vmcnt(0)
	v_cmp_eq_u64_e32 vcc_lo, v[5:6], v[7:8]
	v_dual_mov_b32 v8, v6 :: v_dual_mov_b32 v7, v5
	s_or_b32 s17, vcc_lo, s17
	s_delay_alu instid0(SALU_CYCLE_1)
	s_and_not1_b32 exec_lo, exec_lo, s17
	s_cbranch_execnz .LBB35_120
; %bb.121:
	s_or_b32 exec_lo, exec_lo, s17
	global_load_b64 v[7:8], v[18:19], off offset:8
	s_mov_b32 s17, 0
.LBB35_122:                             ; =>This Inner Loop Header: Depth=1
	s_waitcnt vmcnt(0)
	v_add_f64 v[5:6], v[7:8], v[14:15]
	global_atomic_cmpswap_b64 v[5:6], v[18:19], v[5:8], off offset:8 glc
	s_waitcnt vmcnt(0)
	v_cmp_eq_u64_e32 vcc_lo, v[5:6], v[7:8]
	v_dual_mov_b32 v8, v6 :: v_dual_mov_b32 v7, v5
	s_or_b32 s17, vcc_lo, s17
	s_delay_alu instid0(SALU_CYCLE_1)
	s_and_not1_b32 exec_lo, exec_lo, s17
	s_cbranch_execnz .LBB35_122
; %bb.123:
	s_or_b32 exec_lo, exec_lo, s17
                                        ; implicit-def: $vgpr14_vgpr15
                                        ; implicit-def: $vgpr16_vgpr17
.LBB35_124:
	s_and_not1_saveexec_b32 s0, s0
	s_cbranch_execz .LBB35_130
; %bb.125:
	v_subrev_nc_u32_e32 v5, s8, v12
	s_mov_b32 s17, 0
	s_delay_alu instid0(VALU_DEP_1)
	v_lshl_add_u32 v7, v5, 4, 0x4000
	ds_load_b64 v[5:6], v7
.LBB35_126:                             ; =>This Inner Loop Header: Depth=1
	s_waitcnt lgkmcnt(0)
	v_add_f64 v[18:19], v[5:6], v[16:17]
	ds_cmpstore_rtn_b64 v[18:19], v7, v[18:19], v[5:6]
	s_waitcnt lgkmcnt(0)
	v_cmp_eq_u64_e32 vcc_lo, v[18:19], v[5:6]
	v_dual_mov_b32 v5, v18 :: v_dual_mov_b32 v6, v19
	s_or_b32 s17, vcc_lo, s17
	s_delay_alu instid0(SALU_CYCLE_1)
	s_and_not1_b32 exec_lo, exec_lo, s17
	s_cbranch_execnz .LBB35_126
; %bb.127:
	s_or_b32 exec_lo, exec_lo, s17
	ds_load_b64 v[5:6], v7 offset:8
	s_mov_b32 s17, 0
.LBB35_128:                             ; =>This Inner Loop Header: Depth=1
	s_waitcnt lgkmcnt(0)
	v_add_f64 v[16:17], v[5:6], v[14:15]
	ds_cmpstore_rtn_b64 v[16:17], v7, v[16:17], v[5:6] offset:8
	s_waitcnt lgkmcnt(0)
	v_cmp_eq_u64_e32 vcc_lo, v[16:17], v[5:6]
	v_dual_mov_b32 v5, v16 :: v_dual_mov_b32 v6, v17
	s_or_b32 s17, vcc_lo, s17
	s_delay_alu instid0(SALU_CYCLE_1)
	s_and_not1_b32 exec_lo, exec_lo, s17
	s_cbranch_execnz .LBB35_128
; %bb.129:
	s_or_b32 exec_lo, exec_lo, s17
.LBB35_130:
	s_delay_alu instid0(SALU_CYCLE_1)
	s_or_b32 exec_lo, exec_lo, s0
.LBB35_131:
	s_delay_alu instid0(SALU_CYCLE_1)
	s_or_b32 exec_lo, exec_lo, s15
.LBB35_132:
	s_and_not1_saveexec_b32 s0, s14
	s_cbranch_execz .LBB35_134
; %bb.133:
	ds_load_b128 v[1:4], v23 offset:4096
.LBB35_134:
	s_or_b32 exec_lo, exec_lo, s0
	v_ashrrev_i32_e32 v13, 31, v12
	s_delay_alu instid0(VALU_DEP_1) | instskip(NEXT) | instid1(VALU_DEP_1)
	v_lshlrev_b64 v[5:6], 4, v[12:13]
	v_add_co_u32 v5, vcc_lo, s18, v5
	s_delay_alu instid0(VALU_DEP_2)
	v_add_co_ci_u32_e32 v6, vcc_lo, s19, v6, vcc_lo
	v_cmp_ne_u32_e32 vcc_lo, 1, v21
	global_load_b128 v[5:8], v[5:6], off
	s_and_b32 vcc_lo, exec_lo, vcc_lo
	s_waitcnt vmcnt(0) lgkmcnt(0)
	v_mul_f64 v[12:13], v[7:8], -v[3:4]
	v_mul_f64 v[7:8], v[7:8], v[1:2]
	s_delay_alu instid0(VALU_DEP_2) | instskip(NEXT) | instid1(VALU_DEP_2)
	v_fma_f64 v[12:13], v[1:2], v[5:6], v[12:13]
	v_fma_f64 v[14:15], v[3:4], v[5:6], v[7:8]
	v_dual_mov_b32 v3, s22 :: v_dual_add_nc_u32 v6, 0x200, v9
	v_mov_b32_e32 v1, s16
	ds_store_b128 v23, v[12:15] offset:4096
	s_cbranch_vccnz .LBB35_138
; %bb.135:
	v_mov_b32_e32 v3, s22
	v_mov_b32_e32 v1, s16
	s_mov_b32 s14, 0
	.p2align	6
.LBB35_136:                             ; =>This Inner Loop Header: Depth=1
	s_delay_alu instid0(VALU_DEP_1) | instskip(NEXT) | instid1(VALU_DEP_1)
	v_add_nc_u32_e32 v2, v1, v3
	v_lshrrev_b32_e32 v4, 31, v2
	s_delay_alu instid0(VALU_DEP_1) | instskip(NEXT) | instid1(VALU_DEP_1)
	v_add_nc_u32_e32 v2, v2, v4
	v_ashrrev_i32_e32 v4, 1, v2
	s_delay_alu instid0(VALU_DEP_1) | instskip(NEXT) | instid1(VALU_DEP_1)
	v_ashrrev_i32_e32 v5, 31, v4
	v_lshlrev_b64 v[7:8], 2, v[4:5]
	s_delay_alu instid0(VALU_DEP_1) | instskip(NEXT) | instid1(VALU_DEP_2)
	v_add_co_u32 v7, vcc_lo, s12, v7
	v_add_co_ci_u32_e32 v8, vcc_lo, s13, v8, vcc_lo
	global_load_b32 v2, v[7:8], off
	s_waitcnt vmcnt(0)
	v_subrev_nc_u32_e32 v2, s24, v2
	s_delay_alu instid0(VALU_DEP_1) | instskip(SKIP_2) | instid1(VALU_DEP_1)
	v_cmp_gt_i32_e32 vcc_lo, v2, v6
	v_cndmask_b32_e32 v3, v4, v3, vcc_lo
	v_cndmask_b32_e32 v1, v1, v4, vcc_lo
	v_add_nc_u32_e32 v2, -1, v1
	s_delay_alu instid0(VALU_DEP_3) | instskip(NEXT) | instid1(VALU_DEP_2)
	v_cmp_ge_i32_e32 vcc_lo, v3, v1
	v_cmp_eq_u32_e64 s0, v3, v2
	s_delay_alu instid0(VALU_DEP_1) | instskip(NEXT) | instid1(SALU_CYCLE_1)
	s_or_b32 s0, vcc_lo, s0
	s_and_b32 s0, exec_lo, s0
	s_delay_alu instid0(SALU_CYCLE_1) | instskip(NEXT) | instid1(SALU_CYCLE_1)
	s_or_b32 s14, s0, s14
	s_and_not1_b32 exec_lo, exec_lo, s14
	s_cbranch_execnz .LBB35_136
; %bb.137:
	s_or_b32 exec_lo, exec_lo, s14
.LBB35_138:
	v_ashrrev_i32_e32 v2, 31, v1
	s_mov_b32 s0, exec_lo
	s_delay_alu instid0(VALU_DEP_1) | instskip(NEXT) | instid1(VALU_DEP_1)
	v_lshlrev_b64 v[4:5], 2, v[1:2]
	v_add_co_u32 v4, vcc_lo, s12, v4
	s_delay_alu instid0(VALU_DEP_2)
	v_add_co_ci_u32_e32 v5, vcc_lo, s13, v5, vcc_lo
	global_load_b32 v2, v[4:5], off
	global_load_b32 v4, v[10:11], off offset:2048
	s_waitcnt vmcnt(1)
	v_subrev_nc_u32_e32 v2, s24, v2
	s_waitcnt vmcnt(0)
	v_subrev_nc_u32_e32 v12, s24, v4
	s_delay_alu instid0(VALU_DEP_2) | instskip(SKIP_1) | instid1(VALU_DEP_1)
	v_cmp_gt_i32_e32 vcc_lo, v2, v6
	v_cndmask_b32_e32 v5, v1, v3, vcc_lo
                                        ; implicit-def: $vgpr1_vgpr2
	v_cmpx_ne_u32_e64 v12, v5
	s_xor_b32 s14, exec_lo, s0
	s_cbranch_execz .LBB35_154
; %bb.139:
	s_load_b32 s0, s[2:3], 0x0
	ds_load_b128 v[1:4], v23 offset:8192
	s_mov_b32 s15, exec_lo
	s_waitcnt lgkmcnt(0)
	s_sub_i32 s0, s0, s24
	s_delay_alu instid0(SALU_CYCLE_1)
	v_cmpx_gt_i32_e64 s0, v6
	s_cbranch_execz .LBB35_153
; %bb.140:
	v_ashrrev_i32_e32 v6, 31, v5
	v_cmp_le_i32_e64 s0, s23, v12
	s_delay_alu instid0(VALU_DEP_2) | instskip(NEXT) | instid1(VALU_DEP_1)
	v_lshlrev_b64 v[5:6], 4, v[5:6]
	v_add_co_u32 v5, vcc_lo, s18, v5
	s_delay_alu instid0(VALU_DEP_2)
	v_add_co_ci_u32_e32 v6, vcc_lo, s19, v6, vcc_lo
	v_cmp_gt_i32_e32 vcc_lo, s8, v12
	global_load_b128 v[5:8], v[5:6], off
	s_or_b32 s0, vcc_lo, s0
	s_waitcnt vmcnt(0)
	v_mul_f64 v[13:14], v[7:8], -v[3:4]
	v_mul_f64 v[7:8], v[7:8], v[1:2]
	s_delay_alu instid0(VALU_DEP_2) | instskip(NEXT) | instid1(VALU_DEP_2)
	v_fma_f64 v[16:17], v[1:2], v[5:6], v[13:14]
	v_fma_f64 v[14:15], v[3:4], v[5:6], v[7:8]
	s_and_saveexec_b32 s17, s0
	s_delay_alu instid0(SALU_CYCLE_1)
	s_xor_b32 s0, exec_lo, s17
	s_cbranch_execz .LBB35_146
; %bb.141:
	v_ashrrev_i32_e32 v13, 31, v12
	s_mov_b32 s17, 0
	s_delay_alu instid0(VALU_DEP_1) | instskip(NEXT) | instid1(VALU_DEP_1)
	v_lshlrev_b64 v[5:6], 4, v[12:13]
	v_add_co_u32 v18, vcc_lo, s20, v5
	s_delay_alu instid0(VALU_DEP_2)
	v_add_co_ci_u32_e32 v19, vcc_lo, s21, v6, vcc_lo
	global_load_b64 v[7:8], v[18:19], off
.LBB35_142:                             ; =>This Inner Loop Header: Depth=1
	s_waitcnt vmcnt(0)
	v_add_f64 v[5:6], v[7:8], v[16:17]
	global_atomic_cmpswap_b64 v[5:6], v[18:19], v[5:8], off glc
	s_waitcnt vmcnt(0)
	v_cmp_eq_u64_e32 vcc_lo, v[5:6], v[7:8]
	v_dual_mov_b32 v8, v6 :: v_dual_mov_b32 v7, v5
	s_or_b32 s17, vcc_lo, s17
	s_delay_alu instid0(SALU_CYCLE_1)
	s_and_not1_b32 exec_lo, exec_lo, s17
	s_cbranch_execnz .LBB35_142
; %bb.143:
	s_or_b32 exec_lo, exec_lo, s17
	global_load_b64 v[7:8], v[18:19], off offset:8
	s_mov_b32 s17, 0
.LBB35_144:                             ; =>This Inner Loop Header: Depth=1
	s_waitcnt vmcnt(0)
	v_add_f64 v[5:6], v[7:8], v[14:15]
	global_atomic_cmpswap_b64 v[5:6], v[18:19], v[5:8], off offset:8 glc
	s_waitcnt vmcnt(0)
	v_cmp_eq_u64_e32 vcc_lo, v[5:6], v[7:8]
	v_dual_mov_b32 v8, v6 :: v_dual_mov_b32 v7, v5
	s_or_b32 s17, vcc_lo, s17
	s_delay_alu instid0(SALU_CYCLE_1)
	s_and_not1_b32 exec_lo, exec_lo, s17
	s_cbranch_execnz .LBB35_144
; %bb.145:
	s_or_b32 exec_lo, exec_lo, s17
                                        ; implicit-def: $vgpr14_vgpr15
                                        ; implicit-def: $vgpr16_vgpr17
.LBB35_146:
	s_and_not1_saveexec_b32 s0, s0
	s_cbranch_execz .LBB35_152
; %bb.147:
	v_subrev_nc_u32_e32 v5, s8, v12
	s_mov_b32 s17, 0
	s_delay_alu instid0(VALU_DEP_1)
	v_lshl_add_u32 v7, v5, 4, 0x4000
	ds_load_b64 v[5:6], v7
.LBB35_148:                             ; =>This Inner Loop Header: Depth=1
	s_waitcnt lgkmcnt(0)
	v_add_f64 v[8:9], v[5:6], v[16:17]
	ds_cmpstore_rtn_b64 v[8:9], v7, v[8:9], v[5:6]
	s_waitcnt lgkmcnt(0)
	v_cmp_eq_u64_e32 vcc_lo, v[8:9], v[5:6]
	v_dual_mov_b32 v5, v8 :: v_dual_mov_b32 v6, v9
	s_or_b32 s17, vcc_lo, s17
	s_delay_alu instid0(SALU_CYCLE_1)
	s_and_not1_b32 exec_lo, exec_lo, s17
	s_cbranch_execnz .LBB35_148
; %bb.149:
	s_or_b32 exec_lo, exec_lo, s17
	ds_load_b64 v[5:6], v7 offset:8
	s_mov_b32 s17, 0
.LBB35_150:                             ; =>This Inner Loop Header: Depth=1
	s_waitcnt lgkmcnt(0)
	v_add_f64 v[8:9], v[5:6], v[14:15]
	ds_cmpstore_rtn_b64 v[8:9], v7, v[8:9], v[5:6] offset:8
	s_waitcnt lgkmcnt(0)
	v_cmp_eq_u64_e32 vcc_lo, v[8:9], v[5:6]
	v_dual_mov_b32 v5, v8 :: v_dual_mov_b32 v6, v9
	s_or_b32 s17, vcc_lo, s17
	s_delay_alu instid0(SALU_CYCLE_1)
	s_and_not1_b32 exec_lo, exec_lo, s17
	s_cbranch_execnz .LBB35_150
; %bb.151:
	s_or_b32 exec_lo, exec_lo, s17
.LBB35_152:
	s_delay_alu instid0(SALU_CYCLE_1)
	s_or_b32 exec_lo, exec_lo, s0
.LBB35_153:
	s_delay_alu instid0(SALU_CYCLE_1)
	s_or_b32 exec_lo, exec_lo, s15
.LBB35_154:
	s_and_not1_saveexec_b32 s0, s14
	s_cbranch_execz .LBB35_156
; %bb.155:
	ds_load_b128 v[1:4], v23 offset:8192
.LBB35_156:
	s_or_b32 exec_lo, exec_lo, s0
	v_ashrrev_i32_e32 v13, 31, v12
	s_delay_alu instid0(VALU_DEP_1) | instskip(NEXT) | instid1(VALU_DEP_1)
	v_lshlrev_b64 v[5:6], 4, v[12:13]
	v_add_co_u32 v5, vcc_lo, s18, v5
	s_delay_alu instid0(VALU_DEP_2)
	v_add_co_ci_u32_e32 v6, vcc_lo, s19, v6, vcc_lo
	v_cmp_ne_u32_e32 vcc_lo, 1, v21
	global_load_b128 v[5:8], v[5:6], off
	s_and_b32 vcc_lo, exec_lo, vcc_lo
	s_waitcnt vmcnt(0) lgkmcnt(0)
	v_mul_f64 v[12:13], v[7:8], -v[3:4]
	v_mul_f64 v[7:8], v[7:8], v[1:2]
	s_delay_alu instid0(VALU_DEP_2) | instskip(NEXT) | instid1(VALU_DEP_2)
	v_fma_f64 v[12:13], v[1:2], v[5:6], v[12:13]
	v_fma_f64 v[14:15], v[3:4], v[5:6], v[7:8]
	v_mov_b32_e32 v3, s22
	v_mov_b32_e32 v1, s16
	ds_store_b128 v23, v[12:15] offset:8192
	s_cbranch_vccnz .LBB35_160
; %bb.157:
	v_mov_b32_e32 v3, s22
	v_mov_b32_e32 v1, s16
	s_mov_b32 s14, 0
	.p2align	6
.LBB35_158:                             ; =>This Inner Loop Header: Depth=1
	s_delay_alu instid0(VALU_DEP_1) | instskip(NEXT) | instid1(VALU_DEP_1)
	v_add_nc_u32_e32 v2, v1, v3
	v_lshrrev_b32_e32 v4, 31, v2
	s_delay_alu instid0(VALU_DEP_1) | instskip(NEXT) | instid1(VALU_DEP_1)
	v_add_nc_u32_e32 v2, v2, v4
	v_ashrrev_i32_e32 v4, 1, v2
	s_delay_alu instid0(VALU_DEP_1) | instskip(NEXT) | instid1(VALU_DEP_1)
	v_ashrrev_i32_e32 v5, 31, v4
	v_lshlrev_b64 v[5:6], 2, v[4:5]
	s_delay_alu instid0(VALU_DEP_1) | instskip(NEXT) | instid1(VALU_DEP_2)
	v_add_co_u32 v5, vcc_lo, s12, v5
	v_add_co_ci_u32_e32 v6, vcc_lo, s13, v6, vcc_lo
	global_load_b32 v2, v[5:6], off
	s_waitcnt vmcnt(0)
	v_subrev_nc_u32_e32 v2, s24, v2
	s_delay_alu instid0(VALU_DEP_1) | instskip(SKIP_2) | instid1(VALU_DEP_1)
	v_cmp_gt_i32_e32 vcc_lo, v2, v20
	v_cndmask_b32_e32 v3, v4, v3, vcc_lo
	v_cndmask_b32_e32 v1, v1, v4, vcc_lo
	v_add_nc_u32_e32 v2, -1, v1
	s_delay_alu instid0(VALU_DEP_3) | instskip(NEXT) | instid1(VALU_DEP_2)
	v_cmp_ge_i32_e32 vcc_lo, v3, v1
	v_cmp_eq_u32_e64 s0, v3, v2
	s_delay_alu instid0(VALU_DEP_1) | instskip(NEXT) | instid1(SALU_CYCLE_1)
	s_or_b32 s0, vcc_lo, s0
	s_and_b32 s0, exec_lo, s0
	s_delay_alu instid0(SALU_CYCLE_1) | instskip(NEXT) | instid1(SALU_CYCLE_1)
	s_or_b32 s14, s0, s14
	s_and_not1_b32 exec_lo, exec_lo, s14
	s_cbranch_execnz .LBB35_158
; %bb.159:
	s_or_b32 exec_lo, exec_lo, s14
.LBB35_160:
	v_ashrrev_i32_e32 v2, 31, v1
	s_mov_b32 s0, exec_lo
	s_delay_alu instid0(VALU_DEP_1) | instskip(NEXT) | instid1(VALU_DEP_1)
	v_lshlrev_b64 v[4:5], 2, v[1:2]
	v_add_co_u32 v4, vcc_lo, s12, v4
	s_delay_alu instid0(VALU_DEP_2)
	v_add_co_ci_u32_e32 v5, vcc_lo, s13, v5, vcc_lo
	global_load_b32 v2, v[4:5], off
	global_load_b32 v4, v[10:11], off offset:3072
	s_waitcnt vmcnt(1)
	v_subrev_nc_u32_e32 v2, s24, v2
	s_waitcnt vmcnt(0)
	v_subrev_nc_u32_e32 v9, s24, v4
	s_delay_alu instid0(VALU_DEP_2) | instskip(SKIP_1) | instid1(VALU_DEP_1)
	v_cmp_gt_i32_e32 vcc_lo, v2, v20
	v_cndmask_b32_e32 v5, v1, v3, vcc_lo
                                        ; implicit-def: $vgpr1_vgpr2
	v_cmpx_ne_u32_e64 v9, v5
	s_xor_b32 s14, exec_lo, s0
	s_cbranch_execz .LBB35_176
; %bb.161:
	s_load_b32 s0, s[2:3], 0x0
	ds_load_b128 v[1:4], v23 offset:12288
	s_mov_b32 s2, exec_lo
	s_waitcnt lgkmcnt(0)
	s_sub_i32 s0, s0, s24
	s_delay_alu instid0(SALU_CYCLE_1)
	v_cmpx_gt_i32_e64 s0, v20
	s_cbranch_execz .LBB35_175
; %bb.162:
	v_ashrrev_i32_e32 v6, 31, v5
	v_cmp_le_i32_e64 s0, s23, v9
	s_delay_alu instid0(VALU_DEP_2) | instskip(NEXT) | instid1(VALU_DEP_1)
	v_lshlrev_b64 v[5:6], 4, v[5:6]
	v_add_co_u32 v5, vcc_lo, s18, v5
	s_delay_alu instid0(VALU_DEP_2)
	v_add_co_ci_u32_e32 v6, vcc_lo, s19, v6, vcc_lo
	v_cmp_gt_i32_e32 vcc_lo, s8, v9
	global_load_b128 v[5:8], v[5:6], off
	s_or_b32 s0, vcc_lo, s0
	s_waitcnt vmcnt(0)
	v_mul_f64 v[10:11], v[7:8], -v[3:4]
	v_mul_f64 v[7:8], v[7:8], v[1:2]
	s_delay_alu instid0(VALU_DEP_2) | instskip(NEXT) | instid1(VALU_DEP_2)
	v_fma_f64 v[13:14], v[1:2], v[5:6], v[10:11]
	v_fma_f64 v[11:12], v[3:4], v[5:6], v[7:8]
	s_and_saveexec_b32 s3, s0
	s_delay_alu instid0(SALU_CYCLE_1)
	s_xor_b32 s0, exec_lo, s3
	s_cbranch_execz .LBB35_168
; %bb.163:
	v_ashrrev_i32_e32 v10, 31, v9
	s_mov_b32 s3, 0
	s_delay_alu instid0(VALU_DEP_1) | instskip(NEXT) | instid1(VALU_DEP_1)
	v_lshlrev_b64 v[5:6], 4, v[9:10]
	v_add_co_u32 v15, vcc_lo, s20, v5
	s_delay_alu instid0(VALU_DEP_2)
	v_add_co_ci_u32_e32 v16, vcc_lo, s21, v6, vcc_lo
	global_load_b64 v[7:8], v[15:16], off
.LBB35_164:                             ; =>This Inner Loop Header: Depth=1
	s_waitcnt vmcnt(0)
	v_add_f64 v[5:6], v[7:8], v[13:14]
	global_atomic_cmpswap_b64 v[5:6], v[15:16], v[5:8], off glc
	s_waitcnt vmcnt(0)
	v_cmp_eq_u64_e32 vcc_lo, v[5:6], v[7:8]
	v_dual_mov_b32 v8, v6 :: v_dual_mov_b32 v7, v5
	s_or_b32 s3, vcc_lo, s3
	s_delay_alu instid0(SALU_CYCLE_1)
	s_and_not1_b32 exec_lo, exec_lo, s3
	s_cbranch_execnz .LBB35_164
; %bb.165:
	s_or_b32 exec_lo, exec_lo, s3
	global_load_b64 v[7:8], v[15:16], off offset:8
	s_mov_b32 s3, 0
.LBB35_166:                             ; =>This Inner Loop Header: Depth=1
	s_waitcnt vmcnt(0)
	v_add_f64 v[5:6], v[7:8], v[11:12]
	global_atomic_cmpswap_b64 v[5:6], v[15:16], v[5:8], off offset:8 glc
	s_waitcnt vmcnt(0)
	v_cmp_eq_u64_e32 vcc_lo, v[5:6], v[7:8]
	v_dual_mov_b32 v8, v6 :: v_dual_mov_b32 v7, v5
	s_or_b32 s3, vcc_lo, s3
	s_delay_alu instid0(SALU_CYCLE_1)
	s_and_not1_b32 exec_lo, exec_lo, s3
	s_cbranch_execnz .LBB35_166
; %bb.167:
	s_or_b32 exec_lo, exec_lo, s3
                                        ; implicit-def: $vgpr11_vgpr12
                                        ; implicit-def: $vgpr13_vgpr14
.LBB35_168:
	s_and_not1_saveexec_b32 s0, s0
	s_cbranch_execz .LBB35_174
; %bb.169:
	v_subrev_nc_u32_e32 v5, s8, v9
	s_mov_b32 s3, 0
	s_delay_alu instid0(VALU_DEP_1)
	v_lshl_add_u32 v7, v5, 4, 0x4000
	ds_load_b64 v[5:6], v7
.LBB35_170:                             ; =>This Inner Loop Header: Depth=1
	s_waitcnt lgkmcnt(0)
	v_add_f64 v[15:16], v[5:6], v[13:14]
	ds_cmpstore_rtn_b64 v[15:16], v7, v[15:16], v[5:6]
	s_waitcnt lgkmcnt(0)
	v_cmp_eq_u64_e32 vcc_lo, v[15:16], v[5:6]
	v_dual_mov_b32 v5, v15 :: v_dual_mov_b32 v6, v16
	s_or_b32 s3, vcc_lo, s3
	s_delay_alu instid0(SALU_CYCLE_1)
	s_and_not1_b32 exec_lo, exec_lo, s3
	s_cbranch_execnz .LBB35_170
; %bb.171:
	s_or_b32 exec_lo, exec_lo, s3
	ds_load_b64 v[5:6], v7 offset:8
	s_mov_b32 s3, 0
.LBB35_172:                             ; =>This Inner Loop Header: Depth=1
	s_waitcnt lgkmcnt(0)
	v_add_f64 v[13:14], v[5:6], v[11:12]
	ds_cmpstore_rtn_b64 v[13:14], v7, v[13:14], v[5:6] offset:8
	s_waitcnt lgkmcnt(0)
	v_cmp_eq_u64_e32 vcc_lo, v[13:14], v[5:6]
	v_dual_mov_b32 v5, v13 :: v_dual_mov_b32 v6, v14
	s_or_b32 s3, vcc_lo, s3
	s_delay_alu instid0(SALU_CYCLE_1)
	s_and_not1_b32 exec_lo, exec_lo, s3
	s_cbranch_execnz .LBB35_172
; %bb.173:
	s_or_b32 exec_lo, exec_lo, s3
.LBB35_174:
	s_delay_alu instid0(SALU_CYCLE_1)
	s_or_b32 exec_lo, exec_lo, s0
.LBB35_175:
	s_delay_alu instid0(SALU_CYCLE_1)
	s_or_b32 exec_lo, exec_lo, s2
.LBB35_176:
	s_and_not1_saveexec_b32 s0, s14
	s_cbranch_execz .LBB35_178
; %bb.177:
	ds_load_b128 v[1:4], v23 offset:12288
.LBB35_178:
	s_or_b32 exec_lo, exec_lo, s0
	v_ashrrev_i32_e32 v10, 31, v9
	s_delay_alu instid0(VALU_DEP_1) | instskip(NEXT) | instid1(VALU_DEP_1)
	v_lshlrev_b64 v[5:6], 4, v[9:10]
	v_add_co_u32 v5, vcc_lo, s18, v5
	s_delay_alu instid0(VALU_DEP_2) | instskip(SKIP_4) | instid1(VALU_DEP_2)
	v_add_co_ci_u32_e32 v6, vcc_lo, s19, v6, vcc_lo
	global_load_b128 v[5:8], v[5:6], off
	s_waitcnt vmcnt(0) lgkmcnt(0)
	v_mul_f64 v[9:10], v[7:8], -v[3:4]
	v_mul_f64 v[7:8], v[7:8], v[1:2]
	v_fma_f64 v[1:2], v[1:2], v[5:6], v[9:10]
	s_delay_alu instid0(VALU_DEP_2)
	v_fma_f64 v[3:4], v[3:4], v[5:6], v[7:8]
	ds_store_b128 v23, v[1:4] offset:12288
.LBB35_179:
	s_or_b32 exec_lo, exec_lo, s9
	s_min_i32 s9, s23, s10
	s_mov_b32 s2, exec_lo
	s_sub_i32 s0, s9, s11
	s_waitcnt lgkmcnt(0)
	s_barrier
	buffer_gl0_inv
	v_cmpx_gt_i32_e64 s0, v0
	s_cbranch_execz .LBB35_186
; %bb.180:
	v_mov_b32_e32 v11, v0
	s_mov_b32 s3, 0
	s_set_inst_prefetch_distance 0x1
	.p2align	6
.LBB35_181:                             ; =>This Loop Header: Depth=1
                                        ;     Child Loop BB35_182 Depth 2
                                        ;     Child Loop BB35_184 Depth 2
	s_delay_alu instid0(VALU_DEP_1) | instskip(SKIP_1) | instid1(VALU_DEP_1)
	v_add_nc_u32_e32 v1, s8, v11
	s_mov_b32 s10, 0
	v_ashrrev_i32_e32 v2, 31, v1
	s_delay_alu instid0(VALU_DEP_1) | instskip(NEXT) | instid1(VALU_DEP_1)
	v_lshlrev_b64 v[1:2], 4, v[1:2]
	v_add_co_u32 v9, vcc_lo, s20, v1
	s_delay_alu instid0(VALU_DEP_2)
	v_add_co_ci_u32_e32 v10, vcc_lo, s21, v2, vcc_lo
	v_lshl_add_u32 v1, v11, 4, 0x4000
	global_load_b64 v[7:8], v[9:10], off
	ds_load_2addr_b64 v[1:4], v1 offset1:1
.LBB35_182:                             ;   Parent Loop BB35_181 Depth=1
                                        ; =>  This Inner Loop Header: Depth=2
	s_waitcnt vmcnt(0) lgkmcnt(0)
	v_add_f64 v[5:6], v[7:8], v[1:2]
	global_atomic_cmpswap_b64 v[5:6], v[9:10], v[5:8], off glc
	s_waitcnt vmcnt(0)
	v_cmp_eq_u64_e32 vcc_lo, v[5:6], v[7:8]
	v_dual_mov_b32 v8, v6 :: v_dual_mov_b32 v7, v5
	s_or_b32 s10, vcc_lo, s10
	s_delay_alu instid0(SALU_CYCLE_1)
	s_and_not1_b32 exec_lo, exec_lo, s10
	s_cbranch_execnz .LBB35_182
; %bb.183:                              ;   in Loop: Header=BB35_181 Depth=1
	s_or_b32 exec_lo, exec_lo, s10
	global_load_b64 v[7:8], v[9:10], off offset:8
	s_mov_b32 s10, 0
.LBB35_184:                             ;   Parent Loop BB35_181 Depth=1
                                        ; =>  This Inner Loop Header: Depth=2
	s_waitcnt vmcnt(0)
	v_add_f64 v[5:6], v[7:8], v[3:4]
	global_atomic_cmpswap_b64 v[1:2], v[9:10], v[5:8], off offset:8 glc
	s_waitcnt vmcnt(0)
	v_cmp_eq_u64_e32 vcc_lo, v[1:2], v[7:8]
	v_dual_mov_b32 v8, v2 :: v_dual_mov_b32 v7, v1
	s_or_b32 s10, vcc_lo, s10
	s_delay_alu instid0(SALU_CYCLE_1)
	s_and_not1_b32 exec_lo, exec_lo, s10
	s_cbranch_execnz .LBB35_184
; %bb.185:                              ;   in Loop: Header=BB35_181 Depth=1
	s_or_b32 exec_lo, exec_lo, s10
	v_add_nc_u32_e32 v11, 0x100, v11
	s_delay_alu instid0(VALU_DEP_1) | instskip(SKIP_1) | instid1(SALU_CYCLE_1)
	v_cmp_le_i32_e32 vcc_lo, s0, v11
	s_or_b32 s3, vcc_lo, s3
	s_and_not1_b32 exec_lo, exec_lo, s3
	s_cbranch_execnz .LBB35_181
.LBB35_186:
	s_set_inst_prefetch_distance 0x2
	s_or_b32 exec_lo, exec_lo, s2
	s_mul_i32 s2, s7, s11
	s_add_i32 s3, s7, 1
	s_sub_i32 s2, s1, s2
	v_add_nc_u32_e32 v9, s22, v0
	s_sub_i32 s8, s2, s11
	s_cmp_ge_u32 s2, s11
	s_cselect_b32 s3, s3, s7
	s_cselect_b32 s2, s8, s2
	s_add_i32 s7, s3, 1
	s_cmp_ge_u32 s2, s11
	s_barrier
	s_cselect_b32 s2, s7, s3
	s_mov_b32 s7, -1
	s_add_i32 s2, s2, -1
	buffer_gl0_inv
	s_ashr_i32 s3, s2, 1
	s_delay_alu instid0(SALU_CYCLE_1) | instskip(NEXT) | instid1(SALU_CYCLE_1)
	s_or_b32 s2, s3, s2
	s_ashr_i32 s3, s2, 2
	s_delay_alu instid0(SALU_CYCLE_1) | instskip(NEXT) | instid1(SALU_CYCLE_1)
	s_or_b32 s2, s3, s2
	;; [unrolled: 3-line block ×5, first 2 shown]
	s_add_i32 s2, s2, 1
	s_delay_alu instid0(SALU_CYCLE_1) | instskip(NEXT) | instid1(SALU_CYCLE_1)
	s_ashr_i32 s3, s2, 1
	s_cmp_gt_i32 s3, 1
	s_cbranch_scc1 .LBB35_199
; %bb.187:
	s_mov_b32 s7, exec_lo
	v_cmpx_gt_i32_e64 s23, v9
	s_cbranch_execz .LBB35_198
; %bb.188:
	s_sub_i32 s8, s9, s23
	v_mov_b32_e32 v10, v9
	s_lshl_b32 s10, s6, 4
	s_lshl_b32 s8, s8, 4
	s_mov_b32 s9, 0
	s_addk_i32 s8, 0x4000
	s_sub_i32 s10, 0, s10
.LBB35_189:                             ; =>This Loop Header: Depth=1
                                        ;     Child Loop BB35_191 Depth 2
                                        ;     Child Loop BB35_194 Depth 2
	;; [unrolled: 1-line block ×3, first 2 shown]
	v_ashrrev_i32_e32 v11, 31, v10
	v_mov_b32_e32 v12, 0
	v_mov_b32_e32 v13, 0
	s_delay_alu instid0(VALU_DEP_2) | instskip(SKIP_2) | instid1(VALU_DEP_3)
	v_mov_b32_e32 v5, v12
	s_mov_b32 s14, exec_lo
	v_lshlrev_b64 v[1:2], 2, v[10:11]
	v_mov_b32_e32 v6, v13
	s_delay_alu instid0(VALU_DEP_2) | instskip(NEXT) | instid1(VALU_DEP_3)
	v_add_co_u32 v1, vcc_lo, s12, v1
	v_add_co_ci_u32_e32 v2, vcc_lo, s13, v2, vcc_lo
	global_load_b64 v[1:2], v[1:2], off
	s_waitcnt vmcnt(0)
	v_cmpx_lt_i32_e64 v1, v2
	s_cbranch_execz .LBB35_193
; %bb.190:                              ;   in Loop: Header=BB35_189 Depth=1
	v_mov_b32_e32 v12, 0
	v_mov_b32_e32 v13, 0
	v_subrev_nc_u32_e32 v2, s6, v2
	v_subrev_nc_u32_e32 v3, s6, v1
	v_lshl_add_u32 v1, v1, 4, s10
	s_delay_alu instid0(VALU_DEP_4)
	v_dual_mov_b32 v5, v12 :: v_dual_mov_b32 v6, v13
	s_mov_b32 s15, 0
.LBB35_191:                             ;   Parent Loop BB35_189 Depth=1
                                        ; =>  This Inner Loop Header: Depth=2
	ds_load_b128 v[14:17], v1
	v_add_nc_u32_e32 v3, 1, v3
	v_add_nc_u32_e32 v1, 16, v1
	s_delay_alu instid0(VALU_DEP_2)
	v_cmp_ge_i32_e32 vcc_lo, v3, v2
	s_or_b32 s15, vcc_lo, s15
	s_waitcnt lgkmcnt(0)
	v_add_f64 v[5:6], v[5:6], v[14:15]
	v_add_f64 v[12:13], v[12:13], v[16:17]
	s_and_not1_b32 exec_lo, exec_lo, s15
	s_cbranch_execnz .LBB35_191
; %bb.192:                              ;   in Loop: Header=BB35_189 Depth=1
	s_or_b32 exec_lo, exec_lo, s15
.LBB35_193:                             ;   in Loop: Header=BB35_189 Depth=1
	s_delay_alu instid0(SALU_CYCLE_1) | instskip(SKIP_2) | instid1(VALU_DEP_1)
	s_or_b32 exec_lo, exec_lo, s14
	v_lshlrev_b64 v[1:2], 4, v[10:11]
	s_mov_b32 s14, 0
	v_add_co_u32 v14, vcc_lo, s20, v1
	s_delay_alu instid0(VALU_DEP_2)
	v_add_co_ci_u32_e32 v15, vcc_lo, s21, v2, vcc_lo
	v_lshl_add_u32 v1, v10, 4, s8
	global_load_b64 v[7:8], v[14:15], off
	ds_load_2addr_b64 v[1:4], v1 offset1:1
	s_waitcnt lgkmcnt(0)
	v_add_f64 v[1:2], v[5:6], v[1:2]
.LBB35_194:                             ;   Parent Loop BB35_189 Depth=1
                                        ; =>  This Inner Loop Header: Depth=2
	s_waitcnt vmcnt(0)
	s_delay_alu instid0(VALU_DEP_1)
	v_add_f64 v[5:6], v[7:8], v[1:2]
	global_atomic_cmpswap_b64 v[5:6], v[14:15], v[5:8], off glc
	s_waitcnt vmcnt(0)
	v_cmp_eq_u64_e32 vcc_lo, v[5:6], v[7:8]
	v_dual_mov_b32 v8, v6 :: v_dual_mov_b32 v7, v5
	s_or_b32 s14, vcc_lo, s14
	s_delay_alu instid0(SALU_CYCLE_1)
	s_and_not1_b32 exec_lo, exec_lo, s14
	s_cbranch_execnz .LBB35_194
; %bb.195:                              ;   in Loop: Header=BB35_189 Depth=1
	s_or_b32 exec_lo, exec_lo, s14
	global_load_b64 v[5:6], v[14:15], off offset:8
	v_add_f64 v[1:2], v[12:13], v[3:4]
	s_mov_b32 s14, 0
.LBB35_196:                             ;   Parent Loop BB35_189 Depth=1
                                        ; =>  This Inner Loop Header: Depth=2
	s_waitcnt vmcnt(0)
	s_delay_alu instid0(VALU_DEP_1)
	v_add_f64 v[3:4], v[5:6], v[1:2]
	global_atomic_cmpswap_b64 v[3:4], v[14:15], v[3:6], off offset:8 glc
	s_waitcnt vmcnt(0)
	v_cmp_eq_u64_e32 vcc_lo, v[3:4], v[5:6]
	v_dual_mov_b32 v6, v4 :: v_dual_mov_b32 v5, v3
	s_or_b32 s14, vcc_lo, s14
	s_delay_alu instid0(SALU_CYCLE_1)
	s_and_not1_b32 exec_lo, exec_lo, s14
	s_cbranch_execnz .LBB35_196
; %bb.197:                              ;   in Loop: Header=BB35_189 Depth=1
	s_or_b32 exec_lo, exec_lo, s14
	v_add_nc_u32_e32 v10, s1, v10
	s_delay_alu instid0(VALU_DEP_1) | instskip(SKIP_1) | instid1(SALU_CYCLE_1)
	v_cmp_le_i32_e32 vcc_lo, s23, v10
	s_or_b32 s9, vcc_lo, s9
	s_and_not1_b32 exec_lo, exec_lo, s9
	s_cbranch_execnz .LBB35_189
.LBB35_198:
	s_or_b32 exec_lo, exec_lo, s7
	s_mov_b32 s7, 0
.LBB35_199:
	s_delay_alu instid0(SALU_CYCLE_1)
	s_and_not1_b32 vcc_lo, exec_lo, s7
	s_cbranch_vccnz .LBB35_226
; %bb.200:
	v_cvt_f32_u32_e32 v1, s3
	s_sub_i32 s1, 0, s3
	s_delay_alu instid0(VALU_DEP_1) | instskip(SKIP_2) | instid1(VALU_DEP_1)
	v_rcp_iflag_f32_e32 v1, v1
	s_waitcnt_depctr 0xfff
	v_mul_f32_e32 v1, 0x4f7ffffe, v1
	v_cvt_u32_f32_e32 v1, v1
	s_delay_alu instid0(VALU_DEP_1) | instskip(NEXT) | instid1(VALU_DEP_1)
	v_mul_lo_u32 v2, s1, v1
	v_mul_hi_u32 v2, v1, v2
	s_delay_alu instid0(VALU_DEP_1) | instskip(NEXT) | instid1(VALU_DEP_1)
	v_add_nc_u32_e32 v1, v1, v2
	v_mul_hi_u32 v1, v0, v1
	s_delay_alu instid0(VALU_DEP_1) | instskip(SKIP_1) | instid1(VALU_DEP_2)
	v_mul_lo_u32 v2, v1, s3
	v_add_nc_u32_e32 v3, 1, v1
	v_sub_nc_u32_e32 v2, v0, v2
	s_delay_alu instid0(VALU_DEP_1) | instskip(SKIP_1) | instid1(VALU_DEP_2)
	v_subrev_nc_u32_e32 v4, s3, v2
	v_cmp_le_u32_e32 vcc_lo, s3, v2
	v_dual_cndmask_b32 v1, v1, v3 :: v_dual_cndmask_b32 v2, v2, v4
	s_delay_alu instid0(VALU_DEP_1) | instskip(NEXT) | instid1(VALU_DEP_2)
	v_add_nc_u32_e32 v3, 1, v1
	v_cmp_le_u32_e32 vcc_lo, s3, v2
	s_delay_alu instid0(VALU_DEP_2) | instskip(SKIP_2) | instid1(VALU_DEP_3)
	v_cndmask_b32_e32 v1, v1, v3, vcc_lo
	v_mov_b32_e32 v3, 0
	v_mov_b32_e32 v4, 0
	v_lshlrev_b32_e32 v2, 2, v1
	v_cmp_gt_i32_e32 vcc_lo, s11, v1
	global_load_b64 v[6:7], v2, s[4:5]
	v_dual_mov_b32 v1, v3 :: v_dual_mov_b32 v2, v4
	s_and_saveexec_b32 s1, vcc_lo
	s_cbranch_execz .LBB35_214
; %bb.201:
	s_abs_i32 s4, s3
	s_waitcnt vmcnt(0)
	v_subrev_nc_u32_e32 v5, s6, v6
	v_cvt_f32_u32_e32 v1, s4
	s_sub_i32 s5, 0, s4
	v_subrev_nc_u32_e32 v8, s6, v7
	s_delay_alu instid0(VALU_DEP_2) | instskip(NEXT) | instid1(VALU_DEP_1)
	v_rcp_iflag_f32_e32 v1, v1
	v_sub_nc_u32_e32 v3, v8, v5
	s_delay_alu instid0(VALU_DEP_1) | instskip(SKIP_4) | instid1(VALU_DEP_3)
	v_sub_nc_u32_e32 v4, 0, v3
	s_waitcnt_depctr 0xfff
	v_mul_f32_e32 v1, 0x4f7ffffe, v1
	v_max_i32_e32 v4, v3, v4
	v_ashrrev_i32_e32 v3, 31, v3
	v_cvt_u32_f32_e32 v1, v1
	s_delay_alu instid0(VALU_DEP_1) | instskip(SKIP_1) | instid1(VALU_DEP_1)
	v_mul_lo_u32 v2, s5, v1
	s_ashr_i32 s5, s3, 31
	v_mul_hi_u32 v2, v1, v2
	s_delay_alu instid0(VALU_DEP_1) | instskip(NEXT) | instid1(VALU_DEP_1)
	v_add_nc_u32_e32 v7, v1, v2
	v_mad_u64_u32 v[1:2], null, v4, v7, 0
	s_delay_alu instid0(VALU_DEP_1) | instskip(NEXT) | instid1(VALU_DEP_1)
	v_mul_lo_u32 v1, v2, s4
	v_sub_nc_u32_e32 v1, v4, v1
	v_add_nc_u32_e32 v4, 1, v2
	s_delay_alu instid0(VALU_DEP_2) | instskip(SKIP_1) | instid1(VALU_DEP_2)
	v_subrev_nc_u32_e32 v7, s4, v1
	v_cmp_le_u32_e32 vcc_lo, s4, v1
	v_dual_cndmask_b32 v2, v2, v4 :: v_dual_cndmask_b32 v1, v1, v7
	v_xor_b32_e32 v7, s5, v3
	s_delay_alu instid0(VALU_DEP_2) | instskip(NEXT) | instid1(VALU_DEP_3)
	v_add_nc_u32_e32 v4, 1, v2
	v_cmp_le_u32_e32 vcc_lo, s4, v1
	s_add_i32 s4, s3, -1
	s_delay_alu instid0(SALU_CYCLE_1) | instskip(SKIP_4) | instid1(VALU_DEP_3)
	v_and_b32_e32 v10, s4, v0
	s_mov_b32 s4, exec_lo
	v_cndmask_b32_e32 v1, v2, v4, vcc_lo
	v_mov_b32_e32 v3, 0
	v_mov_b32_e32 v4, 0
	v_xor_b32_e32 v1, v1, v7
	s_delay_alu instid0(VALU_DEP_1) | instskip(NEXT) | instid1(VALU_DEP_3)
	v_sub_nc_u32_e32 v11, v1, v7
	v_dual_mov_b32 v1, v3 :: v_dual_mov_b32 v2, v4
	s_delay_alu instid0(VALU_DEP_2)
	v_cmpx_lt_i32_e32 0, v11
	s_cbranch_execz .LBB35_211
; %bb.202:
	v_mov_b32_e32 v1, 0
	v_dual_mov_b32 v2, 0 :: v_dual_mov_b32 v7, 0
	s_mov_b32 s5, exec_lo
	s_delay_alu instid0(VALU_DEP_1)
	v_dual_mov_b32 v4, v2 :: v_dual_mov_b32 v3, v1
	v_cmpx_lt_u32_e32 7, v11
	s_cbranch_execz .LBB35_206
; %bb.203:
	v_add_nc_u32_e32 v1, v6, v10
	v_mov_b32_e32 v3, 0
	v_dual_mov_b32 v4, 0 :: v_dual_and_b32 v7, 0x7ffffff8, v11
	s_lshl_b32 s7, s3, 7
	s_delay_alu instid0(VALU_DEP_3) | instskip(SKIP_3) | instid1(VALU_DEP_1)
	v_subrev_nc_u32_e32 v1, s6, v1
	s_lshl_b32 s9, s3, 4
	s_mov_b32 s8, 0
	s_mov_b32 s10, 0
	v_dual_mov_b32 v1, v3 :: v_dual_lshlrev_b32 v12, 4, v1
	v_mov_b32_e32 v2, v4
.LBB35_204:                             ; =>This Inner Loop Header: Depth=1
	ds_load_b128 v[13:16], v12
	s_add_i32 s10, s10, 8
	s_delay_alu instid0(SALU_CYCLE_1)
	v_cmp_eq_u32_e32 vcc_lo, s10, v7
	s_or_b32 s8, vcc_lo, s8
	s_waitcnt lgkmcnt(0)
	v_add_f64 v[17:18], v[1:2], v[13:14]
	v_add_f64 v[19:20], v[3:4], v[15:16]
	v_add_nc_u32_e32 v13, s9, v12
	v_add_nc_u32_e32 v12, s7, v12
	ds_load_b128 v[1:4], v13
	v_add_nc_u32_e32 v21, s9, v13
	ds_load_b128 v[13:16], v21
	s_waitcnt lgkmcnt(1)
	v_add_f64 v[1:2], v[17:18], v[1:2]
	v_add_f64 v[3:4], v[19:20], v[3:4]
	s_waitcnt lgkmcnt(0)
	s_delay_alu instid0(VALU_DEP_2) | instskip(NEXT) | instid1(VALU_DEP_2)
	v_add_f64 v[17:18], v[1:2], v[13:14]
	v_add_f64 v[19:20], v[3:4], v[15:16]
	v_add_nc_u32_e32 v13, s9, v21
	ds_load_b128 v[1:4], v13
	v_add_nc_u32_e32 v21, s9, v13
	ds_load_b128 v[13:16], v21
	s_waitcnt lgkmcnt(1)
	v_add_f64 v[1:2], v[17:18], v[1:2]
	v_add_f64 v[3:4], v[19:20], v[3:4]
	v_add_nc_u32_e32 v17, s9, v21
	s_waitcnt lgkmcnt(0)
	s_delay_alu instid0(VALU_DEP_3) | instskip(NEXT) | instid1(VALU_DEP_3)
	v_add_f64 v[13:14], v[1:2], v[13:14]
	v_add_f64 v[15:16], v[3:4], v[15:16]
	ds_load_b128 v[1:4], v17
	v_add_nc_u32_e32 v17, s9, v17
	s_waitcnt lgkmcnt(0)
	v_add_f64 v[13:14], v[13:14], v[1:2]
	v_add_f64 v[15:16], v[15:16], v[3:4]
	ds_load_2addr_b64 v[1:4], v17 offset1:1
	s_waitcnt lgkmcnt(0)
	v_add_f64 v[13:14], v[13:14], v[1:2]
	v_add_f64 v[15:16], v[15:16], v[3:4]
	v_add_nc_u32_e32 v1, s9, v17
	ds_load_2addr_b64 v[1:4], v1 offset1:1
	s_waitcnt lgkmcnt(0)
	v_add_f64 v[1:2], v[13:14], v[1:2]
	v_add_f64 v[3:4], v[15:16], v[3:4]
	s_and_not1_b32 exec_lo, exec_lo, s8
	s_cbranch_execnz .LBB35_204
; %bb.205:
	s_or_b32 exec_lo, exec_lo, s8
.LBB35_206:
	s_delay_alu instid0(SALU_CYCLE_1) | instskip(SKIP_3) | instid1(VALU_DEP_1)
	s_or_b32 exec_lo, exec_lo, s5
	v_and_b32_e32 v12, 7, v11
	s_mov_b32 s7, 0
	s_mov_b32 s5, exec_lo
	v_cmpx_ne_u32_e32 0, v12
	s_cbranch_execz .LBB35_210
; %bb.207:
	v_mul_lo_u32 v7, v7, s3
	s_delay_alu instid0(VALU_DEP_1) | instskip(NEXT) | instid1(VALU_DEP_1)
	v_add3_u32 v6, v6, v10, v7
	v_subrev_nc_u32_e32 v6, s6, v6
	s_lshl_b32 s6, s3, 4
	s_delay_alu instid0(VALU_DEP_1)
	v_lshlrev_b32_e32 v6, 4, v6
.LBB35_208:                             ; =>This Inner Loop Header: Depth=1
	ds_load_b128 v[13:16], v6
	v_add_nc_u32_e32 v12, -1, v12
	v_add_nc_u32_e32 v6, s6, v6
	s_delay_alu instid0(VALU_DEP_2)
	v_cmp_eq_u32_e32 vcc_lo, 0, v12
	s_or_b32 s7, vcc_lo, s7
	s_waitcnt lgkmcnt(0)
	v_add_f64 v[1:2], v[1:2], v[13:14]
	v_add_f64 v[3:4], v[3:4], v[15:16]
	s_and_not1_b32 exec_lo, exec_lo, s7
	s_cbranch_execnz .LBB35_208
; %bb.209:
	s_or_b32 exec_lo, exec_lo, s7
.LBB35_210:
	s_delay_alu instid0(SALU_CYCLE_1)
	s_or_b32 exec_lo, exec_lo, s5
.LBB35_211:
	s_delay_alu instid0(SALU_CYCLE_1) | instskip(SKIP_2) | instid1(VALU_DEP_1)
	s_or_b32 exec_lo, exec_lo, s4
	v_mad_u64_u32 v[6:7], null, v11, s3, v[5:6]
	s_mov_b32 s4, exec_lo
	v_sub_nc_u32_e32 v5, v8, v6
	s_delay_alu instid0(VALU_DEP_1)
	v_cmpx_lt_i32_e64 v10, v5
	s_cbranch_execz .LBB35_213
; %bb.212:
	v_add_lshl_u32 v5, v6, v10, 4
	ds_load_b128 v[5:8], v5
	s_waitcnt lgkmcnt(0)
	v_add_f64 v[1:2], v[1:2], v[5:6]
	v_add_f64 v[3:4], v[3:4], v[7:8]
.LBB35_213:
	s_or_b32 exec_lo, exec_lo, s4
.LBB35_214:
	s_delay_alu instid0(SALU_CYCLE_1)
	s_or_b32 exec_lo, exec_lo, s1
	v_cmp_gt_i32_e32 vcc_lo, s11, v0
	s_waitcnt vmcnt(0)
	s_barrier
	buffer_gl0_inv
	ds_store_b128 v23, v[1:4]
	s_waitcnt lgkmcnt(0)
	s_barrier
	buffer_gl0_inv
	s_and_b32 exec_lo, exec_lo, vcc_lo
	s_cbranch_execz .LBB35_226
; %bb.215:
	v_mul_lo_u32 v1, s3, v0
	v_mov_b32_e32 v4, 0
	v_mov_b32_e32 v5, 0
	s_cmp_lt_u32 s3, 8
	s_cbranch_scc1 .LBB35_218
; %bb.216:
	s_delay_alu instid0(VALU_DEP_3) | instskip(SKIP_1) | instid1(VALU_DEP_2)
	v_dual_mov_b32 v11, 0 :: v_dual_lshlrev_b32 v2, 4, v1
	v_mov_b32_e32 v12, 0
	v_mov_b32_e32 v4, v11
	s_and_b32 s1, s3, 0x7ffffff8
	s_mov_b32 s3, 0
	s_delay_alu instid0(VALU_DEP_2)
	v_mov_b32_e32 v5, v12
.LBB35_217:                             ; =>This Inner Loop Header: Depth=1
	ds_load_b128 v[13:16], v2
	ds_load_b128 v[17:20], v2 offset:16
	s_add_i32 s3, s3, 8
	s_delay_alu instid0(SALU_CYCLE_1) | instskip(SKIP_4) | instid1(VALU_DEP_2)
	s_cmp_eq_u32 s1, s3
	s_waitcnt lgkmcnt(1)
	v_add_f64 v[3:4], v[4:5], v[13:14]
	v_add_f64 v[5:6], v[11:12], v[15:16]
	s_waitcnt lgkmcnt(0)
	v_add_f64 v[7:8], v[3:4], v[17:18]
	s_delay_alu instid0(VALU_DEP_2)
	v_add_f64 v[14:15], v[5:6], v[19:20]
	ds_load_b128 v[3:6], v2 offset:32
	ds_load_b128 v[10:13], v2 offset:48
	s_waitcnt lgkmcnt(1)
	v_add_f64 v[3:4], v[7:8], v[3:4]
	v_add_f64 v[5:6], v[14:15], v[5:6]
	s_waitcnt lgkmcnt(0)
	s_delay_alu instid0(VALU_DEP_2) | instskip(NEXT) | instid1(VALU_DEP_2)
	v_add_f64 v[7:8], v[3:4], v[10:11]
	v_add_f64 v[14:15], v[5:6], v[12:13]
	ds_load_b128 v[3:6], v2 offset:64
	ds_load_b128 v[10:13], v2 offset:80
	s_waitcnt lgkmcnt(1)
	v_add_f64 v[3:4], v[7:8], v[3:4]
	v_add_f64 v[5:6], v[14:15], v[5:6]
	s_waitcnt lgkmcnt(0)
	s_delay_alu instid0(VALU_DEP_2) | instskip(NEXT) | instid1(VALU_DEP_2)
	v_add_f64 v[7:8], v[3:4], v[10:11]
	v_add_f64 v[14:15], v[5:6], v[12:13]
	ds_load_b128 v[3:6], v2 offset:96
	ds_load_b128 v[10:13], v2 offset:112
	v_add_nc_u32_e32 v2, 0x80, v2
	s_waitcnt lgkmcnt(1)
	v_add_f64 v[3:4], v[7:8], v[3:4]
	v_add_f64 v[6:7], v[14:15], v[5:6]
	s_waitcnt lgkmcnt(0)
	s_delay_alu instid0(VALU_DEP_2) | instskip(NEXT) | instid1(VALU_DEP_2)
	v_add_f64 v[4:5], v[3:4], v[10:11]
	v_add_f64 v[11:12], v[6:7], v[12:13]
	s_cbranch_scc0 .LBB35_217
	s_branch .LBB35_219
.LBB35_218:
	s_delay_alu instid0(VALU_DEP_1)
	v_dual_mov_b32 v12, v5 :: v_dual_mov_b32 v11, v4
	s_mov_b32 s1, 0
.LBB35_219:
	s_bfe_u32 s2, s2, 0x30001
	s_delay_alu instid0(SALU_CYCLE_1)
	s_cmp_eq_u32 s2, 0
	s_cbranch_scc1 .LBB35_222
; %bb.220:
	v_add_lshl_u32 v1, s1, v1, 4
.LBB35_221:                             ; =>This Inner Loop Header: Depth=1
	ds_load_b128 v[13:16], v1
	v_add_nc_u32_e32 v1, 16, v1
	s_add_i32 s2, s2, -1
	s_delay_alu instid0(SALU_CYCLE_1)
	s_cmp_lg_u32 s2, 0
	s_waitcnt lgkmcnt(0)
	v_add_f64 v[4:5], v[4:5], v[13:14]
	v_add_f64 v[11:12], v[11:12], v[15:16]
	s_cbranch_scc1 .LBB35_221
.LBB35_222:
	v_ashrrev_i32_e32 v10, 31, v9
	v_lshlrev_b32_e32 v0, 4, v0
	s_lshl_b32 s0, s0, 4
	s_delay_alu instid0(VALU_DEP_2) | instskip(NEXT) | instid1(VALU_DEP_2)
	v_lshlrev_b64 v[1:2], 4, v[9:10]
	v_add3_u32 v0, 0x4000, s0, v0
	s_mov_b32 s0, 0
	s_delay_alu instid0(VALU_DEP_2) | instskip(NEXT) | instid1(VALU_DEP_3)
	v_add_co_u32 v8, vcc_lo, s20, v1
	v_add_co_ci_u32_e32 v9, vcc_lo, s21, v2, vcc_lo
	ds_load_2addr_b64 v[0:3], v0 offset1:1
	global_load_b64 v[6:7], v[8:9], off
	s_waitcnt lgkmcnt(0)
	v_add_f64 v[0:1], v[4:5], v[0:1]
.LBB35_223:                             ; =>This Inner Loop Header: Depth=1
	s_waitcnt vmcnt(0)
	s_delay_alu instid0(VALU_DEP_1)
	v_add_f64 v[4:5], v[6:7], v[0:1]
	global_atomic_cmpswap_b64 v[4:5], v[8:9], v[4:7], off glc
	s_waitcnt vmcnt(0)
	v_cmp_eq_u64_e32 vcc_lo, v[4:5], v[6:7]
	v_dual_mov_b32 v7, v5 :: v_dual_mov_b32 v6, v4
	s_or_b32 s0, vcc_lo, s0
	s_delay_alu instid0(SALU_CYCLE_1)
	s_and_not1_b32 exec_lo, exec_lo, s0
	s_cbranch_execnz .LBB35_223
; %bb.224:
	s_or_b32 exec_lo, exec_lo, s0
	global_load_b64 v[4:5], v[8:9], off offset:8
	v_add_f64 v[0:1], v[11:12], v[2:3]
	s_mov_b32 s0, 0
.LBB35_225:                             ; =>This Inner Loop Header: Depth=1
	s_waitcnt vmcnt(0)
	s_delay_alu instid0(VALU_DEP_1)
	v_add_f64 v[2:3], v[4:5], v[0:1]
	global_atomic_cmpswap_b64 v[2:3], v[8:9], v[2:5], off offset:8 glc
	s_waitcnt vmcnt(0)
	v_cmp_eq_u64_e32 vcc_lo, v[2:3], v[4:5]
	v_dual_mov_b32 v5, v3 :: v_dual_mov_b32 v4, v2
	s_or_b32 s0, vcc_lo, s0
	s_delay_alu instid0(SALU_CYCLE_1)
	s_and_not1_b32 exec_lo, exec_lo, s0
	s_cbranch_execnz .LBB35_225
.LBB35_226:
	s_endpgm
	.section	.rodata,"a",@progbits
	.p2align	6, 0x0
	.amdhsa_kernel _ZN9rocsparseL27csrmvn_symm_adaptive_kernelIii21rocsparse_complex_numIdES2_S2_S2_EEvbT_S3_PKS3_NS_24const_host_device_scalarIT4_EES5_PKT0_PKT1_PKT2_S8_PT3_21rocsparse_index_base_b
		.amdhsa_group_segment_fixed_size 16384
		.amdhsa_private_segment_fixed_size 24
		.amdhsa_kernarg_size 360
		.amdhsa_user_sgpr_count 15
		.amdhsa_user_sgpr_dispatch_ptr 0
		.amdhsa_user_sgpr_queue_ptr 0
		.amdhsa_user_sgpr_kernarg_segment_ptr 1
		.amdhsa_user_sgpr_dispatch_id 0
		.amdhsa_user_sgpr_private_segment_size 0
		.amdhsa_wavefront_size32 1
		.amdhsa_uses_dynamic_stack 0
		.amdhsa_enable_private_segment 1
		.amdhsa_system_sgpr_workgroup_id_x 1
		.amdhsa_system_sgpr_workgroup_id_y 0
		.amdhsa_system_sgpr_workgroup_id_z 0
		.amdhsa_system_sgpr_workgroup_info 0
		.amdhsa_system_vgpr_workitem_id 0
		.amdhsa_next_free_vgpr 38
		.amdhsa_next_free_sgpr 38
		.amdhsa_reserve_vcc 1
		.amdhsa_float_round_mode_32 0
		.amdhsa_float_round_mode_16_64 0
		.amdhsa_float_denorm_mode_32 3
		.amdhsa_float_denorm_mode_16_64 3
		.amdhsa_dx10_clamp 1
		.amdhsa_ieee_mode 1
		.amdhsa_fp16_overflow 0
		.amdhsa_workgroup_processor_mode 1
		.amdhsa_memory_ordered 1
		.amdhsa_forward_progress 0
		.amdhsa_shared_vgpr_count 0
		.amdhsa_exception_fp_ieee_invalid_op 0
		.amdhsa_exception_fp_denorm_src 0
		.amdhsa_exception_fp_ieee_div_zero 0
		.amdhsa_exception_fp_ieee_overflow 0
		.amdhsa_exception_fp_ieee_underflow 0
		.amdhsa_exception_fp_ieee_inexact 0
		.amdhsa_exception_int_div_zero 0
	.end_amdhsa_kernel
	.section	.text._ZN9rocsparseL27csrmvn_symm_adaptive_kernelIii21rocsparse_complex_numIdES2_S2_S2_EEvbT_S3_PKS3_NS_24const_host_device_scalarIT4_EES5_PKT0_PKT1_PKT2_S8_PT3_21rocsparse_index_base_b,"axG",@progbits,_ZN9rocsparseL27csrmvn_symm_adaptive_kernelIii21rocsparse_complex_numIdES2_S2_S2_EEvbT_S3_PKS3_NS_24const_host_device_scalarIT4_EES5_PKT0_PKT1_PKT2_S8_PT3_21rocsparse_index_base_b,comdat
.Lfunc_end35:
	.size	_ZN9rocsparseL27csrmvn_symm_adaptive_kernelIii21rocsparse_complex_numIdES2_S2_S2_EEvbT_S3_PKS3_NS_24const_host_device_scalarIT4_EES5_PKT0_PKT1_PKT2_S8_PT3_21rocsparse_index_base_b, .Lfunc_end35-_ZN9rocsparseL27csrmvn_symm_adaptive_kernelIii21rocsparse_complex_numIdES2_S2_S2_EEvbT_S3_PKS3_NS_24const_host_device_scalarIT4_EES5_PKT0_PKT1_PKT2_S8_PT3_21rocsparse_index_base_b
                                        ; -- End function
	.section	.AMDGPU.csdata,"",@progbits
; Kernel info:
; codeLenInByte = 11164
; NumSgprs: 40
; NumVgprs: 38
; ScratchSize: 24
; MemoryBound: 0
; FloatMode: 240
; IeeeMode: 1
; LDSByteSize: 16384 bytes/workgroup (compile time only)
; SGPRBlocks: 4
; VGPRBlocks: 4
; NumSGPRsForWavesPerEU: 40
; NumVGPRsForWavesPerEU: 38
; Occupancy: 16
; WaveLimiterHint : 1
; COMPUTE_PGM_RSRC2:SCRATCH_EN: 1
; COMPUTE_PGM_RSRC2:USER_SGPR: 15
; COMPUTE_PGM_RSRC2:TRAP_HANDLER: 0
; COMPUTE_PGM_RSRC2:TGID_X_EN: 1
; COMPUTE_PGM_RSRC2:TGID_Y_EN: 0
; COMPUTE_PGM_RSRC2:TGID_Z_EN: 0
; COMPUTE_PGM_RSRC2:TIDIG_COMP_CNT: 0
	.section	.text._ZL33csrmvn_symm_large_adaptive_kernelIii21rocsparse_complex_numIdES1_S1_S1_EvbT_PKS2_N9rocsparse24const_host_device_scalarIT4_EES4_PKT0_PKT1_PKT2_S8_PT3_21rocsparse_index_base_b,"axG",@progbits,_ZL33csrmvn_symm_large_adaptive_kernelIii21rocsparse_complex_numIdES1_S1_S1_EvbT_PKS2_N9rocsparse24const_host_device_scalarIT4_EES4_PKT0_PKT1_PKT2_S8_PT3_21rocsparse_index_base_b,comdat
	.globl	_ZL33csrmvn_symm_large_adaptive_kernelIii21rocsparse_complex_numIdES1_S1_S1_EvbT_PKS2_N9rocsparse24const_host_device_scalarIT4_EES4_PKT0_PKT1_PKT2_S8_PT3_21rocsparse_index_base_b ; -- Begin function _ZL33csrmvn_symm_large_adaptive_kernelIii21rocsparse_complex_numIdES1_S1_S1_EvbT_PKS2_N9rocsparse24const_host_device_scalarIT4_EES4_PKT0_PKT1_PKT2_S8_PT3_21rocsparse_index_base_b
	.p2align	8
	.type	_ZL33csrmvn_symm_large_adaptive_kernelIii21rocsparse_complex_numIdES1_S1_S1_EvbT_PKS2_N9rocsparse24const_host_device_scalarIT4_EES4_PKT0_PKT1_PKT2_S8_PT3_21rocsparse_index_base_b,@function
_ZL33csrmvn_symm_large_adaptive_kernelIii21rocsparse_complex_numIdES1_S1_S1_EvbT_PKS2_N9rocsparse24const_host_device_scalarIT4_EES4_PKT0_PKT1_PKT2_S8_PT3_21rocsparse_index_base_b: ; @_ZL33csrmvn_symm_large_adaptive_kernelIii21rocsparse_complex_numIdES1_S1_S1_EvbT_PKS2_N9rocsparse24const_host_device_scalarIT4_EES4_PKT0_PKT1_PKT2_S8_PT3_21rocsparse_index_base_b
; %bb.0:
	s_clause 0x2
	s_load_b64 s[16:17], s[0:1], 0x58
	s_load_b128 s[8:11], s[0:1], 0x10
	s_load_b128 s[4:7], s[0:1], 0x40
	s_mov_b64 s[2:3], src_private_base
	v_mov_b32_e32 v1, 0
	s_mov_b32 s12, s15
	s_waitcnt lgkmcnt(0)
	s_bitcmp1_b32 s17, 0
	v_dual_mov_b32 v3, s8 :: v_dual_mov_b32 v6, s5
	s_cselect_b32 s2, -1, 0
	v_mov_b32_e32 v4, s9
	s_and_b32 vcc_lo, s2, exec_lo
	s_cselect_b32 s13, s3, s9
	v_cndmask_b32_e64 v1, s8, v1, s2
	v_dual_mov_b32 v5, s4 :: v_dual_mov_b32 v2, s13
	s_clause 0x1
	scratch_store_b64 off, v[3:4], off
	scratch_store_b64 off, v[5:6], off offset:8
	v_dual_mov_b32 v10, s10 :: v_dual_mov_b32 v11, s11
	flat_load_b64 v[8:9], v[1:2]
	s_xor_b32 s10, s2, -1
	s_cbranch_vccnz .LBB36_2
; %bb.1:
	v_dual_mov_b32 v1, s8 :: v_dual_mov_b32 v2, s9
	flat_load_b64 v[10:11], v[1:2] offset:8
.LBB36_2:
	s_and_b32 s8, s2, exec_lo
	s_cselect_b32 s3, s3, s5
	s_delay_alu instid0(SALU_CYCLE_1) | instskip(SKIP_2) | instid1(VALU_DEP_2)
	v_dual_mov_b32 v1, 8 :: v_dual_mov_b32 v2, s3
	v_dual_mov_b32 v3, s6 :: v_dual_mov_b32 v4, s7
	s_and_not1_b32 vcc_lo, exec_lo, s10
	v_cndmask_b32_e64 v1, s4, v1, s2
	flat_load_b64 v[1:2], v[1:2]
	s_cbranch_vccnz .LBB36_4
; %bb.3:
	v_dual_mov_b32 v3, s4 :: v_dual_mov_b32 v4, s5
	flat_load_b64 v[3:4], v[3:4] offset:8
.LBB36_4:
	s_waitcnt vmcnt(1) lgkmcnt(1)
	v_cmp_eq_f64_e32 vcc_lo, 0, v[8:9]
	v_cmp_eq_f64_e64 s2, 0, v[10:11]
	s_delay_alu instid0(VALU_DEP_1)
	s_and_b32 s4, vcc_lo, s2
	s_mov_b32 s2, -1
	s_and_saveexec_b32 s3, s4
	s_cbranch_execz .LBB36_6
; %bb.5:
	s_waitcnt vmcnt(0) lgkmcnt(0)
	v_cmp_neq_f64_e32 vcc_lo, 1.0, v[1:2]
	v_cmp_neq_f64_e64 s2, 0, v[3:4]
	s_delay_alu instid0(VALU_DEP_1) | instskip(NEXT) | instid1(SALU_CYCLE_1)
	s_or_b32 s2, vcc_lo, s2
	s_or_not1_b32 s2, s2, exec_lo
.LBB36_6:
	s_or_b32 exec_lo, exec_lo, s3
	s_and_saveexec_b32 s3, s2
	s_cbranch_execz .LBB36_51
; %bb.7:
	s_clause 0x1
	s_load_b32 s2, s[0:1], 0x0
	s_load_b64 s[8:9], s[0:1], 0x8
	s_mov_b32 s4, 0
	s_delay_alu instid0(SALU_CYCLE_1)
	s_mov_b32 s5, s4
	s_mov_b32 s6, s4
	;; [unrolled: 1-line block ×3, first 2 shown]
	s_waitcnt vmcnt(0) lgkmcnt(0)
	v_dual_mov_b32 v1, s4 :: v_dual_lshlrev_b32 v14, 4, v0
	v_dual_mov_b32 v2, s5 :: v_dual_mov_b32 v3, s6
	v_mov_b32_e32 v4, s7
	ds_store_b128 v14, v[1:4]
	ds_store_b128 v14, v[1:4] offset:4096
	ds_store_b128 v14, v[1:4] offset:8192
	;; [unrolled: 1-line block ×3, first 2 shown]
	s_waitcnt lgkmcnt(0)
	s_waitcnt_vscnt null, 0x0
	s_barrier
	s_bitcmp1_b32 s2, 0
	buffer_gl0_inv
	s_cselect_b32 s2, -1, 0
	s_ashr_i32 s13, s12, 31
	s_delay_alu instid0(SALU_CYCLE_1) | instskip(NEXT) | instid1(SALU_CYCLE_1)
	s_lshl_b64 s[6:7], s[12:13], 2
	s_add_u32 s6, s8, s6
	s_addc_u32 s7, s9, s7
	s_load_b64 s[18:19], s[6:7], 0x0
	s_clause 0x1
	s_load_b64 s[20:21], s[0:1], 0x50
	s_load_b256 s[8:15], s[0:1], 0x20
	s_waitcnt lgkmcnt(0)
	s_cmp_lt_i32 s18, s19
	s_cbranch_scc1 .LBB36_9
; %bb.8:
	s_ashr_i32 s1, s18, 31
	s_mov_b32 s0, s18
	s_delay_alu instid0(SALU_CYCLE_1) | instskip(NEXT) | instid1(SALU_CYCLE_1)
	s_lshl_b64 s[0:1], s[0:1], 2
	s_add_u32 s0, s8, s0
	s_addc_u32 s1, s9, s1
	s_load_b32 s17, s[0:1], 0x0
	v_subrev_nc_u32_e32 v15, s16, v0
	s_and_not1_b32 vcc_lo, exec_lo, s4
	s_cbranch_vccz .LBB36_10
	s_branch .LBB36_39
.LBB36_9:
                                        ; implicit-def: $sgpr17
	v_subrev_nc_u32_e32 v15, s16, v0
.LBB36_10:
	s_ashr_i32 s1, s18, 31
	s_mov_b32 s0, s18
	v_cmp_gt_u32_e32 vcc_lo, 0x100, v0
	s_lshl_b64 s[0:1], s[0:1], 2
	v_cmp_gt_u32_e64 s3, 4, v0
	s_add_u32 s0, s8, s0
	s_addc_u32 s1, s9, s1
	v_cmp_eq_u32_e64 s4, 0, v0
	s_waitcnt lgkmcnt(0)
	s_load_b32 s17, s[0:1], 0x0
	v_cmp_gt_u32_e64 s0, 64, v0
	v_cmp_gt_u32_e64 s1, 16, v0
	v_mov_b32_e32 v16, 0
	s_add_u32 s24, s8, 4
	s_addc_u32 s25, s9, 0
	s_add_u32 s26, s12, 8
	s_addc_u32 s27, s13, 0
	s_mov_b32 s22, s18
	s_waitcnt lgkmcnt(0)
	s_mov_b32 s28, s17
	s_branch .LBB36_12
.LBB36_11:                              ;   in Loop: Header=BB36_12 Depth=1
	s_or_b32 exec_lo, exec_lo, s29
	s_add_i32 s22, s22, 1
	s_delay_alu instid0(SALU_CYCLE_1)
	s_cmp_ge_i32 s22, s19
	s_cbranch_scc1 .LBB36_39
.LBB36_12:                              ; =>This Loop Header: Depth=1
                                        ;     Child Loop BB36_14 Depth 2
                                        ;     Child Loop BB36_28 Depth 2
                                        ;     Child Loop BB36_31 Depth 2
                                        ;     Child Loop BB36_34 Depth 2
                                        ;     Child Loop BB36_37 Depth 2
	s_ashr_i32 s23, s22, 31
	s_mov_b32 s5, s28
	s_lshl_b64 s[6:7], s[22:23], 2
	v_mov_b32_e32 v2, 0
	s_add_u32 s6, s24, s6
	s_addc_u32 s7, s25, s7
	v_dual_mov_b32 v3, 0 :: v_dual_add_nc_u32 v4, s5, v15
	s_load_b32 s28, s[6:7], 0x0
	v_mov_b32_e32 v0, v2
	s_mov_b32 s7, exec_lo
	s_delay_alu instid0(VALU_DEP_2) | instskip(SKIP_2) | instid1(SALU_CYCLE_1)
	v_mov_b32_e32 v1, v3
	s_waitcnt lgkmcnt(0)
	s_sub_i32 s29, s28, s16
	v_cmpx_gt_i32_e64 s29, v4
	s_cbranch_execz .LBB36_16
; %bb.13:                               ;   in Loop: Header=BB36_12 Depth=1
	v_ashrrev_i32_e32 v5, 31, v4
	v_mov_b32_e32 v2, 0
	v_mov_b32_e32 v3, 0
	s_mov_b32 s30, 0
	s_delay_alu instid0(VALU_DEP_3) | instskip(SKIP_1) | instid1(VALU_DEP_2)
	v_lshlrev_b64 v[0:1], 2, v[4:5]
	v_lshlrev_b64 v[12:13], 4, v[4:5]
	v_add_co_u32 v5, s5, s10, v0
	s_delay_alu instid0(VALU_DEP_1) | instskip(NEXT) | instid1(VALU_DEP_3)
	v_add_co_ci_u32_e64 v6, s5, s11, v1, s5
	v_add_co_u32 v12, s5, s26, v12
	s_delay_alu instid0(VALU_DEP_1)
	v_add_co_ci_u32_e64 v13, s5, s27, v13, s5
	v_dual_mov_b32 v0, v2 :: v_dual_mov_b32 v1, v3
	s_set_inst_prefetch_distance 0x1
	.p2align	6
.LBB36_14:                              ;   Parent Loop BB36_12 Depth=1
                                        ; =>  This Inner Loop Header: Depth=2
	global_load_b32 v7, v[5:6], off
	v_add_nc_u32_e32 v4, 0x100, v4
	s_waitcnt vmcnt(0)
	v_subrev_nc_u32_e32 v17, s16, v7
	s_delay_alu instid0(VALU_DEP_1) | instskip(NEXT) | instid1(VALU_DEP_1)
	v_ashrrev_i32_e32 v18, 31, v17
	v_lshlrev_b64 v[21:22], 4, v[17:18]
	global_load_b128 v[17:20], v[12:13], off offset:-8
	v_add_co_u32 v12, s6, 0x1000, v12
	s_delay_alu instid0(VALU_DEP_1) | instskip(SKIP_1) | instid1(VALU_DEP_1)
	v_add_co_ci_u32_e64 v13, s6, 0, v13, s6
	v_add_co_u32 v21, s5, s14, v21
	v_add_co_ci_u32_e64 v22, s5, s15, v22, s5
	v_add_co_u32 v5, s5, 0x400, v5
	s_delay_alu instid0(VALU_DEP_1) | instskip(SKIP_2) | instid1(VALU_DEP_1)
	v_add_co_ci_u32_e64 v6, s5, 0, v6, s5
	global_load_b128 v[21:24], v[21:22], off
	v_cmp_le_i32_e64 s5, s29, v4
	s_or_b32 s30, s5, s30
	s_waitcnt vmcnt(1)
	v_xor_b32_e32 v7, 0x80000000, v20
	s_delay_alu instid0(VALU_DEP_1) | instskip(SKIP_2) | instid1(VALU_DEP_2)
	v_cndmask_b32_e64 v20, v20, v7, s2
	s_waitcnt vmcnt(0)
	v_fma_f64 v[0:1], v[17:18], v[21:22], v[0:1]
	v_fma_f64 v[2:3], v[19:20], v[21:22], v[2:3]
	s_delay_alu instid0(VALU_DEP_2) | instskip(NEXT) | instid1(VALU_DEP_2)
	v_fma_f64 v[0:1], -v[19:20], v[23:24], v[0:1]
	v_fma_f64 v[2:3], v[17:18], v[23:24], v[2:3]
	s_and_not1_b32 exec_lo, exec_lo, s30
	s_cbranch_execnz .LBB36_14
; %bb.15:                               ;   in Loop: Header=BB36_12 Depth=1
	s_set_inst_prefetch_distance 0x2
	s_or_b32 exec_lo, exec_lo, s30
.LBB36_16:                              ;   in Loop: Header=BB36_12 Depth=1
	s_delay_alu instid0(SALU_CYCLE_1)
	s_or_b32 exec_lo, exec_lo, s7
	ds_store_b128 v14, v[0:3]
	s_waitcnt lgkmcnt(0)
	s_barrier
	buffer_gl0_inv
	s_and_saveexec_b32 s5, vcc_lo
	s_cbranch_execz .LBB36_18
; %bb.17:                               ;   in Loop: Header=BB36_12 Depth=1
	ds_load_b128 v[0:3], v14 offset:4096
	ds_load_b128 v[4:7], v14 offset:8192
	ds_load_b128 v[17:20], v14 offset:12288
	ds_load_b128 v[21:24], v14
	s_waitcnt lgkmcnt(2)
	v_add_f64 v[0:1], v[4:5], v[0:1]
	v_add_f64 v[2:3], v[6:7], v[2:3]
	s_waitcnt lgkmcnt(1)
	s_delay_alu instid0(VALU_DEP_2) | instskip(NEXT) | instid1(VALU_DEP_2)
	v_add_f64 v[0:1], v[0:1], v[17:18]
	v_add_f64 v[2:3], v[2:3], v[19:20]
	s_waitcnt lgkmcnt(0)
	s_delay_alu instid0(VALU_DEP_2) | instskip(NEXT) | instid1(VALU_DEP_2)
	v_add_f64 v[0:1], v[0:1], v[21:22]
	v_add_f64 v[2:3], v[2:3], v[23:24]
	ds_store_b128 v14, v[0:3]
.LBB36_18:                              ;   in Loop: Header=BB36_12 Depth=1
	s_or_b32 exec_lo, exec_lo, s5
	s_waitcnt lgkmcnt(0)
	s_barrier
	buffer_gl0_inv
	s_and_saveexec_b32 s5, s0
	s_cbranch_execz .LBB36_20
; %bb.19:                               ;   in Loop: Header=BB36_12 Depth=1
	ds_load_b128 v[0:3], v14 offset:1024
	ds_load_b128 v[4:7], v14 offset:2048
	ds_load_b128 v[17:20], v14 offset:3072
	ds_load_b128 v[21:24], v14
	s_waitcnt lgkmcnt(2)
	v_add_f64 v[0:1], v[4:5], v[0:1]
	v_add_f64 v[2:3], v[6:7], v[2:3]
	s_waitcnt lgkmcnt(1)
	s_delay_alu instid0(VALU_DEP_2) | instskip(NEXT) | instid1(VALU_DEP_2)
	v_add_f64 v[0:1], v[0:1], v[17:18]
	v_add_f64 v[2:3], v[2:3], v[19:20]
	s_waitcnt lgkmcnt(0)
	s_delay_alu instid0(VALU_DEP_2) | instskip(NEXT) | instid1(VALU_DEP_2)
	v_add_f64 v[0:1], v[0:1], v[21:22]
	v_add_f64 v[2:3], v[2:3], v[23:24]
	ds_store_b128 v14, v[0:3]
.LBB36_20:                              ;   in Loop: Header=BB36_12 Depth=1
	s_or_b32 exec_lo, exec_lo, s5
	s_waitcnt lgkmcnt(0)
	s_barrier
	buffer_gl0_inv
	s_and_saveexec_b32 s5, s1
	;; [unrolled: 24-line block ×5, first 2 shown]
	s_cbranch_execz .LBB36_11
; %bb.27:                               ;   in Loop: Header=BB36_12 Depth=1
	ds_load_b128 v[0:3], v16
	v_mov_b32_e32 v12, 0
	v_bfrev_b32_e32 v13, 1
	s_mov_b32 s5, exec_lo
	s_waitcnt lgkmcnt(0)
	v_mul_f64 v[4:5], v[2:3], -v[10:11]
	s_delay_alu instid0(VALU_DEP_1)
	v_fma_f64 v[4:5], v[8:9], v[0:1], v[4:5]
.LBB36_28:                              ;   Parent Loop BB36_12 Depth=1
                                        ; =>  This Inner Loop Header: Depth=2
	s_ctz_i32_b32 s30, s5
	s_delay_alu instid0(VALU_DEP_1) | instid1(SALU_CYCLE_1)
	v_readlane_b32 s7, v5, s30
	s_delay_alu instid0(VALU_DEP_2) | instskip(NEXT) | instid1(VALU_DEP_1)
	v_readlane_b32 s6, v4, s30
	v_add_f64 v[12:13], v[12:13], s[6:7]
	s_lshl_b32 s6, 1, s30
	s_delay_alu instid0(SALU_CYCLE_1) | instskip(NEXT) | instid1(SALU_CYCLE_1)
	s_and_not1_b32 s5, s5, s6
	s_cmp_lg_u32 s5, 0
	s_cbranch_scc1 .LBB36_28
; %bb.29:                               ;   in Loop: Header=BB36_12 Depth=1
	v_mbcnt_lo_u32_b32 v4, exec_lo, 0
	s_lshl_b64 s[6:7], s[22:23], 4
	s_mov_b32 s23, exec_lo
	s_add_u32 s6, s20, s6
	s_addc_u32 s7, s21, s7
	v_cmpx_eq_u32_e32 0, v4
	s_xor_b32 s23, exec_lo, s23
	s_cbranch_execz .LBB36_33
; %bb.30:                               ;   in Loop: Header=BB36_12 Depth=1
	global_load_b64 v[6:7], v16, s[6:7]
	s_mov_b32 s30, 0
.LBB36_31:                              ;   Parent Loop BB36_12 Depth=1
                                        ; =>  This Inner Loop Header: Depth=2
	s_waitcnt vmcnt(0)
	v_add_f64 v[4:5], v[6:7], v[12:13]
	global_atomic_cmpswap_b64 v[4:5], v16, v[4:7], s[6:7] glc
	s_waitcnt vmcnt(0)
	v_cmp_eq_u64_e64 s5, v[4:5], v[6:7]
	v_dual_mov_b32 v7, v5 :: v_dual_mov_b32 v6, v4
	s_delay_alu instid0(VALU_DEP_2) | instskip(NEXT) | instid1(SALU_CYCLE_1)
	s_or_b32 s30, s5, s30
	s_and_not1_b32 exec_lo, exec_lo, s30
	s_cbranch_execnz .LBB36_31
; %bb.32:                               ;   in Loop: Header=BB36_12 Depth=1
	s_or_b32 exec_lo, exec_lo, s30
.LBB36_33:                              ;   in Loop: Header=BB36_12 Depth=1
	s_delay_alu instid0(SALU_CYCLE_1) | instskip(SKIP_4) | instid1(VALU_DEP_3)
	s_or_b32 exec_lo, exec_lo, s23
	v_mul_f64 v[2:3], v[8:9], v[2:3]
	v_mov_b32_e32 v4, 0
	v_bfrev_b32_e32 v5, 1
	s_mov_b32 s5, exec_lo
	v_fma_f64 v[0:1], v[10:11], v[0:1], v[2:3]
.LBB36_34:                              ;   Parent Loop BB36_12 Depth=1
                                        ; =>  This Inner Loop Header: Depth=2
	s_ctz_i32_b32 s23, s5
	s_delay_alu instid0(VALU_DEP_1) | instid1(SALU_CYCLE_1)
	v_readlane_b32 s31, v1, s23
	s_delay_alu instid0(VALU_DEP_2) | instskip(SKIP_1) | instid1(SALU_CYCLE_1)
	v_readlane_b32 s30, v0, s23
	s_lshl_b32 s23, 1, s23
	s_and_not1_b32 s5, s5, s23
	s_delay_alu instid0(VALU_DEP_1)
	v_add_f64 v[4:5], v[4:5], s[30:31]
	s_cmp_lg_u32 s5, 0
	s_cbranch_scc1 .LBB36_34
; %bb.35:                               ;   in Loop: Header=BB36_12 Depth=1
	v_mbcnt_lo_u32_b32 v0, exec_lo, 0
	s_mov_b32 s23, exec_lo
	s_delay_alu instid0(VALU_DEP_1)
	v_cmpx_eq_u32_e32 0, v0
	s_xor_b32 s23, exec_lo, s23
	s_cbranch_execz .LBB36_11
; %bb.36:                               ;   in Loop: Header=BB36_12 Depth=1
	global_load_b64 v[2:3], v16, s[6:7] offset:8
	s_mov_b32 s23, 0
.LBB36_37:                              ;   Parent Loop BB36_12 Depth=1
                                        ; =>  This Inner Loop Header: Depth=2
	s_waitcnt vmcnt(0)
	v_add_f64 v[0:1], v[2:3], v[4:5]
	global_atomic_cmpswap_b64 v[0:1], v16, v[0:3], s[6:7] offset:8 glc
	s_waitcnt vmcnt(0)
	v_cmp_eq_u64_e64 s5, v[0:1], v[2:3]
	v_dual_mov_b32 v3, v1 :: v_dual_mov_b32 v2, v0
	s_delay_alu instid0(VALU_DEP_2) | instskip(NEXT) | instid1(SALU_CYCLE_1)
	s_or_b32 s23, s5, s23
	s_and_not1_b32 exec_lo, exec_lo, s23
	s_cbranch_execnz .LBB36_37
; %bb.38:                               ;   in Loop: Header=BB36_12 Depth=1
	s_or_b32 exec_lo, exec_lo, s23
	s_branch .LBB36_11
.LBB36_39:
	s_ashr_i32 s1, s19, 31
	s_mov_b32 s0, s19
	s_waitcnt lgkmcnt(0)
	v_add_nc_u32_e32 v12, s17, v15
	s_lshl_b64 s[0:1], s[0:1], 2
	s_delay_alu instid0(SALU_CYCLE_1) | instskip(SKIP_4) | instid1(SALU_CYCLE_1)
	s_add_u32 s0, s8, s0
	s_addc_u32 s1, s9, s1
	s_load_b32 s0, s[0:1], 0x0
	s_waitcnt lgkmcnt(0)
	s_sub_i32 s1, s0, s16
	v_cmp_gt_i32_e32 vcc_lo, s1, v12
	s_and_b32 exec_lo, exec_lo, vcc_lo
	s_cbranch_execz .LBB36_51
; %bb.40:
	s_add_i32 s3, s19, -1
	s_mov_b32 s5, 0
	s_cmp_gt_i32 s3, s18
	s_cselect_b32 s0, -1, 0
	s_add_i32 s4, s19, -2
	s_delay_alu instid0(SALU_CYCLE_1) | instskip(SKIP_1) | instid1(SALU_CYCLE_1)
	s_cmp_lg_u32 s4, s18
	s_cselect_b32 s4, -1, 0
	s_and_b32 s4, s0, s4
	s_branch .LBB36_42
.LBB36_41:                              ;   in Loop: Header=BB36_42 Depth=1
	s_or_b32 exec_lo, exec_lo, s0
	v_add_nc_u32_e32 v12, 0x100, v12
	s_delay_alu instid0(VALU_DEP_1) | instskip(SKIP_1) | instid1(SALU_CYCLE_1)
	v_cmp_le_i32_e32 vcc_lo, s1, v12
	s_or_b32 s5, vcc_lo, s5
	s_and_not1_b32 exec_lo, exec_lo, s5
	s_cbranch_execz .LBB36_51
.LBB36_42:                              ; =>This Loop Header: Depth=1
                                        ;     Child Loop BB36_44 Depth 2
                                        ;     Child Loop BB36_48 Depth 2
	;; [unrolled: 1-line block ×3, first 2 shown]
	v_mov_b32_e32 v2, s18
	v_mov_b32_e32 v0, s3
	s_and_not1_b32 vcc_lo, exec_lo, s4
	s_cbranch_vccnz .LBB36_46
; %bb.43:                               ;   in Loop: Header=BB36_42 Depth=1
	v_mov_b32_e32 v2, s18
	v_mov_b32_e32 v0, s3
	s_mov_b32 s6, 0
	.p2align	6
.LBB36_44:                              ;   Parent Loop BB36_42 Depth=1
                                        ; =>  This Inner Loop Header: Depth=2
	s_delay_alu instid0(VALU_DEP_1) | instskip(NEXT) | instid1(VALU_DEP_1)
	v_add_nc_u32_e32 v1, v0, v2
	v_lshrrev_b32_e32 v3, 31, v1
	s_delay_alu instid0(VALU_DEP_1) | instskip(NEXT) | instid1(VALU_DEP_1)
	v_add_nc_u32_e32 v1, v1, v3
	v_ashrrev_i32_e32 v3, 1, v1
	s_delay_alu instid0(VALU_DEP_1) | instskip(NEXT) | instid1(VALU_DEP_1)
	v_ashrrev_i32_e32 v4, 31, v3
	v_lshlrev_b64 v[4:5], 2, v[3:4]
	s_delay_alu instid0(VALU_DEP_1) | instskip(NEXT) | instid1(VALU_DEP_2)
	v_add_co_u32 v4, vcc_lo, s8, v4
	v_add_co_ci_u32_e32 v5, vcc_lo, s9, v5, vcc_lo
	global_load_b32 v1, v[4:5], off
	s_waitcnt vmcnt(0)
	v_subrev_nc_u32_e32 v1, s16, v1
	s_delay_alu instid0(VALU_DEP_1) | instskip(SKIP_2) | instid1(VALU_DEP_1)
	v_cmp_gt_i32_e32 vcc_lo, v1, v12
	v_cndmask_b32_e32 v2, v3, v2, vcc_lo
	v_cndmask_b32_e32 v0, v0, v3, vcc_lo
	v_add_nc_u32_e32 v1, -1, v0
	s_delay_alu instid0(VALU_DEP_3) | instskip(NEXT) | instid1(VALU_DEP_2)
	v_cmp_ge_i32_e32 vcc_lo, v2, v0
	v_cmp_eq_u32_e64 s0, v2, v1
	s_delay_alu instid0(VALU_DEP_1) | instskip(NEXT) | instid1(SALU_CYCLE_1)
	s_or_b32 s0, vcc_lo, s0
	s_and_b32 s0, exec_lo, s0
	s_delay_alu instid0(SALU_CYCLE_1) | instskip(NEXT) | instid1(SALU_CYCLE_1)
	s_or_b32 s6, s0, s6
	s_and_not1_b32 exec_lo, exec_lo, s6
	s_cbranch_execnz .LBB36_44
; %bb.45:                               ;   in Loop: Header=BB36_42 Depth=1
	s_or_b32 exec_lo, exec_lo, s6
.LBB36_46:                              ;   in Loop: Header=BB36_42 Depth=1
	s_delay_alu instid0(VALU_DEP_1) | instskip(SKIP_2) | instid1(VALU_DEP_2)
	v_ashrrev_i32_e32 v1, 31, v0
	v_ashrrev_i32_e32 v13, 31, v12
	s_mov_b32 s0, exec_lo
	v_lshlrev_b64 v[3:4], 2, v[0:1]
	s_delay_alu instid0(VALU_DEP_2) | instskip(NEXT) | instid1(VALU_DEP_2)
	v_lshlrev_b64 v[5:6], 2, v[12:13]
	v_add_co_u32 v3, vcc_lo, s8, v3
	s_delay_alu instid0(VALU_DEP_3)
	v_add_co_ci_u32_e32 v4, vcc_lo, s9, v4, vcc_lo
	global_load_b32 v1, v[3:4], off
	v_add_co_u32 v3, vcc_lo, s10, v5
	v_add_co_ci_u32_e32 v4, vcc_lo, s11, v6, vcc_lo
	global_load_b32 v3, v[3:4], off
	s_waitcnt vmcnt(1)
	v_subrev_nc_u32_e32 v1, s16, v1
	s_delay_alu instid0(VALU_DEP_1) | instskip(SKIP_3) | instid1(VALU_DEP_1)
	v_cmp_gt_i32_e32 vcc_lo, v1, v12
	s_waitcnt vmcnt(0)
	v_subrev_nc_u32_e32 v4, s16, v3
	v_cndmask_b32_e32 v0, v0, v2, vcc_lo
	v_cmpx_ne_u32_e64 v4, v0
	s_cbranch_execz .LBB36_41
; %bb.47:                               ;   in Loop: Header=BB36_42 Depth=1
	v_lshlrev_b64 v[1:2], 4, v[12:13]
	v_ashrrev_i32_e32 v5, 31, v4
	s_mov_b32 s6, 0
	s_delay_alu instid0(VALU_DEP_1) | instskip(NEXT) | instid1(VALU_DEP_3)
	v_lshlrev_b64 v[4:5], 4, v[4:5]
	v_add_co_u32 v1, vcc_lo, s12, v1
	s_delay_alu instid0(VALU_DEP_4) | instskip(SKIP_2) | instid1(VALU_DEP_1)
	v_add_co_ci_u32_e32 v2, vcc_lo, s13, v2, vcc_lo
	global_load_b128 v[17:20], v[1:2], off
	v_ashrrev_i32_e32 v1, 31, v0
	v_lshlrev_b64 v[0:1], 4, v[0:1]
	s_delay_alu instid0(VALU_DEP_1) | instskip(NEXT) | instid1(VALU_DEP_2)
	v_add_co_u32 v0, vcc_lo, s14, v0
	v_add_co_ci_u32_e32 v1, vcc_lo, s15, v1, vcc_lo
	v_add_co_u32 v13, vcc_lo, s20, v4
	v_add_co_ci_u32_e32 v14, vcc_lo, s21, v5, vcc_lo
	global_load_b128 v[0:3], v[0:1], off
	global_load_b64 v[6:7], v[13:14], off
	s_waitcnt vmcnt(2)
	v_xor_b32_e32 v4, 0x80000000, v20
	s_delay_alu instid0(VALU_DEP_1) | instskip(NEXT) | instid1(VALU_DEP_1)
	v_cndmask_b32_e64 v20, v20, v4, s2
	v_mul_f64 v[4:5], v[8:9], v[19:20]
	v_mul_f64 v[19:20], v[19:20], -v[10:11]
	s_delay_alu instid0(VALU_DEP_2) | instskip(NEXT) | instid1(VALU_DEP_2)
	v_fma_f64 v[15:16], v[10:11], v[17:18], v[4:5]
	v_fma_f64 v[17:18], v[8:9], v[17:18], v[19:20]
	s_waitcnt vmcnt(1)
	s_delay_alu instid0(VALU_DEP_2) | instskip(NEXT) | instid1(VALU_DEP_1)
	v_mul_f64 v[4:5], v[2:3], -v[15:16]
	v_fma_f64 v[19:20], v[17:18], v[0:1], v[4:5]
.LBB36_48:                              ;   Parent Loop BB36_42 Depth=1
                                        ; =>  This Inner Loop Header: Depth=2
	s_waitcnt vmcnt(0)
	s_delay_alu instid0(VALU_DEP_1)
	v_add_f64 v[4:5], v[6:7], v[19:20]
	global_atomic_cmpswap_b64 v[4:5], v[13:14], v[4:7], off glc
	s_waitcnt vmcnt(0)
	v_cmp_eq_u64_e32 vcc_lo, v[4:5], v[6:7]
	v_dual_mov_b32 v7, v5 :: v_dual_mov_b32 v6, v4
	s_or_b32 s6, vcc_lo, s6
	s_delay_alu instid0(SALU_CYCLE_1)
	s_and_not1_b32 exec_lo, exec_lo, s6
	s_cbranch_execnz .LBB36_48
; %bb.49:                               ;   in Loop: Header=BB36_42 Depth=1
	s_or_b32 exec_lo, exec_lo, s6
	global_load_b64 v[4:5], v[13:14], off offset:8
	v_mul_f64 v[2:3], v[2:3], v[17:18]
	s_mov_b32 s6, 0
	s_delay_alu instid0(VALU_DEP_1)
	v_fma_f64 v[0:1], v[15:16], v[0:1], v[2:3]
.LBB36_50:                              ;   Parent Loop BB36_42 Depth=1
                                        ; =>  This Inner Loop Header: Depth=2
	s_waitcnt vmcnt(0)
	s_delay_alu instid0(VALU_DEP_1)
	v_add_f64 v[2:3], v[4:5], v[0:1]
	global_atomic_cmpswap_b64 v[2:3], v[13:14], v[2:5], off offset:8 glc
	s_waitcnt vmcnt(0)
	v_cmp_eq_u64_e32 vcc_lo, v[2:3], v[4:5]
	v_dual_mov_b32 v5, v3 :: v_dual_mov_b32 v4, v2
	s_or_b32 s6, vcc_lo, s6
	s_delay_alu instid0(SALU_CYCLE_1)
	s_and_not1_b32 exec_lo, exec_lo, s6
	s_cbranch_execnz .LBB36_50
	s_branch .LBB36_41
.LBB36_51:
	s_endpgm
	.section	.rodata,"a",@progbits
	.p2align	6, 0x0
	.amdhsa_kernel _ZL33csrmvn_symm_large_adaptive_kernelIii21rocsparse_complex_numIdES1_S1_S1_EvbT_PKS2_N9rocsparse24const_host_device_scalarIT4_EES4_PKT0_PKT1_PKT2_S8_PT3_21rocsparse_index_base_b
		.amdhsa_group_segment_fixed_size 16384
		.amdhsa_private_segment_fixed_size 24
		.amdhsa_kernarg_size 96
		.amdhsa_user_sgpr_count 15
		.amdhsa_user_sgpr_dispatch_ptr 0
		.amdhsa_user_sgpr_queue_ptr 0
		.amdhsa_user_sgpr_kernarg_segment_ptr 1
		.amdhsa_user_sgpr_dispatch_id 0
		.amdhsa_user_sgpr_private_segment_size 0
		.amdhsa_wavefront_size32 1
		.amdhsa_uses_dynamic_stack 0
		.amdhsa_enable_private_segment 1
		.amdhsa_system_sgpr_workgroup_id_x 1
		.amdhsa_system_sgpr_workgroup_id_y 0
		.amdhsa_system_sgpr_workgroup_id_z 0
		.amdhsa_system_sgpr_workgroup_info 0
		.amdhsa_system_vgpr_workitem_id 0
		.amdhsa_next_free_vgpr 25
		.amdhsa_next_free_sgpr 32
		.amdhsa_reserve_vcc 1
		.amdhsa_float_round_mode_32 0
		.amdhsa_float_round_mode_16_64 0
		.amdhsa_float_denorm_mode_32 3
		.amdhsa_float_denorm_mode_16_64 3
		.amdhsa_dx10_clamp 1
		.amdhsa_ieee_mode 1
		.amdhsa_fp16_overflow 0
		.amdhsa_workgroup_processor_mode 1
		.amdhsa_memory_ordered 1
		.amdhsa_forward_progress 0
		.amdhsa_shared_vgpr_count 0
		.amdhsa_exception_fp_ieee_invalid_op 0
		.amdhsa_exception_fp_denorm_src 0
		.amdhsa_exception_fp_ieee_div_zero 0
		.amdhsa_exception_fp_ieee_overflow 0
		.amdhsa_exception_fp_ieee_underflow 0
		.amdhsa_exception_fp_ieee_inexact 0
		.amdhsa_exception_int_div_zero 0
	.end_amdhsa_kernel
	.section	.text._ZL33csrmvn_symm_large_adaptive_kernelIii21rocsparse_complex_numIdES1_S1_S1_EvbT_PKS2_N9rocsparse24const_host_device_scalarIT4_EES4_PKT0_PKT1_PKT2_S8_PT3_21rocsparse_index_base_b,"axG",@progbits,_ZL33csrmvn_symm_large_adaptive_kernelIii21rocsparse_complex_numIdES1_S1_S1_EvbT_PKS2_N9rocsparse24const_host_device_scalarIT4_EES4_PKT0_PKT1_PKT2_S8_PT3_21rocsparse_index_base_b,comdat
.Lfunc_end36:
	.size	_ZL33csrmvn_symm_large_adaptive_kernelIii21rocsparse_complex_numIdES1_S1_S1_EvbT_PKS2_N9rocsparse24const_host_device_scalarIT4_EES4_PKT0_PKT1_PKT2_S8_PT3_21rocsparse_index_base_b, .Lfunc_end36-_ZL33csrmvn_symm_large_adaptive_kernelIii21rocsparse_complex_numIdES1_S1_S1_EvbT_PKS2_N9rocsparse24const_host_device_scalarIT4_EES4_PKT0_PKT1_PKT2_S8_PT3_21rocsparse_index_base_b
                                        ; -- End function
	.section	.AMDGPU.csdata,"",@progbits
; Kernel info:
; codeLenInByte = 2924
; NumSgprs: 34
; NumVgprs: 25
; ScratchSize: 24
; MemoryBound: 0
; FloatMode: 240
; IeeeMode: 1
; LDSByteSize: 16384 bytes/workgroup (compile time only)
; SGPRBlocks: 4
; VGPRBlocks: 3
; NumSGPRsForWavesPerEU: 34
; NumVGPRsForWavesPerEU: 25
; Occupancy: 16
; WaveLimiterHint : 1
; COMPUTE_PGM_RSRC2:SCRATCH_EN: 1
; COMPUTE_PGM_RSRC2:USER_SGPR: 15
; COMPUTE_PGM_RSRC2:TRAP_HANDLER: 0
; COMPUTE_PGM_RSRC2:TGID_X_EN: 1
; COMPUTE_PGM_RSRC2:TGID_Y_EN: 0
; COMPUTE_PGM_RSRC2:TGID_Z_EN: 0
; COMPUTE_PGM_RSRC2:TIDIG_COMP_CNT: 0
	.section	.text._ZN9rocsparseL22csrmvn_adaptive_kernelIli21rocsparse_complex_numIdES2_S2_S2_EEvbT_PKS3_PjPKT0_NS_24const_host_device_scalarIT4_EES5_S9_PKT1_PKT2_SC_PT3_21rocsparse_index_base_b,"axG",@progbits,_ZN9rocsparseL22csrmvn_adaptive_kernelIli21rocsparse_complex_numIdES2_S2_S2_EEvbT_PKS3_PjPKT0_NS_24const_host_device_scalarIT4_EES5_S9_PKT1_PKT2_SC_PT3_21rocsparse_index_base_b,comdat
	.globl	_ZN9rocsparseL22csrmvn_adaptive_kernelIli21rocsparse_complex_numIdES2_S2_S2_EEvbT_PKS3_PjPKT0_NS_24const_host_device_scalarIT4_EES5_S9_PKT1_PKT2_SC_PT3_21rocsparse_index_base_b ; -- Begin function _ZN9rocsparseL22csrmvn_adaptive_kernelIli21rocsparse_complex_numIdES2_S2_S2_EEvbT_PKS3_PjPKT0_NS_24const_host_device_scalarIT4_EES5_S9_PKT1_PKT2_SC_PT3_21rocsparse_index_base_b
	.p2align	8
	.type	_ZN9rocsparseL22csrmvn_adaptive_kernelIli21rocsparse_complex_numIdES2_S2_S2_EEvbT_PKS3_PjPKT0_NS_24const_host_device_scalarIT4_EES5_S9_PKT1_PKT2_SC_PT3_21rocsparse_index_base_b,@function
_ZN9rocsparseL22csrmvn_adaptive_kernelIli21rocsparse_complex_numIdES2_S2_S2_EEvbT_PKS3_PjPKT0_NS_24const_host_device_scalarIT4_EES5_S9_PKT1_PKT2_SC_PT3_21rocsparse_index_base_b: ; @_ZN9rocsparseL22csrmvn_adaptive_kernelIli21rocsparse_complex_numIdES2_S2_S2_EEvbT_PKS3_PjPKT0_NS_24const_host_device_scalarIT4_EES5_S9_PKT1_PKT2_SC_PT3_21rocsparse_index_base_b
; %bb.0:
	s_clause 0x2
	s_load_b64 s[30:31], s[0:1], 0x70
	s_load_b128 s[8:11], s[0:1], 0x28
	s_load_b128 s[4:7], s[0:1], 0x58
	s_mov_b64 s[2:3], src_private_base
	v_mov_b32_e32 v1, 0
	s_mov_b32 s34, s15
	s_waitcnt lgkmcnt(0)
	s_bitcmp1_b32 s31, 0
	v_dual_mov_b32 v3, s8 :: v_dual_mov_b32 v6, s5
	s_cselect_b32 s2, -1, 0
	v_mov_b32_e32 v4, s9
	s_and_b32 vcc_lo, s2, exec_lo
	s_cselect_b32 s12, s3, s9
	v_cndmask_b32_e64 v1, s8, v1, s2
	v_dual_mov_b32 v5, s4 :: v_dual_mov_b32 v2, s12
	s_clause 0x1
	scratch_store_b64 off, v[3:4], off
	scratch_store_b64 off, v[5:6], off offset:8
	v_dual_mov_b32 v16, s11 :: v_dual_mov_b32 v15, s10
	flat_load_b64 v[13:14], v[1:2]
	s_xor_b32 s10, s2, -1
	s_cbranch_vccnz .LBB37_2
; %bb.1:
	v_dual_mov_b32 v1, s8 :: v_dual_mov_b32 v2, s9
	flat_load_b64 v[15:16], v[1:2] offset:8
.LBB37_2:
	s_and_b32 s8, s2, exec_lo
	s_cselect_b32 s3, s3, s5
	s_delay_alu instid0(SALU_CYCLE_1) | instskip(SKIP_2) | instid1(VALU_DEP_2)
	v_dual_mov_b32 v1, 8 :: v_dual_mov_b32 v2, s3
	v_dual_mov_b32 v12, s7 :: v_dual_mov_b32 v11, s6
	s_and_not1_b32 vcc_lo, exec_lo, s10
	v_cndmask_b32_e64 v1, s4, v1, s2
	flat_load_b64 v[9:10], v[1:2]
	s_cbranch_vccnz .LBB37_4
; %bb.3:
	v_dual_mov_b32 v1, s4 :: v_dual_mov_b32 v2, s5
	flat_load_b64 v[11:12], v[1:2] offset:8
.LBB37_4:
	s_waitcnt vmcnt(1) lgkmcnt(1)
	v_cmp_eq_f64_e32 vcc_lo, 0, v[13:14]
	v_cmp_eq_f64_e64 s2, 0, v[15:16]
	s_delay_alu instid0(VALU_DEP_1)
	s_and_b32 s4, vcc_lo, s2
	s_mov_b32 s2, -1
	s_and_saveexec_b32 s3, s4
	s_cbranch_execz .LBB37_6
; %bb.5:
	s_waitcnt vmcnt(0) lgkmcnt(0)
	v_cmp_neq_f64_e32 vcc_lo, 1.0, v[9:10]
	v_cmp_neq_f64_e64 s2, 0, v[11:12]
	s_delay_alu instid0(VALU_DEP_1) | instskip(NEXT) | instid1(SALU_CYCLE_1)
	s_or_b32 s2, vcc_lo, s2
	s_or_not1_b32 s2, s2, exec_lo
.LBB37_6:
	s_or_b32 exec_lo, exec_lo, s3
	s_and_saveexec_b32 s3, s2
	s_cbranch_execz .LBB37_121
; %bb.7:
	s_clause 0x3
	s_load_b64 s[4:5], s[0:1], 0x20
	s_load_b32 s2, s[0:1], 0x0
	s_load_b64 s[6:7], s[0:1], 0x10
	s_load_b64 s[24:25], s[0:1], 0x68
	s_waitcnt lgkmcnt(0)
	s_bitcmp1_b32 s2, 0
	s_cselect_b32 s2, -1, 0
	s_ashr_i32 s35, s34, 31
	s_delay_alu instid0(SALU_CYCLE_1) | instskip(NEXT) | instid1(SALU_CYCLE_1)
	s_lshl_b64 s[8:9], s[34:35], 3
	s_add_u32 s6, s6, s8
	s_addc_u32 s7, s7, s9
	s_load_b128 s[20:23], s[6:7], 0x0
	s_load_b256 s[12:19], s[0:1], 0x38
	s_lshl_b64 s[36:37], s[34:35], 2
	s_waitcnt lgkmcnt(0)
	s_sub_i32 s3, s22, s20
	s_add_u32 s4, s4, s36
	s_addc_u32 s5, s5, s37
	s_lshl_b64 s[6:7], s[20:21], 3
	s_delay_alu instid0(SALU_CYCLE_1)
	s_add_u32 s26, s12, s6
	s_addc_u32 s27, s13, s7
	s_load_b32 s31, s[4:5], 0x0
	s_load_b64 s[28:29], s[26:27], 0x0
	s_cmp_lt_i32 s3, 2
	s_mov_b32 s4, -1
	s_cbranch_scc0 .LBB37_77
; %bb.8:
	s_cmp_lg_u32 s3, 1
	s_cselect_b32 s3, -1, 0
	s_waitcnt lgkmcnt(0)
	s_cmp_lg_u32 s31, 0
	s_cselect_b32 s4, -1, 0
	s_delay_alu instid0(SALU_CYCLE_1) | instskip(NEXT) | instid1(SALU_CYCLE_1)
	s_or_b32 s3, s3, s4
	s_and_b32 vcc_lo, exec_lo, s3
	s_mov_b32 s3, -1
	s_cbranch_vccnz .LBB37_37
; %bb.9:
	v_cmp_le_i64_e64 s3, s[22:23], s[20:21]
	s_delay_alu instid0(VALU_DEP_1)
	s_and_b32 vcc_lo, exec_lo, s3
	s_cbranch_vccnz .LBB37_36
; %bb.10:
	s_waitcnt vmcnt(0)
	v_cmp_neq_f64_e32 vcc_lo, 0, v[9:10]
	v_cmp_neq_f64_e64 s11, 0, v[11:12]
	v_sub_co_u32 v19, s3, v0, s30
	s_delay_alu instid0(VALU_DEP_1)
	v_sub_co_ci_u32_e64 v20, null, 0, 0, s3
	v_dual_mov_b32 v22, 0 :: v_dual_lshlrev_b32 v21, 4, v0
	v_cmp_gt_u32_e64 s3, 0x80, v0
	v_cmp_gt_u32_e64 s4, 64, v0
	;; [unrolled: 1-line block ×7, first 2 shown]
	v_cmp_eq_u32_e64 s10, 0, v0
	s_mov_b64 s[38:39], s[28:29]
	s_mov_b64 s[40:41], s[20:21]
	s_or_b32 s33, vcc_lo, s11
	s_add_u32 s35, s12, 8
	s_addc_u32 s44, s13, 0
	s_add_u32 s45, s16, 8
	s_addc_u32 s46, s17, 0
	s_branch .LBB37_13
.LBB37_11:                              ;   in Loop: Header=BB37_13 Depth=1
	s_or_b32 exec_lo, exec_lo, s42
	s_lshl_b64 s[42:43], s[40:41], 4
	s_delay_alu instid0(SALU_CYCLE_1)
	s_add_u32 s42, s24, s42
	s_addc_u32 s43, s25, s43
	s_waitcnt lgkmcnt(0)
	global_store_b128 v22, v[1:4], s[42:43]
.LBB37_12:                              ;   in Loop: Header=BB37_13 Depth=1
	s_or_b32 exec_lo, exec_lo, s11
	s_add_u32 s40, s40, 1
	s_addc_u32 s41, s41, 0
	s_delay_alu instid0(SALU_CYCLE_1) | instskip(NEXT) | instid1(VALU_DEP_1)
	v_cmp_ge_i64_e64 s11, s[40:41], s[22:23]
	s_and_b32 vcc_lo, exec_lo, s11
	s_cbranch_vccnz .LBB37_36
.LBB37_13:                              ; =>This Loop Header: Depth=1
                                        ;     Child Loop BB37_15 Depth 2
	s_lshl_b64 s[42:43], s[40:41], 3
	s_mov_b64 s[48:49], s[38:39]
	s_add_u32 s42, s35, s42
	s_addc_u32 s43, s44, s43
	v_mov_b32_e32 v3, 0
	s_load_b64 s[38:39], s[42:43], 0x0
	v_mov_b32_e32 v4, 0
	v_add_co_u32 v5, vcc_lo, s48, v19
	v_add_co_ci_u32_e32 v6, vcc_lo, s49, v20, vcc_lo
	s_delay_alu instid0(VALU_DEP_3) | instskip(SKIP_4) | instid1(SALU_CYCLE_1)
	v_dual_mov_b32 v1, v3 :: v_dual_mov_b32 v2, v4
	s_mov_b32 s47, exec_lo
	s_waitcnt lgkmcnt(0)
	s_sub_u32 s42, s38, s30
	s_subb_u32 s43, s39, 0
	v_cmpx_gt_i64_e64 s[42:43], v[5:6]
	s_cbranch_execz .LBB37_17
; %bb.14:                               ;   in Loop: Header=BB37_13 Depth=1
	v_lshlrev_b64 v[1:2], 4, v[5:6]
	v_lshlrev_b64 v[17:18], 2, v[5:6]
	v_mov_b32_e32 v3, 0
	v_mov_b32_e32 v4, 0
	s_mov_b32 s48, 0
	s_delay_alu instid0(VALU_DEP_4)
	v_add_co_u32 v7, vcc_lo, s45, v1
	v_add_co_ci_u32_e32 v8, vcc_lo, s46, v2, vcc_lo
	v_add_co_u32 v17, vcc_lo, s14, v17
	v_add_co_ci_u32_e32 v18, vcc_lo, s15, v18, vcc_lo
	v_dual_mov_b32 v1, v3 :: v_dual_mov_b32 v2, v4
.LBB37_15:                              ;   Parent Loop BB37_13 Depth=1
                                        ; =>  This Inner Loop Header: Depth=2
	global_load_b32 v27, v[17:18], off
	global_load_b128 v[23:26], v[7:8], off offset:-8
	v_add_co_u32 v17, s11, 0x400, v17
	s_delay_alu instid0(VALU_DEP_1) | instskip(SKIP_4) | instid1(VALU_DEP_2)
	v_add_co_ci_u32_e64 v18, s11, 0, v18, s11
	s_waitcnt vmcnt(1)
	v_subrev_nc_u32_e32 v27, s30, v27
	s_waitcnt vmcnt(0)
	v_xor_b32_e32 v31, 0x80000000, v26
	v_ashrrev_i32_e32 v28, 31, v27
	s_delay_alu instid0(VALU_DEP_2) | instskip(NEXT) | instid1(VALU_DEP_2)
	v_cndmask_b32_e64 v26, v26, v31, s2
	v_lshlrev_b64 v[27:28], 4, v[27:28]
	s_delay_alu instid0(VALU_DEP_2) | instskip(SKIP_1) | instid1(VALU_DEP_3)
	v_mul_f64 v[31:32], v[25:26], -v[15:16]
	v_mul_f64 v[25:26], v[13:14], v[25:26]
	v_add_co_u32 v27, vcc_lo, s18, v27
	s_delay_alu instid0(VALU_DEP_4)
	v_add_co_ci_u32_e32 v28, vcc_lo, s19, v28, vcc_lo
	v_add_co_u32 v5, vcc_lo, 0x100, v5
	v_add_co_ci_u32_e32 v6, vcc_lo, 0, v6, vcc_lo
	global_load_b128 v[27:30], v[27:28], off
	v_add_co_u32 v7, vcc_lo, 0x1000, v7
	v_add_co_ci_u32_e32 v8, vcc_lo, 0, v8, vcc_lo
	v_cmp_le_i64_e32 vcc_lo, s[42:43], v[5:6]
	s_or_b32 s48, vcc_lo, s48
	v_fma_f64 v[31:32], v[13:14], v[23:24], v[31:32]
	v_fma_f64 v[23:24], v[15:16], v[23:24], v[25:26]
	s_waitcnt vmcnt(0)
	s_delay_alu instid0(VALU_DEP_2) | instskip(NEXT) | instid1(VALU_DEP_2)
	v_fma_f64 v[1:2], v[31:32], v[27:28], v[1:2]
	v_fma_f64 v[3:4], v[23:24], v[27:28], v[3:4]
	s_delay_alu instid0(VALU_DEP_2) | instskip(NEXT) | instid1(VALU_DEP_2)
	v_fma_f64 v[1:2], -v[23:24], v[29:30], v[1:2]
	v_fma_f64 v[3:4], v[31:32], v[29:30], v[3:4]
	s_and_not1_b32 exec_lo, exec_lo, s48
	s_cbranch_execnz .LBB37_15
; %bb.16:                               ;   in Loop: Header=BB37_13 Depth=1
	s_or_b32 exec_lo, exec_lo, s48
.LBB37_17:                              ;   in Loop: Header=BB37_13 Depth=1
	s_delay_alu instid0(SALU_CYCLE_1)
	s_or_b32 exec_lo, exec_lo, s47
	ds_store_b128 v21, v[1:4]
	s_waitcnt lgkmcnt(0)
	s_waitcnt_vscnt null, 0x0
	s_barrier
	buffer_gl0_inv
	s_and_saveexec_b32 s11, s3
	s_cbranch_execz .LBB37_19
; %bb.18:                               ;   in Loop: Header=BB37_13 Depth=1
	ds_load_b128 v[1:4], v21 offset:2048
	ds_load_b128 v[5:8], v21
	s_waitcnt lgkmcnt(0)
	v_add_f64 v[1:2], v[1:2], v[5:6]
	v_add_f64 v[3:4], v[3:4], v[7:8]
	ds_store_b128 v21, v[1:4]
.LBB37_19:                              ;   in Loop: Header=BB37_13 Depth=1
	s_or_b32 exec_lo, exec_lo, s11
	s_waitcnt lgkmcnt(0)
	s_barrier
	buffer_gl0_inv
	s_and_saveexec_b32 s11, s4
	s_cbranch_execz .LBB37_21
; %bb.20:                               ;   in Loop: Header=BB37_13 Depth=1
	ds_load_b128 v[1:4], v21 offset:1024
	ds_load_b128 v[5:8], v21
	s_waitcnt lgkmcnt(0)
	v_add_f64 v[1:2], v[1:2], v[5:6]
	v_add_f64 v[3:4], v[3:4], v[7:8]
	ds_store_b128 v21, v[1:4]
.LBB37_21:                              ;   in Loop: Header=BB37_13 Depth=1
	s_or_b32 exec_lo, exec_lo, s11
	s_waitcnt lgkmcnt(0)
	;; [unrolled: 14-line block ×6, first 2 shown]
	s_barrier
	buffer_gl0_inv
	s_and_saveexec_b32 s11, s9
	s_cbranch_execz .LBB37_31
; %bb.30:                               ;   in Loop: Header=BB37_13 Depth=1
	ds_load_b128 v[1:4], v21
	ds_load_b128 v[5:8], v21 offset:32
	s_waitcnt lgkmcnt(0)
	v_add_f64 v[1:2], v[5:6], v[1:2]
	v_add_f64 v[3:4], v[7:8], v[3:4]
	ds_store_b128 v21, v[1:4]
.LBB37_31:                              ;   in Loop: Header=BB37_13 Depth=1
	s_or_b32 exec_lo, exec_lo, s11
	s_waitcnt lgkmcnt(0)
	s_barrier
	buffer_gl0_inv
	s_and_saveexec_b32 s11, s10
	s_cbranch_execz .LBB37_33
; %bb.32:                               ;   in Loop: Header=BB37_13 Depth=1
	ds_load_b128 v[1:4], v22
	ds_load_b128 v[5:8], v22 offset:16
	s_waitcnt lgkmcnt(0)
	v_add_f64 v[1:2], v[5:6], v[1:2]
	v_add_f64 v[3:4], v[7:8], v[3:4]
	ds_store_b128 v22, v[1:4]
.LBB37_33:                              ;   in Loop: Header=BB37_13 Depth=1
	s_or_b32 exec_lo, exec_lo, s11
	s_waitcnt lgkmcnt(0)
	s_barrier
	buffer_gl0_inv
	s_and_saveexec_b32 s11, s10
	s_cbranch_execz .LBB37_12
; %bb.34:                               ;   in Loop: Header=BB37_13 Depth=1
	ds_load_b128 v[1:4], v22
	s_and_saveexec_b32 s42, s33
	s_cbranch_execz .LBB37_11
; %bb.35:                               ;   in Loop: Header=BB37_13 Depth=1
	s_lshl_b64 s[48:49], s[40:41], 4
	s_delay_alu instid0(SALU_CYCLE_1)
	s_add_u32 s48, s24, s48
	s_addc_u32 s49, s25, s49
	global_load_b128 v[5:8], v22, s[48:49]
	s_waitcnt vmcnt(0) lgkmcnt(0)
	v_fma_f64 v[1:2], v[9:10], v[5:6], v[1:2]
	v_fma_f64 v[3:4], v[11:12], v[5:6], v[3:4]
	s_delay_alu instid0(VALU_DEP_2) | instskip(NEXT) | instid1(VALU_DEP_2)
	v_fma_f64 v[1:2], -v[11:12], v[7:8], v[1:2]
	v_fma_f64 v[3:4], v[9:10], v[7:8], v[3:4]
	s_branch .LBB37_11
.LBB37_36:
	s_mov_b32 s3, 0
.LBB37_37:
	s_delay_alu instid0(SALU_CYCLE_1)
	s_and_not1_b32 vcc_lo, exec_lo, s3
	s_cbranch_vccnz .LBB37_76
; %bb.38:
	s_load_b64 s[6:7], s[0:1], 0x18
	s_sub_i32 s8, s34, s31
	v_mov_b32_e32 v1, 0
	v_or_b32_e32 v3, s31, v0
	v_mov_b32_e32 v2, 0
	s_delay_alu instid0(VALU_DEP_2) | instskip(NEXT) | instid1(VALU_DEP_2)
	v_cmp_eq_u32_e32 vcc_lo, 0, v3
	v_dual_mov_b32 v4, v2 :: v_dual_mov_b32 v3, v1
	s_waitcnt lgkmcnt(0)
	s_add_u32 s4, s6, s36
	s_addc_u32 s5, s7, s37
	s_load_b32 s33, s[4:5], 0x0
	s_and_saveexec_b32 s3, vcc_lo
	s_cbranch_execz .LBB37_42
; %bb.39:
	s_lshl_b64 s[34:35], s[20:21], 4
	v_mov_b32_e32 v17, 0
	s_add_u32 s34, s24, s34
	s_addc_u32 s35, s25, s35
	s_waitcnt vmcnt(0)
	v_add_f64 v[1:2], v[9:10], -1.0
	s_mov_b32 s10, exec_lo
	global_load_b128 v[3:6], v17, s[34:35]
	v_mbcnt_lo_u32_b32 v18, s10, 0
	s_mov_b32 s11, exec_lo
	s_waitcnt vmcnt(0) expcnt(0) lgkmcnt(0)
	s_waitcnt_vscnt null, 0x0
	v_mul_f64 v[7:8], v[5:6], -v[11:12]
	v_mul_f64 v[5:6], v[1:2], v[5:6]
	v_cmpx_eq_u32_e32 0, v18
	s_cbranch_execz .LBB37_41
; %bb.40:
	s_ashr_i32 s9, s8, 31
	s_delay_alu instid0(SALU_CYCLE_1) | instskip(NEXT) | instid1(SALU_CYCLE_1)
	s_lshl_b64 s[34:35], s[8:9], 2
	s_add_u32 s34, s6, s34
	s_addc_u32 s35, s7, s35
	s_bcnt1_i32_b32 s9, s10
	s_delay_alu instid0(SALU_CYCLE_1) | instskip(NEXT) | instid1(SALU_CYCLE_1)
	s_and_b32 s9, s9, 1
	v_mov_b32_e32 v18, s9
	global_atomic_xor_b32 v17, v18, s[34:35]
.LBB37_41:
	s_or_b32 exec_lo, exec_lo, s11
	s_delay_alu instid0(VALU_DEP_3) | instskip(NEXT) | instid1(VALU_DEP_3)
	v_fma_f64 v[1:2], v[1:2], v[3:4], v[7:8]
	v_fma_f64 v[3:4], v[11:12], v[3:4], v[5:6]
.LBB37_42:
	s_or_b32 exec_lo, exec_lo, s3
	s_load_b64 s[10:11], s[26:27], 0x8
	s_mul_i32 s9, s31, 0xc00
	s_sub_u32 s34, s28, s30
	s_subb_u32 s35, s29, 0
	s_mul_hi_i32 s3, s31, 0xc00
	s_add_u32 s34, s34, s9
	s_addc_u32 s3, s35, s3
	v_add_co_u32 v5, s9, s34, v0
	s_delay_alu instid0(VALU_DEP_1) | instskip(SKIP_4) | instid1(SALU_CYCLE_1)
	v_add_co_ci_u32_e64 v6, null, s3, 0, s9
	s_mov_b32 s9, exec_lo
	s_waitcnt lgkmcnt(0)
	s_sub_u32 s10, s10, s30
	s_subb_u32 s11, s11, 0
	v_cmpx_gt_i64_e64 s[10:11], v[5:6]
	s_cbranch_execz .LBB37_46
; %bb.43:
	v_lshlrev_b64 v[7:8], 4, v[5:6]
	v_lshlrev_b64 v[17:18], 2, v[5:6]
	s_add_u32 s34, s34, 0xc00
	s_addc_u32 s35, s3, 0
	s_delay_alu instid0(SALU_CYCLE_1) | instskip(NEXT) | instid1(VALU_DEP_3)
	v_cmp_lt_i64_e64 s3, s[34:35], s[10:11]
	v_add_co_u32 v7, vcc_lo, v7, s16
	v_add_co_ci_u32_e32 v8, vcc_lo, s17, v8, vcc_lo
	s_delay_alu instid0(VALU_DEP_3) | instskip(NEXT) | instid1(VALU_DEP_2)
	s_and_b32 s3, s3, exec_lo
	v_add_co_u32 v7, vcc_lo, v7, 8
	s_delay_alu instid0(VALU_DEP_2)
	v_add_co_ci_u32_e32 v8, vcc_lo, 0, v8, vcc_lo
	v_add_co_u32 v17, vcc_lo, s14, v17
	v_add_co_ci_u32_e32 v18, vcc_lo, s15, v18, vcc_lo
	s_cselect_b32 s11, s35, s11
	s_cselect_b32 s10, s34, s10
	s_mov_b32 s34, 0
.LBB37_44:                              ; =>This Inner Loop Header: Depth=1
	global_load_b32 v23, v[17:18], off
	global_load_b128 v[19:22], v[7:8], off offset:-8
	v_add_co_u32 v17, s3, 0x400, v17
	s_delay_alu instid0(VALU_DEP_1) | instskip(SKIP_4) | instid1(VALU_DEP_2)
	v_add_co_ci_u32_e64 v18, s3, 0, v18, s3
	s_waitcnt vmcnt(1)
	v_subrev_nc_u32_e32 v23, s30, v23
	s_waitcnt vmcnt(0)
	v_xor_b32_e32 v27, 0x80000000, v22
	v_ashrrev_i32_e32 v24, 31, v23
	s_delay_alu instid0(VALU_DEP_2) | instskip(NEXT) | instid1(VALU_DEP_2)
	v_cndmask_b32_e64 v22, v22, v27, s2
	v_lshlrev_b64 v[23:24], 4, v[23:24]
	s_delay_alu instid0(VALU_DEP_2) | instskip(SKIP_1) | instid1(VALU_DEP_3)
	v_mul_f64 v[27:28], v[21:22], -v[15:16]
	v_mul_f64 v[21:22], v[13:14], v[21:22]
	v_add_co_u32 v23, vcc_lo, s18, v23
	s_delay_alu instid0(VALU_DEP_4)
	v_add_co_ci_u32_e32 v24, vcc_lo, s19, v24, vcc_lo
	v_add_co_u32 v5, vcc_lo, 0x100, v5
	v_add_co_ci_u32_e32 v6, vcc_lo, 0, v6, vcc_lo
	global_load_b128 v[23:26], v[23:24], off
	v_add_co_u32 v7, vcc_lo, 0x1000, v7
	v_add_co_ci_u32_e32 v8, vcc_lo, 0, v8, vcc_lo
	v_cmp_le_i64_e32 vcc_lo, s[10:11], v[5:6]
	s_or_b32 s34, vcc_lo, s34
	v_fma_f64 v[27:28], v[13:14], v[19:20], v[27:28]
	v_fma_f64 v[19:20], v[15:16], v[19:20], v[21:22]
	s_waitcnt vmcnt(0)
	s_delay_alu instid0(VALU_DEP_2) | instskip(NEXT) | instid1(VALU_DEP_2)
	v_fma_f64 v[1:2], v[27:28], v[23:24], v[1:2]
	v_fma_f64 v[3:4], v[19:20], v[23:24], v[3:4]
	s_delay_alu instid0(VALU_DEP_2) | instskip(NEXT) | instid1(VALU_DEP_2)
	v_fma_f64 v[1:2], -v[19:20], v[25:26], v[1:2]
	v_fma_f64 v[3:4], v[27:28], v[25:26], v[3:4]
	s_and_not1_b32 exec_lo, exec_lo, s34
	s_cbranch_execnz .LBB37_44
; %bb.45:
	s_or_b32 exec_lo, exec_lo, s34
.LBB37_46:
	s_delay_alu instid0(SALU_CYCLE_1)
	s_or_b32 exec_lo, exec_lo, s9
	v_lshlrev_b32_e32 v5, 4, v0
	s_mov_b32 s3, exec_lo
	ds_store_b128 v5, v[1:4]
	s_waitcnt vmcnt(0) lgkmcnt(0)
	s_waitcnt_vscnt null, 0x0
	s_barrier
	buffer_gl0_inv
	v_cmpx_gt_u32_e32 0x80, v0
	s_cbranch_execz .LBB37_48
; %bb.47:
	ds_load_b128 v[1:4], v5 offset:2048
	ds_load_b128 v[17:20], v5
	s_waitcnt lgkmcnt(0)
	v_add_f64 v[1:2], v[1:2], v[17:18]
	v_add_f64 v[3:4], v[3:4], v[19:20]
	ds_store_b128 v5, v[1:4]
.LBB37_48:
	s_or_b32 exec_lo, exec_lo, s3
	s_delay_alu instid0(SALU_CYCLE_1)
	s_mov_b32 s3, exec_lo
	s_waitcnt lgkmcnt(0)
	s_barrier
	buffer_gl0_inv
	v_cmpx_gt_u32_e32 64, v0
	s_cbranch_execz .LBB37_50
; %bb.49:
	ds_load_b128 v[1:4], v5 offset:1024
	ds_load_b128 v[17:20], v5
	s_waitcnt lgkmcnt(0)
	v_add_f64 v[1:2], v[1:2], v[17:18]
	v_add_f64 v[3:4], v[3:4], v[19:20]
	ds_store_b128 v5, v[1:4]
.LBB37_50:
	s_or_b32 exec_lo, exec_lo, s3
	s_delay_alu instid0(SALU_CYCLE_1)
	s_mov_b32 s3, exec_lo
	s_waitcnt lgkmcnt(0)
	s_barrier
	buffer_gl0_inv
	v_cmpx_gt_u32_e32 32, v0
	s_cbranch_execz .LBB37_52
; %bb.51:
	ds_load_b128 v[1:4], v5 offset:512
	ds_load_b128 v[17:20], v5
	s_waitcnt lgkmcnt(0)
	v_add_f64 v[1:2], v[1:2], v[17:18]
	v_add_f64 v[3:4], v[3:4], v[19:20]
	ds_store_b128 v5, v[1:4]
.LBB37_52:
	s_or_b32 exec_lo, exec_lo, s3
	s_delay_alu instid0(SALU_CYCLE_1)
	s_mov_b32 s3, exec_lo
	s_waitcnt lgkmcnt(0)
	s_barrier
	buffer_gl0_inv
	v_cmpx_gt_u32_e32 16, v0
	s_cbranch_execz .LBB37_54
; %bb.53:
	ds_load_b128 v[1:4], v5 offset:256
	ds_load_b128 v[17:20], v5
	s_waitcnt lgkmcnt(0)
	v_add_f64 v[1:2], v[1:2], v[17:18]
	v_add_f64 v[3:4], v[3:4], v[19:20]
	ds_store_b128 v5, v[1:4]
.LBB37_54:
	s_or_b32 exec_lo, exec_lo, s3
	s_delay_alu instid0(SALU_CYCLE_1)
	s_mov_b32 s3, exec_lo
	s_waitcnt lgkmcnt(0)
	s_barrier
	buffer_gl0_inv
	v_cmpx_gt_u32_e32 8, v0
	s_cbranch_execz .LBB37_56
; %bb.55:
	ds_load_b128 v[1:4], v5 offset:128
	ds_load_b128 v[17:20], v5
	s_waitcnt lgkmcnt(0)
	v_add_f64 v[1:2], v[1:2], v[17:18]
	v_add_f64 v[3:4], v[3:4], v[19:20]
	ds_store_b128 v5, v[1:4]
.LBB37_56:
	s_or_b32 exec_lo, exec_lo, s3
	s_delay_alu instid0(SALU_CYCLE_1)
	s_mov_b32 s3, exec_lo
	s_waitcnt lgkmcnt(0)
	s_barrier
	buffer_gl0_inv
	v_cmpx_gt_u32_e32 4, v0
	s_cbranch_execz .LBB37_58
; %bb.57:
	ds_load_b128 v[1:4], v5 offset:64
	ds_load_b128 v[17:20], v5
	s_waitcnt lgkmcnt(0)
	v_add_f64 v[1:2], v[1:2], v[17:18]
	v_add_f64 v[3:4], v[3:4], v[19:20]
	ds_store_b128 v5, v[1:4]
.LBB37_58:
	s_or_b32 exec_lo, exec_lo, s3
	s_delay_alu instid0(SALU_CYCLE_1)
	s_mov_b32 s3, exec_lo
	s_waitcnt lgkmcnt(0)
	s_barrier
	buffer_gl0_inv
	v_cmpx_gt_u32_e32 2, v0
	s_cbranch_execz .LBB37_60
; %bb.59:
	ds_load_b128 v[1:4], v5
	ds_load_b128 v[17:20], v5 offset:32
	s_waitcnt lgkmcnt(0)
	v_add_f64 v[1:2], v[17:18], v[1:2]
	v_add_f64 v[3:4], v[19:20], v[3:4]
	ds_store_b128 v5, v[1:4]
.LBB37_60:
	s_or_b32 exec_lo, exec_lo, s3
	v_cmp_eq_u32_e32 vcc_lo, 0, v0
	s_waitcnt lgkmcnt(0)
	s_barrier
	buffer_gl0_inv
	s_and_saveexec_b32 s3, vcc_lo
	s_cbranch_execz .LBB37_62
; %bb.61:
	v_mov_b32_e32 v17, 0
	ds_load_b128 v[1:4], v17
	ds_load_b128 v[5:8], v17 offset:16
	s_waitcnt lgkmcnt(0)
	v_add_f64 v[1:2], v[5:6], v[1:2]
	v_add_f64 v[3:4], v[7:8], v[3:4]
	ds_store_b128 v17, v[1:4]
.LBB37_62:
	s_or_b32 exec_lo, exec_lo, s3
	s_waitcnt lgkmcnt(0)
	s_barrier
	buffer_gl0_inv
	s_and_saveexec_b32 s3, vcc_lo
	s_cbranch_execz .LBB37_75
; %bb.63:
	s_cmp_eq_u32 s31, 0
	s_cbranch_scc1 .LBB37_69
; %bb.64:
	s_ashr_i32 s9, s8, 31
	v_mov_b32_e32 v1, 0
	s_lshl_b64 s[8:9], s[8:9], 2
	s_delay_alu instid0(SALU_CYCLE_1)
	s_add_u32 s6, s6, s8
	s_addc_u32 s7, s7, s9
	s_branch .LBB37_66
.LBB37_65:                              ;   in Loop: Header=BB37_66 Depth=1
	s_or_b32 exec_lo, exec_lo, s8
	s_waitcnt vmcnt(0)
	v_readfirstlane_b32 s8, v2
	s_delay_alu instid0(VALU_DEP_1)
	s_cmp_eq_u32 s8, s33
	s_cbranch_scc0 .LBB37_68
.LBB37_66:                              ; =>This Inner Loop Header: Depth=1
	v_mbcnt_lo_u32_b32 v2, exec_lo, 0
	s_delay_alu instid0(VALU_DEP_1)
	v_cmp_eq_u32_e32 vcc_lo, 0, v2
                                        ; implicit-def: $vgpr2
	s_and_saveexec_b32 s8, vcc_lo
	s_cbranch_execz .LBB37_65
; %bb.67:                               ;   in Loop: Header=BB37_66 Depth=1
	global_load_b32 v2, v1, s[6:7] glc
	s_branch .LBB37_65
.LBB37_68:
	v_mov_b32_e32 v1, 0
	global_load_b32 v2, v1, s[4:5]
	s_waitcnt vmcnt(0)
	v_xor_b32_e32 v2, 1, v2
	global_store_b32 v1, v2, s[4:5]
.LBB37_69:
	v_mov_b32_e32 v17, 0
	s_mov_b32 s7, exec_lo
	s_lshl_b64 s[4:5], s[20:21], 4
	v_mbcnt_lo_u32_b32 v5, s7, 0
	s_add_u32 s4, s24, s4
	ds_load_b128 v[1:4], v17
	s_addc_u32 s5, s25, s5
	s_mov_b32 s6, exec_lo
	v_cmpx_eq_u32_e32 0, v5
	s_cbranch_execz .LBB37_72
; %bb.70:
	global_load_b64 v[7:8], v17, s[4:5]
	s_bcnt1_i32_b32 s7, s7
	s_delay_alu instid0(SALU_CYCLE_1) | instskip(SKIP_2) | instid1(VALU_DEP_1)
	v_cvt_f64_u32_e32 v[5:6], s7
	s_mov_b32 s7, 0
	s_waitcnt lgkmcnt(0)
	v_mul_f64 v[1:2], v[1:2], v[5:6]
.LBB37_71:                              ; =>This Inner Loop Header: Depth=1
	s_waitcnt vmcnt(0)
	s_delay_alu instid0(VALU_DEP_1)
	v_add_f64 v[5:6], v[7:8], v[1:2]
	global_atomic_cmpswap_b64 v[5:6], v17, v[5:8], s[4:5] glc
	s_waitcnt vmcnt(0)
	v_cmp_eq_u64_e32 vcc_lo, v[5:6], v[7:8]
	v_dual_mov_b32 v8, v6 :: v_dual_mov_b32 v7, v5
	s_or_b32 s7, vcc_lo, s7
	s_delay_alu instid0(SALU_CYCLE_1)
	s_and_not1_b32 exec_lo, exec_lo, s7
	s_cbranch_execnz .LBB37_71
.LBB37_72:
	s_or_b32 exec_lo, exec_lo, s6
	s_delay_alu instid0(SALU_CYCLE_1) | instskip(SKIP_3) | instid1(VALU_DEP_1)
	s_mov_b32 s7, exec_lo
	s_mov_b32 s6, 0
	s_waitcnt lgkmcnt(0)
	v_mbcnt_lo_u32_b32 v1, s7, 0
	v_cmp_eq_u32_e32 vcc_lo, 0, v1
	s_and_b32 s8, exec_lo, vcc_lo
	s_delay_alu instid0(SALU_CYCLE_1)
	s_mov_b32 exec_lo, s8
	s_cbranch_execz .LBB37_75
; %bb.73:
	v_mov_b32_e32 v7, 0
	s_bcnt1_i32_b32 s7, s7
	s_delay_alu instid0(SALU_CYCLE_1)
	v_cvt_f64_u32_e32 v[1:2], s7
	global_load_b64 v[5:6], v7, s[4:5] offset:8
	v_mul_f64 v[1:2], v[3:4], v[1:2]
.LBB37_74:                              ; =>This Inner Loop Header: Depth=1
	s_waitcnt vmcnt(0)
	s_delay_alu instid0(VALU_DEP_1)
	v_add_f64 v[3:4], v[5:6], v[1:2]
	global_atomic_cmpswap_b64 v[3:4], v7, v[3:6], s[4:5] offset:8 glc
	s_waitcnt vmcnt(0)
	v_cmp_eq_u64_e32 vcc_lo, v[3:4], v[5:6]
	v_dual_mov_b32 v6, v4 :: v_dual_mov_b32 v5, v3
	s_or_b32 s6, vcc_lo, s6
	s_delay_alu instid0(SALU_CYCLE_1)
	s_and_not1_b32 exec_lo, exec_lo, s6
	s_cbranch_execnz .LBB37_74
.LBB37_75:
	s_or_b32 exec_lo, exec_lo, s3
.LBB37_76:
	s_mov_b32 s4, 0
.LBB37_77:
	s_delay_alu instid0(SALU_CYCLE_1)
	s_and_not1_b32 vcc_lo, exec_lo, s4
	s_cbranch_vccnz .LBB37_121
; %bb.78:
	s_load_b64 s[0:1], s[0:1], 0x8
	v_sub_co_u32 v1, s3, v0, s30
	s_delay_alu instid0(VALU_DEP_1) | instskip(SKIP_1) | instid1(VALU_DEP_2)
	v_sub_co_ci_u32_e64 v2, null, 0, 0, s3
	s_waitcnt lgkmcnt(0)
	v_add_co_u32 v1, vcc_lo, s28, v1
	s_delay_alu instid0(VALU_DEP_2) | instskip(NEXT) | instid1(VALU_DEP_2)
	v_add_co_ci_u32_e32 v2, vcc_lo, s29, v2, vcc_lo
	v_add_co_u32 v3, vcc_lo, 0x300, v1
	s_delay_alu instid0(VALU_DEP_2) | instskip(NEXT) | instid1(VALU_DEP_1)
	v_add_co_ci_u32_e32 v4, vcc_lo, 0, v2, vcc_lo
	v_cmp_le_i64_e32 vcc_lo, s[0:1], v[3:4]
	s_and_saveexec_b32 s0, vcc_lo
	s_delay_alu instid0(SALU_CYCLE_1)
	s_xor_b32 s1, exec_lo, s0
	s_cbranch_execz .LBB37_83
; %bb.79:
	s_lshl_b64 s[4:5], s[22:23], 3
	s_mov_b32 s3, exec_lo
	s_add_u32 s4, s12, s4
	s_addc_u32 s5, s13, s5
	s_load_b64 s[4:5], s[4:5], 0x0
	s_waitcnt lgkmcnt(0)
	s_sub_u32 s4, s4, s30
	s_subb_u32 s5, s5, 0
	s_delay_alu instid0(SALU_CYCLE_1)
	v_cmpx_gt_i64_e64 s[4:5], v[1:2]
	s_cbranch_execz .LBB37_82
; %bb.80:
	v_lshlrev_b64 v[3:4], 4, v[1:2]
	v_lshlrev_b64 v[5:6], 2, v[1:2]
	v_lshlrev_b32_e32 v7, 4, v0
	s_mov_b32 s6, 0
	s_delay_alu instid0(VALU_DEP_3) | instskip(NEXT) | instid1(VALU_DEP_4)
	v_add_co_u32 v3, vcc_lo, v3, s16
	v_add_co_ci_u32_e32 v4, vcc_lo, s17, v4, vcc_lo
	s_delay_alu instid0(VALU_DEP_2) | instskip(NEXT) | instid1(VALU_DEP_2)
	v_add_co_u32 v3, vcc_lo, v3, 8
	v_add_co_ci_u32_e32 v4, vcc_lo, 0, v4, vcc_lo
	v_add_co_u32 v5, vcc_lo, s14, v5
	v_add_co_ci_u32_e32 v6, vcc_lo, s15, v6, vcc_lo
.LBB37_81:                              ; =>This Inner Loop Header: Depth=1
	global_load_b32 v8, v[5:6], off
	global_load_b128 v[17:20], v[3:4], off offset:-8
	s_waitcnt vmcnt(1)
	v_subrev_nc_u32_e32 v21, s30, v8
	s_waitcnt vmcnt(0)
	v_xor_b32_e32 v8, 0x80000000, v20
	s_delay_alu instid0(VALU_DEP_2) | instskip(NEXT) | instid1(VALU_DEP_2)
	v_ashrrev_i32_e32 v22, 31, v21
	v_cndmask_b32_e64 v20, v20, v8, s2
	s_delay_alu instid0(VALU_DEP_2) | instskip(NEXT) | instid1(VALU_DEP_2)
	v_lshlrev_b64 v[21:22], 4, v[21:22]
	v_mul_f64 v[25:26], v[13:14], v[19:20]
	v_mul_f64 v[19:20], v[19:20], -v[15:16]
	s_delay_alu instid0(VALU_DEP_3) | instskip(NEXT) | instid1(VALU_DEP_4)
	v_add_co_u32 v21, vcc_lo, s18, v21
	v_add_co_ci_u32_e32 v22, vcc_lo, s19, v22, vcc_lo
	v_add_co_u32 v1, vcc_lo, 0x100, v1
	v_add_co_ci_u32_e32 v2, vcc_lo, 0, v2, vcc_lo
	global_load_b128 v[21:24], v[21:22], off
	v_add_co_u32 v3, vcc_lo, 0x1000, v3
	v_add_co_ci_u32_e32 v4, vcc_lo, 0, v4, vcc_lo
	v_cmp_le_i64_e64 s0, s[4:5], v[1:2]
	v_add_co_u32 v5, vcc_lo, 0x400, v5
	v_add_co_ci_u32_e32 v6, vcc_lo, 0, v6, vcc_lo
	s_delay_alu instid0(VALU_DEP_3) | instskip(SKIP_3) | instid1(VALU_DEP_2)
	s_or_b32 s6, s0, s6
	v_fma_f64 v[25:26], v[15:16], v[17:18], v[25:26]
	v_fma_f64 v[17:18], v[13:14], v[17:18], v[19:20]
	s_waitcnt vmcnt(0)
	v_mul_f64 v[19:20], v[23:24], -v[25:26]
	s_delay_alu instid0(VALU_DEP_2) | instskip(NEXT) | instid1(VALU_DEP_2)
	v_mul_f64 v[23:24], v[17:18], v[23:24]
	v_fma_f64 v[17:18], v[17:18], v[21:22], v[19:20]
	s_delay_alu instid0(VALU_DEP_2)
	v_fma_f64 v[19:20], v[25:26], v[21:22], v[23:24]
	ds_store_b128 v7, v[17:20]
	v_add_nc_u32_e32 v7, 0x1000, v7
	s_and_not1_b32 exec_lo, exec_lo, s6
	s_cbranch_execnz .LBB37_81
.LBB37_82:
	s_or_b32 exec_lo, exec_lo, s3
                                        ; implicit-def: $vgpr1_vgpr2
                                        ; implicit-def: $vgpr15_vgpr16
                                        ; implicit-def: $vgpr13_vgpr14
.LBB37_83:
	s_or_saveexec_b32 s0, s1
	v_lshlrev_b32_e32 v17, 4, v0
	s_xor_b32 exec_lo, exec_lo, s0
	s_cbranch_execz .LBB37_85
; %bb.84:
	v_lshlrev_b64 v[3:4], 2, v[1:2]
	v_lshlrev_b64 v[1:2], 4, v[1:2]
	s_delay_alu instid0(VALU_DEP_2) | instskip(NEXT) | instid1(VALU_DEP_3)
	v_add_co_u32 v3, vcc_lo, s14, v3
	v_add_co_ci_u32_e32 v4, vcc_lo, s15, v4, vcc_lo
	s_delay_alu instid0(VALU_DEP_3) | instskip(NEXT) | instid1(VALU_DEP_4)
	v_add_co_u32 v5, vcc_lo, s16, v1
	v_add_co_ci_u32_e32 v6, vcc_lo, s17, v2, vcc_lo
	s_clause 0x3
	global_load_b32 v26, v[3:4], off
	global_load_b32 v27, v[3:4], off offset:1024
	global_load_b32 v29, v[3:4], off offset:2048
	;; [unrolled: 1-line block ×3, first 2 shown]
	v_add_co_u32 v18, vcc_lo, v5, 0x2000
	v_add_co_ci_u32_e32 v19, vcc_lo, 0, v6, vcc_lo
	v_add_co_u32 v22, vcc_lo, 0x3000, v5
	global_load_b128 v[1:4], v[5:6], off
	v_add_co_ci_u32_e32 v23, vcc_lo, 0, v6, vcc_lo
	s_clause 0x2
	global_load_b128 v[5:8], v[18:19], off offset:-4096
	global_load_b128 v[18:21], v[18:19], off
	global_load_b128 v[22:25], v[22:23], off
	s_waitcnt vmcnt(7)
	v_subrev_nc_u32_e32 v26, s30, v26
	s_waitcnt vmcnt(6)
	v_subrev_nc_u32_e32 v28, s30, v27
	;; [unrolled: 2-line block ×4, first 2 shown]
	v_ashrrev_i32_e32 v27, 31, v26
	v_ashrrev_i32_e32 v29, 31, v28
	;; [unrolled: 1-line block ×3, first 2 shown]
	s_delay_alu instid0(VALU_DEP_4) | instskip(NEXT) | instid1(VALU_DEP_4)
	v_ashrrev_i32_e32 v33, 31, v32
	v_lshlrev_b64 v[26:27], 4, v[26:27]
	s_delay_alu instid0(VALU_DEP_4) | instskip(NEXT) | instid1(VALU_DEP_4)
	v_lshlrev_b64 v[28:29], 4, v[28:29]
	v_lshlrev_b64 v[30:31], 4, v[30:31]
	s_delay_alu instid0(VALU_DEP_4)
	v_lshlrev_b64 v[32:33], 4, v[32:33]
	s_waitcnt vmcnt(3)
	v_xor_b32_e32 v42, 0x80000000, v4
	s_waitcnt vmcnt(2)
	v_xor_b32_e32 v43, 0x80000000, v8
	v_add_co_u32 v26, vcc_lo, s18, v26
	v_add_co_ci_u32_e32 v27, vcc_lo, s19, v27, vcc_lo
	v_add_co_u32 v34, vcc_lo, s18, v28
	v_add_co_ci_u32_e32 v35, vcc_lo, s19, v29, vcc_lo
	;; [unrolled: 2-line block ×3, first 2 shown]
	v_add_co_u32 v38, vcc_lo, s18, v32
	global_load_b128 v[26:29], v[26:27], off
	v_add_co_ci_u32_e32 v39, vcc_lo, s19, v33, vcc_lo
	s_clause 0x2
	global_load_b128 v[30:33], v[34:35], off
	global_load_b128 v[34:37], v[36:37], off
	global_load_b128 v[38:41], v[38:39], off
	s_waitcnt vmcnt(5)
	v_xor_b32_e32 v44, 0x80000000, v21
	s_waitcnt vmcnt(4)
	v_xor_b32_e32 v45, 0x80000000, v25
	v_cndmask_b32_e64 v4, v4, v42, s2
	v_cndmask_b32_e64 v8, v8, v43, s2
	;; [unrolled: 1-line block ×3, first 2 shown]
	s_delay_alu instid0(VALU_DEP_4) | instskip(NEXT) | instid1(VALU_DEP_4)
	v_cndmask_b32_e64 v25, v25, v45, s2
	v_mul_f64 v[42:43], v[3:4], -v[15:16]
	v_mul_f64 v[3:4], v[13:14], v[3:4]
	v_mul_f64 v[44:45], v[13:14], v[7:8]
	v_mul_f64 v[7:8], v[7:8], -v[15:16]
	v_mul_f64 v[46:47], v[13:14], v[20:21]
	v_mul_f64 v[20:21], v[20:21], -v[15:16]
	;; [unrolled: 2-line block ×3, first 2 shown]
	v_fma_f64 v[3:4], v[15:16], v[1:2], v[3:4]
	v_fma_f64 v[1:2], v[13:14], v[1:2], v[42:43]
	;; [unrolled: 1-line block ×8, first 2 shown]
	s_waitcnt vmcnt(3)
	v_mul_f64 v[7:8], v[28:29], -v[3:4]
	v_mul_f64 v[13:14], v[1:2], v[28:29]
	s_waitcnt vmcnt(2)
	v_mul_f64 v[15:16], v[32:33], -v[42:43]
	v_mul_f64 v[24:25], v[5:6], v[32:33]
	;; [unrolled: 3-line block ×4, first 2 shown]
	v_fma_f64 v[1:2], v[1:2], v[26:27], v[7:8]
	v_fma_f64 v[3:4], v[3:4], v[26:27], v[13:14]
	;; [unrolled: 1-line block ×8, first 2 shown]
	ds_store_b128 v17, v[1:4]
	ds_store_b128 v17, v[5:8] offset:4096
	ds_store_b128 v17, v[13:16] offset:8192
	;; [unrolled: 1-line block ×3, first 2 shown]
.LBB37_85:
	s_or_b32 exec_lo, exec_lo, s0
	s_cmp_lt_i32 s31, 2
	s_mov_b32 s0, -1
	s_waitcnt vmcnt(0) lgkmcnt(0)
	s_waitcnt_vscnt null, 0x0
	s_barrier
	buffer_gl0_inv
	s_cbranch_scc0 .LBB37_96
; %bb.86:
	v_add_co_u32 v13, s0, s20, v0
	s_delay_alu instid0(VALU_DEP_1) | instskip(SKIP_1) | instid1(VALU_DEP_1)
	v_add_co_ci_u32_e64 v14, null, s21, 0, s0
	s_mov_b32 s1, exec_lo
	v_cmpx_gt_i64_e64 s[22:23], v[13:14]
	s_cbranch_execz .LBB37_95
; %bb.87:
	v_cmp_neq_f64_e32 vcc_lo, 0, v[9:10]
	v_cmp_neq_f64_e64 s0, 0, v[11:12]
	s_lshl_b32 s4, s28, 4
	s_mov_b32 s2, 0
	s_sub_i32 s4, 0, s4
	s_delay_alu instid0(VALU_DEP_1)
	s_or_b32 s3, vcc_lo, s0
	s_branch .LBB37_89
.LBB37_88:                              ;   in Loop: Header=BB37_89 Depth=1
	s_or_b32 exec_lo, exec_lo, s0
	v_add_co_u32 v13, vcc_lo, 0x100, v13
	v_add_co_ci_u32_e32 v14, vcc_lo, 0, v14, vcc_lo
	v_add_co_u32 v5, s0, s24, v5
	s_delay_alu instid0(VALU_DEP_1) | instskip(NEXT) | instid1(VALU_DEP_3)
	v_add_co_ci_u32_e64 v6, s0, s25, v6, s0
	v_cmp_le_i64_e32 vcc_lo, s[22:23], v[13:14]
	global_store_b128 v[5:6], v[1:4], off
	s_or_b32 s2, vcc_lo, s2
	s_delay_alu instid0(SALU_CYCLE_1)
	s_and_not1_b32 exec_lo, exec_lo, s2
	s_cbranch_execz .LBB37_95
.LBB37_89:                              ; =>This Loop Header: Depth=1
                                        ;     Child Loop BB37_91 Depth 2
	v_lshlrev_b64 v[1:2], 3, v[13:14]
	v_mov_b32_e32 v3, 0
	v_mov_b32_e32 v4, 0
	s_mov_b32 s0, exec_lo
	s_delay_alu instid0(VALU_DEP_3) | instskip(NEXT) | instid1(VALU_DEP_4)
	v_add_co_u32 v1, vcc_lo, s12, v1
	v_add_co_ci_u32_e32 v2, vcc_lo, s13, v2, vcc_lo
	global_load_b128 v[5:8], v[1:2], off
	v_dual_mov_b32 v1, v3 :: v_dual_mov_b32 v2, v4
	s_waitcnt vmcnt(0)
	v_subrev_nc_u32_e32 v6, s28, v5
	v_subrev_nc_u32_e32 v7, s28, v7
	s_delay_alu instid0(VALU_DEP_1)
	v_cmpx_lt_i32_e64 v6, v7
	s_cbranch_execz .LBB37_93
; %bb.90:                               ;   in Loop: Header=BB37_89 Depth=1
	v_mov_b32_e32 v3, 0
	v_mov_b32_e32 v4, 0
	v_lshl_add_u32 v5, v5, 4, s4
	s_delay_alu instid0(VALU_DEP_3) | instskip(SKIP_1) | instid1(VALU_DEP_3)
	v_mov_b32_e32 v1, v3
	s_mov_b32 s5, 0
	v_mov_b32_e32 v2, v4
.LBB37_91:                              ;   Parent Loop BB37_89 Depth=1
                                        ; =>  This Inner Loop Header: Depth=2
	ds_load_b128 v[18:21], v5
	v_add_nc_u32_e32 v6, 1, v6
	v_add_nc_u32_e32 v5, 16, v5
	s_delay_alu instid0(VALU_DEP_2)
	v_cmp_ge_i32_e32 vcc_lo, v6, v7
	s_or_b32 s5, vcc_lo, s5
	s_waitcnt lgkmcnt(0)
	v_add_f64 v[1:2], v[1:2], v[18:19]
	v_add_f64 v[3:4], v[3:4], v[20:21]
	s_and_not1_b32 exec_lo, exec_lo, s5
	s_cbranch_execnz .LBB37_91
; %bb.92:                               ;   in Loop: Header=BB37_89 Depth=1
	s_or_b32 exec_lo, exec_lo, s5
.LBB37_93:                              ;   in Loop: Header=BB37_89 Depth=1
	s_delay_alu instid0(SALU_CYCLE_1)
	s_or_b32 exec_lo, exec_lo, s0
	v_lshlrev_b64 v[5:6], 4, v[13:14]
	s_and_saveexec_b32 s0, s3
	s_cbranch_execz .LBB37_88
; %bb.94:                               ;   in Loop: Header=BB37_89 Depth=1
	s_delay_alu instid0(VALU_DEP_1) | instskip(NEXT) | instid1(VALU_DEP_2)
	v_add_co_u32 v7, vcc_lo, s24, v5
	v_add_co_ci_u32_e32 v8, vcc_lo, s25, v6, vcc_lo
	global_load_b128 v[18:21], v[7:8], off
	s_waitcnt vmcnt(0)
	v_fma_f64 v[1:2], v[9:10], v[18:19], v[1:2]
	v_fma_f64 v[3:4], v[11:12], v[18:19], v[3:4]
	s_delay_alu instid0(VALU_DEP_2) | instskip(NEXT) | instid1(VALU_DEP_2)
	v_fma_f64 v[1:2], -v[11:12], v[20:21], v[1:2]
	v_fma_f64 v[3:4], v[9:10], v[20:21], v[3:4]
	s_branch .LBB37_88
.LBB37_95:
	s_or_b32 exec_lo, exec_lo, s1
	s_mov_b32 s0, 0
.LBB37_96:
	s_delay_alu instid0(SALU_CYCLE_1)
	s_and_not1_b32 vcc_lo, exec_lo, s0
	s_cbranch_vccnz .LBB37_121
; %bb.97:
	s_clz_i32_u32 s0, s31
	v_mov_b32_e32 v1, 0
	s_xor_b32 s0, s0, 31
	s_mov_b32 s1, exec_lo
	v_lshrrev_b32_e32 v8, s0, v0
	s_delay_alu instid0(VALU_DEP_1) | instskip(NEXT) | instid1(VALU_DEP_1)
	v_add_co_u32 v5, s0, s20, v8
	v_add_co_ci_u32_e64 v6, null, s21, 0, s0
	s_add_i32 s0, s31, -1
	s_delay_alu instid0(SALU_CYCLE_1) | instskip(NEXT) | instid1(VALU_DEP_2)
	v_dual_mov_b32 v2, 0 :: v_dual_and_b32 v7, s0, v0
	v_cmp_le_i64_e32 vcc_lo, s[22:23], v[5:6]
	s_delay_alu instid0(VALU_DEP_2)
	v_dual_mov_b32 v4, v2 :: v_dual_mov_b32 v3, v1
	v_cmpx_gt_i64_e64 s[22:23], v[5:6]
	s_cbranch_execz .LBB37_103
; %bb.98:
	v_dual_mov_b32 v3, 0 :: v_dual_lshlrev_b32 v0, 3, v8
	v_mov_b32_e32 v4, 0
	s_mov_b32 s2, exec_lo
	s_clause 0x1
	global_load_b32 v1, v0, s[26:27]
	global_load_b32 v0, v0, s[26:27] offset:8
	s_waitcnt vmcnt(1)
	v_subrev_nc_u32_e32 v1, s28, v1
	s_waitcnt vmcnt(0)
	v_subrev_nc_u32_e32 v0, s28, v0
	s_delay_alu instid0(VALU_DEP_2) | instskip(SKIP_1) | instid1(VALU_DEP_2)
	v_add_nc_u32_e32 v8, v7, v1
	v_dual_mov_b32 v1, v3 :: v_dual_mov_b32 v2, v4
	v_cmpx_lt_i32_e64 v8, v0
	s_cbranch_execz .LBB37_102
; %bb.99:
	v_mov_b32_e32 v3, 0
	v_dual_mov_b32 v4, 0 :: v_dual_lshlrev_b32 v13, 4, v8
	s_delay_alu instid0(VALU_DEP_2) | instskip(SKIP_2) | instid1(VALU_DEP_2)
	v_mov_b32_e32 v1, v3
	s_lshl_b32 s4, s31, 4
	s_mov_b32 s3, 0
	v_mov_b32_e32 v2, v4
.LBB37_100:                             ; =>This Inner Loop Header: Depth=1
	ds_load_b128 v[18:21], v13
	v_add_nc_u32_e32 v8, s31, v8
	v_add_nc_u32_e32 v13, s4, v13
	s_delay_alu instid0(VALU_DEP_2) | instskip(NEXT) | instid1(VALU_DEP_1)
	v_cmp_ge_i32_e64 s0, v8, v0
	s_or_b32 s3, s0, s3
	s_waitcnt lgkmcnt(0)
	v_add_f64 v[1:2], v[1:2], v[18:19]
	v_add_f64 v[3:4], v[3:4], v[20:21]
	s_and_not1_b32 exec_lo, exec_lo, s3
	s_cbranch_execnz .LBB37_100
; %bb.101:
	s_or_b32 exec_lo, exec_lo, s3
.LBB37_102:
	s_delay_alu instid0(SALU_CYCLE_1)
	s_or_b32 exec_lo, exec_lo, s2
.LBB37_103:
	s_delay_alu instid0(SALU_CYCLE_1)
	s_or_b32 exec_lo, exec_lo, s1
	s_cmpk_lt_i32 s31, 0x81
	s_waitcnt_vscnt null, 0x0
	s_barrier
	buffer_gl0_inv
	ds_store_b128 v17, v[1:4]
	s_waitcnt lgkmcnt(0)
	s_barrier
	buffer_gl0_inv
	s_cbranch_scc1 .LBB37_105
; %bb.104:
	ds_load_b128 v[13:16], v17 offset:2048
	s_waitcnt lgkmcnt(0)
	s_barrier
	buffer_gl0_inv
	v_add_f64 v[1:2], v[1:2], v[13:14]
	v_add_f64 v[3:4], v[3:4], v[15:16]
	ds_store_b128 v17, v[1:4]
.LBB37_105:
	s_cmpk_lt_i32 s31, 0x41
	s_waitcnt lgkmcnt(0)
	s_barrier
	buffer_gl0_inv
	s_cbranch_scc1 .LBB37_107
; %bb.106:
	ds_load_b128 v[13:16], v17 offset:1024
	s_waitcnt lgkmcnt(0)
	s_barrier
	buffer_gl0_inv
	v_add_f64 v[1:2], v[1:2], v[13:14]
	v_add_f64 v[3:4], v[3:4], v[15:16]
	ds_store_b128 v17, v[1:4]
.LBB37_107:
	s_cmp_lt_i32 s31, 33
	s_waitcnt lgkmcnt(0)
	s_barrier
	buffer_gl0_inv
	s_cbranch_scc1 .LBB37_109
; %bb.108:
	ds_load_b128 v[13:16], v17 offset:512
	s_waitcnt lgkmcnt(0)
	s_barrier
	buffer_gl0_inv
	v_add_f64 v[1:2], v[1:2], v[13:14]
	v_add_f64 v[3:4], v[3:4], v[15:16]
	ds_store_b128 v17, v[1:4]
.LBB37_109:
	s_cmp_lt_i32 s31, 17
	;; [unrolled: 14-line block ×4, first 2 shown]
	s_waitcnt lgkmcnt(0)
	s_barrier
	buffer_gl0_inv
	s_cbranch_scc1 .LBB37_115
; %bb.114:
	ds_load_b128 v[13:16], v17 offset:64
	s_waitcnt lgkmcnt(0)
	s_barrier
	buffer_gl0_inv
	v_add_f64 v[1:2], v[1:2], v[13:14]
	v_add_f64 v[3:4], v[3:4], v[15:16]
	ds_store_b128 v17, v[1:4]
.LBB37_115:
	s_cmp_eq_u32 s31, 2
	s_waitcnt lgkmcnt(0)
	s_barrier
	buffer_gl0_inv
	s_cbranch_scc1 .LBB37_117
; %bb.116:
	ds_load_b128 v[13:16], v17 offset:32
	s_waitcnt lgkmcnt(0)
	s_barrier
	buffer_gl0_inv
	v_add_f64 v[1:2], v[1:2], v[13:14]
	v_add_f64 v[3:4], v[3:4], v[15:16]
	ds_store_b128 v17, v[1:4]
.LBB37_117:
	s_waitcnt lgkmcnt(0)
	s_barrier
	buffer_gl0_inv
	ds_load_b128 v[13:16], v17 offset:16
	v_cmp_eq_u32_e64 s0, 0, v7
	s_xor_b32 s1, vcc_lo, -1
	s_waitcnt lgkmcnt(0)
	s_barrier
	buffer_gl0_inv
	s_and_b32 s0, s0, s1
	v_add_f64 v[0:1], v[1:2], v[13:14]
	v_add_f64 v[2:3], v[3:4], v[15:16]
	ds_store_b128 v17, v[0:3]
	s_and_b32 exec_lo, exec_lo, s0
	s_cbranch_execz .LBB37_121
; %bb.118:
	v_cmp_neq_f64_e32 vcc_lo, 0, v[9:10]
	v_cmp_neq_f64_e64 s0, 0, v[11:12]
	v_lshlrev_b64 v[4:5], 4, v[5:6]
	s_delay_alu instid0(VALU_DEP_2) | instskip(NEXT) | instid1(SALU_CYCLE_1)
	s_or_b32 s1, vcc_lo, s0
	s_and_saveexec_b32 s0, s1
	s_cbranch_execz .LBB37_120
; %bb.119:
	s_delay_alu instid0(VALU_DEP_1) | instskip(NEXT) | instid1(VALU_DEP_2)
	v_add_co_u32 v6, vcc_lo, s24, v4
	v_add_co_ci_u32_e32 v7, vcc_lo, s25, v5, vcc_lo
	global_load_b128 v[13:16], v[6:7], off
	s_waitcnt vmcnt(0)
	v_fma_f64 v[0:1], v[9:10], v[13:14], v[0:1]
	v_fma_f64 v[2:3], v[11:12], v[13:14], v[2:3]
	s_delay_alu instid0(VALU_DEP_2) | instskip(NEXT) | instid1(VALU_DEP_2)
	v_fma_f64 v[0:1], -v[11:12], v[15:16], v[0:1]
	v_fma_f64 v[2:3], v[9:10], v[15:16], v[2:3]
.LBB37_120:
	s_or_b32 exec_lo, exec_lo, s0
	s_delay_alu instid0(VALU_DEP_1)
	v_add_co_u32 v4, vcc_lo, s24, v4
	v_add_co_ci_u32_e32 v5, vcc_lo, s25, v5, vcc_lo
	global_store_b128 v[4:5], v[0:3], off
.LBB37_121:
	s_endpgm
	.section	.rodata,"a",@progbits
	.p2align	6, 0x0
	.amdhsa_kernel _ZN9rocsparseL22csrmvn_adaptive_kernelIli21rocsparse_complex_numIdES2_S2_S2_EEvbT_PKS3_PjPKT0_NS_24const_host_device_scalarIT4_EES5_S9_PKT1_PKT2_SC_PT3_21rocsparse_index_base_b
		.amdhsa_group_segment_fixed_size 16384
		.amdhsa_private_segment_fixed_size 24
		.amdhsa_kernarg_size 120
		.amdhsa_user_sgpr_count 15
		.amdhsa_user_sgpr_dispatch_ptr 0
		.amdhsa_user_sgpr_queue_ptr 0
		.amdhsa_user_sgpr_kernarg_segment_ptr 1
		.amdhsa_user_sgpr_dispatch_id 0
		.amdhsa_user_sgpr_private_segment_size 0
		.amdhsa_wavefront_size32 1
		.amdhsa_uses_dynamic_stack 0
		.amdhsa_enable_private_segment 1
		.amdhsa_system_sgpr_workgroup_id_x 1
		.amdhsa_system_sgpr_workgroup_id_y 0
		.amdhsa_system_sgpr_workgroup_id_z 0
		.amdhsa_system_sgpr_workgroup_info 0
		.amdhsa_system_vgpr_workitem_id 0
		.amdhsa_next_free_vgpr 50
		.amdhsa_next_free_sgpr 50
		.amdhsa_reserve_vcc 1
		.amdhsa_float_round_mode_32 0
		.amdhsa_float_round_mode_16_64 0
		.amdhsa_float_denorm_mode_32 3
		.amdhsa_float_denorm_mode_16_64 3
		.amdhsa_dx10_clamp 1
		.amdhsa_ieee_mode 1
		.amdhsa_fp16_overflow 0
		.amdhsa_workgroup_processor_mode 1
		.amdhsa_memory_ordered 1
		.amdhsa_forward_progress 0
		.amdhsa_shared_vgpr_count 0
		.amdhsa_exception_fp_ieee_invalid_op 0
		.amdhsa_exception_fp_denorm_src 0
		.amdhsa_exception_fp_ieee_div_zero 0
		.amdhsa_exception_fp_ieee_overflow 0
		.amdhsa_exception_fp_ieee_underflow 0
		.amdhsa_exception_fp_ieee_inexact 0
		.amdhsa_exception_int_div_zero 0
	.end_amdhsa_kernel
	.section	.text._ZN9rocsparseL22csrmvn_adaptive_kernelIli21rocsparse_complex_numIdES2_S2_S2_EEvbT_PKS3_PjPKT0_NS_24const_host_device_scalarIT4_EES5_S9_PKT1_PKT2_SC_PT3_21rocsparse_index_base_b,"axG",@progbits,_ZN9rocsparseL22csrmvn_adaptive_kernelIli21rocsparse_complex_numIdES2_S2_S2_EEvbT_PKS3_PjPKT0_NS_24const_host_device_scalarIT4_EES5_S9_PKT1_PKT2_SC_PT3_21rocsparse_index_base_b,comdat
.Lfunc_end37:
	.size	_ZN9rocsparseL22csrmvn_adaptive_kernelIli21rocsparse_complex_numIdES2_S2_S2_EEvbT_PKS3_PjPKT0_NS_24const_host_device_scalarIT4_EES5_S9_PKT1_PKT2_SC_PT3_21rocsparse_index_base_b, .Lfunc_end37-_ZN9rocsparseL22csrmvn_adaptive_kernelIli21rocsparse_complex_numIdES2_S2_S2_EEvbT_PKS3_PjPKT0_NS_24const_host_device_scalarIT4_EES5_S9_PKT1_PKT2_SC_PT3_21rocsparse_index_base_b
                                        ; -- End function
	.section	.AMDGPU.csdata,"",@progbits
; Kernel info:
; codeLenInByte = 6256
; NumSgprs: 52
; NumVgprs: 50
; ScratchSize: 24
; MemoryBound: 0
; FloatMode: 240
; IeeeMode: 1
; LDSByteSize: 16384 bytes/workgroup (compile time only)
; SGPRBlocks: 6
; VGPRBlocks: 6
; NumSGPRsForWavesPerEU: 52
; NumVGPRsForWavesPerEU: 50
; Occupancy: 16
; WaveLimiterHint : 1
; COMPUTE_PGM_RSRC2:SCRATCH_EN: 1
; COMPUTE_PGM_RSRC2:USER_SGPR: 15
; COMPUTE_PGM_RSRC2:TRAP_HANDLER: 0
; COMPUTE_PGM_RSRC2:TGID_X_EN: 1
; COMPUTE_PGM_RSRC2:TGID_Y_EN: 0
; COMPUTE_PGM_RSRC2:TGID_Z_EN: 0
; COMPUTE_PGM_RSRC2:TIDIG_COMP_CNT: 0
	.section	.text._ZN9rocsparseL27csrmvn_symm_adaptive_kernelIli21rocsparse_complex_numIdES2_S2_S2_EEvbT_S3_PKS3_NS_24const_host_device_scalarIT4_EES5_PKT0_PKT1_PKT2_S8_PT3_21rocsparse_index_base_b,"axG",@progbits,_ZN9rocsparseL27csrmvn_symm_adaptive_kernelIli21rocsparse_complex_numIdES2_S2_S2_EEvbT_S3_PKS3_NS_24const_host_device_scalarIT4_EES5_PKT0_PKT1_PKT2_S8_PT3_21rocsparse_index_base_b,comdat
	.globl	_ZN9rocsparseL27csrmvn_symm_adaptive_kernelIli21rocsparse_complex_numIdES2_S2_S2_EEvbT_S3_PKS3_NS_24const_host_device_scalarIT4_EES5_PKT0_PKT1_PKT2_S8_PT3_21rocsparse_index_base_b ; -- Begin function _ZN9rocsparseL27csrmvn_symm_adaptive_kernelIli21rocsparse_complex_numIdES2_S2_S2_EEvbT_S3_PKS3_NS_24const_host_device_scalarIT4_EES5_PKT0_PKT1_PKT2_S8_PT3_21rocsparse_index_base_b
	.p2align	8
	.type	_ZN9rocsparseL27csrmvn_symm_adaptive_kernelIli21rocsparse_complex_numIdES2_S2_S2_EEvbT_S3_PKS3_NS_24const_host_device_scalarIT4_EES5_PKT0_PKT1_PKT2_S8_PT3_21rocsparse_index_base_b,@function
_ZN9rocsparseL27csrmvn_symm_adaptive_kernelIli21rocsparse_complex_numIdES2_S2_S2_EEvbT_S3_PKS3_NS_24const_host_device_scalarIT4_EES5_PKT0_PKT1_PKT2_S8_PT3_21rocsparse_index_base_b: ; @_ZN9rocsparseL27csrmvn_symm_adaptive_kernelIli21rocsparse_complex_numIdES2_S2_S2_EEvbT_S3_PKS3_NS_24const_host_device_scalarIT4_EES5_PKT0_PKT1_PKT2_S8_PT3_21rocsparse_index_base_b
; %bb.0:
	s_clause 0x2
	s_load_b64 s[26:27], s[0:1], 0x68
	s_load_b128 s[8:11], s[0:1], 0x20
	s_load_b128 s[4:7], s[0:1], 0x50
	s_mov_b64 s[2:3], src_private_base
	v_mov_b32_e32 v1, 0
	s_mov_b32 s12, s15
	s_waitcnt lgkmcnt(0)
	s_bitcmp1_b32 s27, 0
	v_dual_mov_b32 v3, s8 :: v_dual_mov_b32 v6, s5
	s_cselect_b32 s2, -1, 0
	v_mov_b32_e32 v4, s9
	s_and_b32 vcc_lo, s2, exec_lo
	s_cselect_b32 s13, s3, s9
	v_cndmask_b32_e64 v1, s8, v1, s2
	v_dual_mov_b32 v5, s4 :: v_dual_mov_b32 v2, s13
	s_clause 0x1
	scratch_store_b64 off, v[3:4], off
	scratch_store_b64 off, v[5:6], off offset:8
	v_dual_mov_b32 v12, s11 :: v_dual_mov_b32 v11, s10
	flat_load_b64 v[9:10], v[1:2]
	s_xor_b32 s10, s2, -1
	s_cbranch_vccnz .LBB38_2
; %bb.1:
	v_dual_mov_b32 v1, s8 :: v_dual_mov_b32 v2, s9
	flat_load_b64 v[11:12], v[1:2] offset:8
.LBB38_2:
	s_and_b32 s8, s2, exec_lo
	s_cselect_b32 s3, s3, s5
	s_delay_alu instid0(SALU_CYCLE_1) | instskip(SKIP_2) | instid1(VALU_DEP_2)
	v_dual_mov_b32 v1, 8 :: v_dual_mov_b32 v2, s3
	v_dual_mov_b32 v3, s6 :: v_dual_mov_b32 v4, s7
	s_and_not1_b32 vcc_lo, exec_lo, s10
	v_cndmask_b32_e64 v1, s4, v1, s2
	flat_load_b64 v[1:2], v[1:2]
	s_cbranch_vccnz .LBB38_4
; %bb.3:
	v_dual_mov_b32 v3, s4 :: v_dual_mov_b32 v4, s5
	flat_load_b64 v[3:4], v[3:4] offset:8
.LBB38_4:
	s_waitcnt vmcnt(1) lgkmcnt(1)
	v_cmp_eq_f64_e32 vcc_lo, 0, v[9:10]
	v_cmp_eq_f64_e64 s2, 0, v[11:12]
	s_delay_alu instid0(VALU_DEP_1)
	s_and_b32 s4, vcc_lo, s2
	s_mov_b32 s2, -1
	s_and_saveexec_b32 s3, s4
	s_cbranch_execz .LBB38_6
; %bb.5:
	s_waitcnt vmcnt(0) lgkmcnt(0)
	v_cmp_neq_f64_e32 vcc_lo, 1.0, v[1:2]
	v_cmp_neq_f64_e64 s2, 0, v[3:4]
	s_delay_alu instid0(VALU_DEP_1) | instskip(NEXT) | instid1(SALU_CYCLE_1)
	s_or_b32 s2, vcc_lo, s2
	s_or_not1_b32 s2, s2, exec_lo
.LBB38_6:
	s_or_b32 exec_lo, exec_lo, s3
	s_and_saveexec_b32 s3, s2
	s_cbranch_execz .LBB38_216
; %bb.7:
	s_clause 0x1
	s_load_b32 s2, s[0:1], 0x0
	s_load_b64 s[8:9], s[0:1], 0x18
	s_mov_b32 s4, 0
	s_delay_alu instid0(SALU_CYCLE_1)
	s_mov_b32 s5, s4
	s_mov_b32 s6, s4
	;; [unrolled: 1-line block ×3, first 2 shown]
	s_waitcnt vmcnt(0) lgkmcnt(0)
	v_dual_mov_b32 v1, s4 :: v_dual_lshlrev_b32 v26, 4, v0
	v_dual_mov_b32 v2, s5 :: v_dual_mov_b32 v3, s6
	v_mov_b32_e32 v4, s7
	ds_store_b128 v26, v[1:4]
	ds_store_b128 v26, v[1:4] offset:4096
	ds_store_b128 v26, v[1:4] offset:8192
	ds_store_b128 v26, v[1:4] offset:12288
	s_waitcnt lgkmcnt(0)
	s_waitcnt_vscnt null, 0x0
	s_barrier
	s_bitcmp1_b32 s2, 0
	buffer_gl0_inv
	s_cselect_b32 s2, -1, 0
	s_ashr_i32 s13, s12, 31
	s_delay_alu instid0(SALU_CYCLE_1) | instskip(NEXT) | instid1(SALU_CYCLE_1)
	s_lshl_b64 s[4:5], s[12:13], 3
	s_add_u32 s4, s8, s4
	s_addc_u32 s5, s9, s5
	s_load_b128 s[20:23], s[4:5], 0x0
	s_clause 0x1
	s_load_b64 s[10:11], s[0:1], 0x60
	s_load_b256 s[12:19], s[0:1], 0x30
	s_waitcnt lgkmcnt(0)
	s_sub_u32 s24, s22, s20
	s_subb_u32 s25, s23, s21
	s_delay_alu instid0(SALU_CYCLE_1) | instskip(NEXT) | instid1(VALU_DEP_1)
	v_cmp_gt_i64_e64 s3, s[24:25], 2
	s_and_b32 vcc_lo, exec_lo, s3
	s_mov_b32 s3, -1
	s_cbranch_vccnz .LBB38_53
; %bb.8:
	v_cmp_gt_i64_e64 s3, s[22:23], s[20:21]
	v_sub_co_u32 v15, s4, v0, s26
	s_delay_alu instid0(VALU_DEP_1) | instskip(NEXT) | instid1(VALU_DEP_3)
	v_sub_co_ci_u32_e64 v16, null, 0, 0, s4
	s_and_b32 vcc_lo, exec_lo, s3
	s_cbranch_vccnz .LBB38_10
; %bb.9:
	s_lshl_b64 s[4:5], s[20:21], 3
	s_delay_alu instid0(SALU_CYCLE_1)
	s_add_u32 s4, s12, s4
	s_addc_u32 s5, s13, s5
	s_load_b64 s[28:29], s[4:5], 0x0
	s_cbranch_execz .LBB38_11
	s_branch .LBB38_40
.LBB38_10:
                                        ; implicit-def: $sgpr28_sgpr29
.LBB38_11:
	s_lshl_b64 s[4:5], s[20:21], 3
	v_cmp_gt_u32_e64 s3, 0x100, v0
	s_add_u32 s4, s12, s4
	s_addc_u32 s5, s13, s5
	v_cmp_gt_u32_e64 s6, 4, v0
	s_waitcnt lgkmcnt(0)
	s_load_b64 s[28:29], s[4:5], 0x0
	v_cmp_gt_u32_e64 s4, 64, v0
	v_cmp_gt_u32_e64 s5, 16, v0
	v_cmp_eq_u32_e64 s7, 0, v0
	v_mov_b32_e32 v17, 0
	s_add_u32 s27, s12, 8
	s_addc_u32 s33, s13, 0
	s_add_u32 s38, s16, 8
	s_addc_u32 s39, s17, 0
	s_mov_b64 s[30:31], s[20:21]
	s_waitcnt lgkmcnt(0)
	s_mov_b64 s[34:35], s[28:29]
	s_branch .LBB38_13
.LBB38_12:                              ;   in Loop: Header=BB38_13 Depth=1
	s_or_b32 exec_lo, exec_lo, s36
	s_add_u32 s30, s30, 1
	s_addc_u32 s31, s31, 0
	s_delay_alu instid0(SALU_CYCLE_1) | instskip(NEXT) | instid1(VALU_DEP_1)
	v_cmp_ge_i64_e64 s8, s[30:31], s[22:23]
	s_and_b32 vcc_lo, exec_lo, s8
	s_cbranch_vccnz .LBB38_40
.LBB38_13:                              ; =>This Loop Header: Depth=1
                                        ;     Child Loop BB38_15 Depth 2
                                        ;     Child Loop BB38_29 Depth 2
	;; [unrolled: 1-line block ×5, first 2 shown]
	s_lshl_b64 s[8:9], s[30:31], 3
	s_mov_b64 s[36:37], s[34:35]
	s_add_u32 s8, s27, s8
	s_addc_u32 s9, s33, s9
	v_mov_b32_e32 v3, 0
	s_load_b64 s[34:35], s[8:9], 0x0
	v_mov_b32_e32 v4, 0
	v_add_co_u32 v5, vcc_lo, s36, v15
	v_add_co_ci_u32_e32 v6, vcc_lo, s37, v16, vcc_lo
	s_delay_alu instid0(VALU_DEP_3) | instskip(SKIP_4) | instid1(SALU_CYCLE_1)
	v_dual_mov_b32 v1, v3 :: v_dual_mov_b32 v2, v4
	s_mov_b32 s9, exec_lo
	s_waitcnt lgkmcnt(0)
	s_sub_u32 s36, s34, s26
	s_subb_u32 s37, s35, 0
	v_cmpx_gt_i64_e64 s[36:37], v[5:6]
	s_cbranch_execz .LBB38_17
; %bb.14:                               ;   in Loop: Header=BB38_13 Depth=1
	v_lshlrev_b64 v[1:2], 2, v[5:6]
	v_lshlrev_b64 v[13:14], 4, v[5:6]
	v_mov_b32_e32 v3, 0
	v_mov_b32_e32 v4, 0
	s_mov_b32 s40, 0
	s_delay_alu instid0(VALU_DEP_4)
	v_add_co_u32 v7, vcc_lo, s14, v1
	v_add_co_ci_u32_e32 v8, vcc_lo, s15, v2, vcc_lo
	v_add_co_u32 v13, vcc_lo, s38, v13
	v_add_co_ci_u32_e32 v14, vcc_lo, s39, v14, vcc_lo
	v_dual_mov_b32 v1, v3 :: v_dual_mov_b32 v2, v4
	s_set_inst_prefetch_distance 0x1
	.p2align	6
.LBB38_15:                              ;   Parent Loop BB38_13 Depth=1
                                        ; =>  This Inner Loop Header: Depth=2
	global_load_b32 v18, v[7:8], off
	s_waitcnt vmcnt(0)
	v_subrev_nc_u32_e32 v18, s26, v18
	s_delay_alu instid0(VALU_DEP_1) | instskip(NEXT) | instid1(VALU_DEP_1)
	v_ashrrev_i32_e32 v19, 31, v18
	v_lshlrev_b64 v[22:23], 4, v[18:19]
	global_load_b128 v[18:21], v[13:14], off offset:-8
	v_add_co_u32 v13, s8, 0x1000, v13
	s_delay_alu instid0(VALU_DEP_1)
	v_add_co_ci_u32_e64 v14, s8, 0, v14, s8
	v_add_co_u32 v22, vcc_lo, s18, v22
	v_add_co_ci_u32_e32 v23, vcc_lo, s19, v23, vcc_lo
	v_add_co_u32 v5, vcc_lo, 0x100, v5
	v_add_co_ci_u32_e32 v6, vcc_lo, 0, v6, vcc_lo
	global_load_b128 v[22:25], v[22:23], off
	v_add_co_u32 v7, vcc_lo, 0x400, v7
	v_add_co_ci_u32_e32 v8, vcc_lo, 0, v8, vcc_lo
	v_cmp_le_i64_e32 vcc_lo, s[36:37], v[5:6]
	s_or_b32 s40, vcc_lo, s40
	s_waitcnt vmcnt(1)
	v_xor_b32_e32 v27, 0x80000000, v21
	s_delay_alu instid0(VALU_DEP_1) | instskip(SKIP_2) | instid1(VALU_DEP_2)
	v_cndmask_b32_e64 v21, v21, v27, s2
	s_waitcnt vmcnt(0)
	v_fma_f64 v[1:2], v[18:19], v[22:23], v[1:2]
	v_fma_f64 v[3:4], v[20:21], v[22:23], v[3:4]
	s_delay_alu instid0(VALU_DEP_2) | instskip(NEXT) | instid1(VALU_DEP_2)
	v_fma_f64 v[1:2], -v[20:21], v[24:25], v[1:2]
	v_fma_f64 v[3:4], v[18:19], v[24:25], v[3:4]
	s_and_not1_b32 exec_lo, exec_lo, s40
	s_cbranch_execnz .LBB38_15
; %bb.16:                               ;   in Loop: Header=BB38_13 Depth=1
	s_set_inst_prefetch_distance 0x2
	s_or_b32 exec_lo, exec_lo, s40
.LBB38_17:                              ;   in Loop: Header=BB38_13 Depth=1
	s_delay_alu instid0(SALU_CYCLE_1)
	s_or_b32 exec_lo, exec_lo, s9
	ds_store_b128 v26, v[1:4]
	s_waitcnt lgkmcnt(0)
	s_barrier
	buffer_gl0_inv
	s_and_saveexec_b32 s8, s3
	s_cbranch_execz .LBB38_19
; %bb.18:                               ;   in Loop: Header=BB38_13 Depth=1
	ds_load_b128 v[1:4], v26 offset:4096
	ds_load_b128 v[5:8], v26 offset:8192
	ds_load_b128 v[18:21], v26 offset:12288
	ds_load_b128 v[22:25], v26
	s_waitcnt lgkmcnt(2)
	v_add_f64 v[1:2], v[5:6], v[1:2]
	v_add_f64 v[3:4], v[7:8], v[3:4]
	s_waitcnt lgkmcnt(1)
	s_delay_alu instid0(VALU_DEP_2) | instskip(NEXT) | instid1(VALU_DEP_2)
	v_add_f64 v[1:2], v[1:2], v[18:19]
	v_add_f64 v[3:4], v[3:4], v[20:21]
	s_waitcnt lgkmcnt(0)
	s_delay_alu instid0(VALU_DEP_2) | instskip(NEXT) | instid1(VALU_DEP_2)
	v_add_f64 v[1:2], v[1:2], v[22:23]
	v_add_f64 v[3:4], v[3:4], v[24:25]
	ds_store_b128 v26, v[1:4]
.LBB38_19:                              ;   in Loop: Header=BB38_13 Depth=1
	s_or_b32 exec_lo, exec_lo, s8
	s_waitcnt lgkmcnt(0)
	s_barrier
	buffer_gl0_inv
	s_and_saveexec_b32 s8, s4
	s_cbranch_execz .LBB38_21
; %bb.20:                               ;   in Loop: Header=BB38_13 Depth=1
	ds_load_b128 v[1:4], v26 offset:1024
	ds_load_b128 v[5:8], v26 offset:2048
	ds_load_b128 v[18:21], v26 offset:3072
	ds_load_b128 v[22:25], v26
	s_waitcnt lgkmcnt(2)
	v_add_f64 v[1:2], v[5:6], v[1:2]
	v_add_f64 v[3:4], v[7:8], v[3:4]
	s_waitcnt lgkmcnt(1)
	s_delay_alu instid0(VALU_DEP_2) | instskip(NEXT) | instid1(VALU_DEP_2)
	v_add_f64 v[1:2], v[1:2], v[18:19]
	v_add_f64 v[3:4], v[3:4], v[20:21]
	s_waitcnt lgkmcnt(0)
	s_delay_alu instid0(VALU_DEP_2) | instskip(NEXT) | instid1(VALU_DEP_2)
	v_add_f64 v[1:2], v[1:2], v[22:23]
	v_add_f64 v[3:4], v[3:4], v[24:25]
	ds_store_b128 v26, v[1:4]
.LBB38_21:                              ;   in Loop: Header=BB38_13 Depth=1
	s_or_b32 exec_lo, exec_lo, s8
	;; [unrolled: 24-line block ×5, first 2 shown]
	s_waitcnt lgkmcnt(0)
	s_barrier
	buffer_gl0_inv
	s_and_saveexec_b32 s36, s7
	s_cbranch_execz .LBB38_12
; %bb.28:                               ;   in Loop: Header=BB38_13 Depth=1
	ds_load_b128 v[1:4], v17
	v_mov_b32_e32 v13, 0
	v_bfrev_b32_e32 v14, 1
	s_mov_b32 s8, exec_lo
	s_waitcnt lgkmcnt(0)
	v_mul_f64 v[5:6], v[3:4], -v[11:12]
	s_delay_alu instid0(VALU_DEP_1)
	v_fma_f64 v[5:6], v[9:10], v[1:2], v[5:6]
.LBB38_29:                              ;   Parent Loop BB38_13 Depth=1
                                        ; =>  This Inner Loop Header: Depth=2
	s_ctz_i32_b32 s9, s8
	s_delay_alu instid0(VALU_DEP_1) | instid1(SALU_CYCLE_1)
	v_readlane_b32 s41, v6, s9
	s_delay_alu instid0(VALU_DEP_2) | instskip(SKIP_1) | instid1(SALU_CYCLE_1)
	v_readlane_b32 s40, v5, s9
	s_lshl_b32 s9, 1, s9
	s_and_not1_b32 s8, s8, s9
	s_delay_alu instid0(VALU_DEP_1)
	v_add_f64 v[13:14], v[13:14], s[40:41]
	s_cmp_lg_u32 s8, 0
	s_cbranch_scc1 .LBB38_29
; %bb.30:                               ;   in Loop: Header=BB38_13 Depth=1
	v_mbcnt_lo_u32_b32 v5, exec_lo, 0
	s_lshl_b64 s[8:9], s[30:31], 4
	s_mov_b32 s37, exec_lo
	s_add_u32 s8, s10, s8
	s_addc_u32 s9, s11, s9
	v_cmpx_eq_u32_e32 0, v5
	s_xor_b32 s37, exec_lo, s37
	s_cbranch_execz .LBB38_34
; %bb.31:                               ;   in Loop: Header=BB38_13 Depth=1
	global_load_b64 v[7:8], v17, s[8:9]
	s_mov_b32 s40, 0
.LBB38_32:                              ;   Parent Loop BB38_13 Depth=1
                                        ; =>  This Inner Loop Header: Depth=2
	s_waitcnt vmcnt(0)
	v_add_f64 v[5:6], v[7:8], v[13:14]
	global_atomic_cmpswap_b64 v[5:6], v17, v[5:8], s[8:9] glc
	s_waitcnt vmcnt(0)
	v_cmp_eq_u64_e32 vcc_lo, v[5:6], v[7:8]
	v_dual_mov_b32 v8, v6 :: v_dual_mov_b32 v7, v5
	s_or_b32 s40, vcc_lo, s40
	s_delay_alu instid0(SALU_CYCLE_1)
	s_and_not1_b32 exec_lo, exec_lo, s40
	s_cbranch_execnz .LBB38_32
; %bb.33:                               ;   in Loop: Header=BB38_13 Depth=1
	s_or_b32 exec_lo, exec_lo, s40
.LBB38_34:                              ;   in Loop: Header=BB38_13 Depth=1
	s_delay_alu instid0(SALU_CYCLE_1) | instskip(SKIP_4) | instid1(VALU_DEP_3)
	s_or_b32 exec_lo, exec_lo, s37
	v_mul_f64 v[3:4], v[9:10], v[3:4]
	v_mov_b32_e32 v5, 0
	v_bfrev_b32_e32 v6, 1
	s_mov_b32 s37, exec_lo
	v_fma_f64 v[1:2], v[11:12], v[1:2], v[3:4]
.LBB38_35:                              ;   Parent Loop BB38_13 Depth=1
                                        ; =>  This Inner Loop Header: Depth=2
	s_ctz_i32_b32 s42, s37
	s_delay_alu instid0(VALU_DEP_1) | instid1(SALU_CYCLE_1)
	v_readlane_b32 s41, v2, s42
	s_delay_alu instid0(VALU_DEP_2) | instskip(NEXT) | instid1(VALU_DEP_1)
	v_readlane_b32 s40, v1, s42
	v_add_f64 v[5:6], v[5:6], s[40:41]
	s_lshl_b32 s40, 1, s42
	s_delay_alu instid0(SALU_CYCLE_1) | instskip(NEXT) | instid1(SALU_CYCLE_1)
	s_and_not1_b32 s37, s37, s40
	s_cmp_lg_u32 s37, 0
	s_cbranch_scc1 .LBB38_35
; %bb.36:                               ;   in Loop: Header=BB38_13 Depth=1
	v_mbcnt_lo_u32_b32 v1, exec_lo, 0
	s_mov_b32 s37, exec_lo
	s_delay_alu instid0(VALU_DEP_1)
	v_cmpx_eq_u32_e32 0, v1
	s_xor_b32 s37, exec_lo, s37
	s_cbranch_execz .LBB38_12
; %bb.37:                               ;   in Loop: Header=BB38_13 Depth=1
	global_load_b64 v[3:4], v17, s[8:9] offset:8
	s_mov_b32 s37, 0
.LBB38_38:                              ;   Parent Loop BB38_13 Depth=1
                                        ; =>  This Inner Loop Header: Depth=2
	s_waitcnt vmcnt(0)
	v_add_f64 v[1:2], v[3:4], v[5:6]
	global_atomic_cmpswap_b64 v[1:2], v17, v[1:4], s[8:9] offset:8 glc
	s_waitcnt vmcnt(0)
	v_cmp_eq_u64_e32 vcc_lo, v[1:2], v[3:4]
	v_dual_mov_b32 v4, v2 :: v_dual_mov_b32 v3, v1
	s_or_b32 s37, vcc_lo, s37
	s_delay_alu instid0(SALU_CYCLE_1)
	s_and_not1_b32 exec_lo, exec_lo, s37
	s_cbranch_execnz .LBB38_38
; %bb.39:                               ;   in Loop: Header=BB38_13 Depth=1
	s_or_b32 exec_lo, exec_lo, s37
	s_branch .LBB38_12
.LBB38_40:
	s_lshl_b64 s[4:5], s[22:23], 3
	s_waitcnt lgkmcnt(0)
	v_add_co_u32 v13, vcc_lo, s28, v15
	s_add_u32 s4, s12, s4
	s_addc_u32 s5, s13, s5
	v_add_co_ci_u32_e32 v14, vcc_lo, s29, v16, vcc_lo
	s_load_b64 s[4:5], s[4:5], 0x0
	s_mov_b32 s8, exec_lo
	s_waitcnt lgkmcnt(0)
	s_sub_u32 s4, s4, s26
	s_subb_u32 s5, s5, 0
	s_delay_alu instid0(SALU_CYCLE_1)
	v_cmpx_gt_i64_e64 s[4:5], v[13:14]
	s_cbranch_execz .LBB38_52
; %bb.41:
	s_add_u32 s6, s22, -1
	s_addc_u32 s7, s23, -1
	s_add_u32 s28, s22, -2
	v_cmp_gt_i64_e64 s3, s[6:7], s[20:21]
	s_addc_u32 s29, s23, -1
	s_mov_b32 s27, 0
	s_cmp_lg_u64 s[28:29], s[20:21]
	s_cselect_b32 s9, -1, 0
	s_delay_alu instid0(VALU_DEP_1) | instid1(SALU_CYCLE_1)
	s_and_b32 s9, s3, s9
	s_branch .LBB38_43
.LBB38_42:                              ;   in Loop: Header=BB38_43 Depth=1
	s_or_b32 exec_lo, exec_lo, s3
	v_add_co_u32 v13, vcc_lo, 0x100, v13
	v_add_co_ci_u32_e32 v14, vcc_lo, 0, v14, vcc_lo
	s_delay_alu instid0(VALU_DEP_1) | instskip(SKIP_1) | instid1(SALU_CYCLE_1)
	v_cmp_le_i64_e32 vcc_lo, s[4:5], v[13:14]
	s_or_b32 s27, vcc_lo, s27
	s_and_not1_b32 exec_lo, exec_lo, s27
	s_cbranch_execz .LBB38_52
.LBB38_43:                              ; =>This Loop Header: Depth=1
                                        ;     Child Loop BB38_45 Depth 2
                                        ;     Child Loop BB38_49 Depth 2
	;; [unrolled: 1-line block ×3, first 2 shown]
	v_dual_mov_b32 v1, s20 :: v_dual_mov_b32 v2, s21
	v_dual_mov_b32 v3, s6 :: v_dual_mov_b32 v4, s7
	s_and_not1_b32 vcc_lo, exec_lo, s9
	s_cbranch_vccnz .LBB38_47
; %bb.44:                               ;   in Loop: Header=BB38_43 Depth=1
	v_dual_mov_b32 v1, s20 :: v_dual_mov_b32 v2, s21
	v_dual_mov_b32 v3, s6 :: v_dual_mov_b32 v4, s7
	s_mov_b32 s28, 0
	s_set_inst_prefetch_distance 0x1
	.p2align	6
.LBB38_45:                              ;   Parent Loop BB38_43 Depth=1
                                        ; =>  This Inner Loop Header: Depth=2
	s_delay_alu instid0(VALU_DEP_1) | instskip(NEXT) | instid1(VALU_DEP_2)
	v_add_co_u32 v5, vcc_lo, v3, v1
	v_add_co_ci_u32_e32 v6, vcc_lo, v4, v2, vcc_lo
	s_delay_alu instid0(VALU_DEP_1) | instskip(NEXT) | instid1(VALU_DEP_1)
	v_lshrrev_b32_e32 v7, 31, v6
	v_add_co_u32 v5, vcc_lo, v5, v7
	v_add_co_ci_u32_e32 v6, vcc_lo, 0, v6, vcc_lo
	s_delay_alu instid0(VALU_DEP_1) | instskip(NEXT) | instid1(VALU_DEP_1)
	v_ashrrev_i64 v[5:6], 1, v[5:6]
	v_lshlrev_b64 v[7:8], 3, v[5:6]
	s_delay_alu instid0(VALU_DEP_1) | instskip(NEXT) | instid1(VALU_DEP_2)
	v_add_co_u32 v7, vcc_lo, s12, v7
	v_add_co_ci_u32_e32 v8, vcc_lo, s13, v8, vcc_lo
	global_load_b64 v[7:8], v[7:8], off
	s_waitcnt vmcnt(0)
	v_sub_co_u32 v7, vcc_lo, v7, s26
	v_subrev_co_ci_u32_e32 v8, vcc_lo, 0, v8, vcc_lo
	s_delay_alu instid0(VALU_DEP_1) | instskip(SKIP_2) | instid1(VALU_DEP_2)
	v_cmp_gt_i64_e32 vcc_lo, v[7:8], v[13:14]
	v_dual_cndmask_b32 v4, v4, v6 :: v_dual_cndmask_b32 v3, v3, v5
	v_dual_cndmask_b32 v2, v6, v2 :: v_dual_cndmask_b32 v1, v5, v1
	v_add_co_u32 v5, vcc_lo, v3, -1
	s_delay_alu instid0(VALU_DEP_3) | instskip(NEXT) | instid1(VALU_DEP_3)
	v_add_co_ci_u32_e32 v6, vcc_lo, -1, v4, vcc_lo
	v_cmp_ge_i64_e32 vcc_lo, v[1:2], v[3:4]
	s_delay_alu instid0(VALU_DEP_2) | instskip(NEXT) | instid1(VALU_DEP_1)
	v_cmp_eq_u64_e64 s3, v[1:2], v[5:6]
	s_or_b32 s3, vcc_lo, s3
	s_delay_alu instid0(SALU_CYCLE_1) | instskip(NEXT) | instid1(SALU_CYCLE_1)
	s_and_b32 s3, exec_lo, s3
	s_or_b32 s28, s3, s28
	s_delay_alu instid0(SALU_CYCLE_1)
	s_and_not1_b32 exec_lo, exec_lo, s28
	s_cbranch_execnz .LBB38_45
; %bb.46:                               ;   in Loop: Header=BB38_43 Depth=1
	s_set_inst_prefetch_distance 0x2
	s_or_b32 exec_lo, exec_lo, s28
.LBB38_47:                              ;   in Loop: Header=BB38_43 Depth=1
	s_delay_alu instid0(VALU_DEP_1) | instskip(SKIP_2) | instid1(VALU_DEP_2)
	v_lshlrev_b64 v[5:6], 3, v[3:4]
	v_lshlrev_b64 v[7:8], 2, v[13:14]
	s_mov_b32 s3, exec_lo
	v_add_co_u32 v5, vcc_lo, s12, v5
	s_delay_alu instid0(VALU_DEP_3) | instskip(NEXT) | instid1(VALU_DEP_3)
	v_add_co_ci_u32_e32 v6, vcc_lo, s13, v6, vcc_lo
	v_add_co_u32 v7, vcc_lo, s14, v7
	s_delay_alu instid0(VALU_DEP_4)
	v_add_co_ci_u32_e32 v8, vcc_lo, s15, v8, vcc_lo
	global_load_b64 v[5:6], v[5:6], off
	global_load_b32 v7, v[7:8], off
	s_waitcnt vmcnt(1)
	v_sub_co_u32 v5, vcc_lo, v5, s26
	v_subrev_co_ci_u32_e32 v6, vcc_lo, 0, v6, vcc_lo
	s_delay_alu instid0(VALU_DEP_1) | instskip(SKIP_2) | instid1(VALU_DEP_1)
	v_cmp_gt_i64_e32 vcc_lo, v[5:6], v[13:14]
	s_waitcnt vmcnt(0)
	v_subrev_nc_u32_e32 v5, s26, v7
	v_ashrrev_i32_e32 v6, 31, v5
	v_dual_cndmask_b32 v2, v4, v2 :: v_dual_cndmask_b32 v1, v3, v1
	s_delay_alu instid0(VALU_DEP_1)
	v_cmpx_ne_u64_e64 v[1:2], v[5:6]
	s_cbranch_execz .LBB38_42
; %bb.48:                               ;   in Loop: Header=BB38_43 Depth=1
	v_lshlrev_b64 v[3:4], 4, v[13:14]
	v_lshlrev_b64 v[1:2], 4, v[1:2]
	;; [unrolled: 1-line block ×3, first 2 shown]
	s_mov_b32 s28, 0
	s_delay_alu instid0(VALU_DEP_3) | instskip(NEXT) | instid1(VALU_DEP_4)
	v_add_co_u32 v3, vcc_lo, s16, v3
	v_add_co_ci_u32_e32 v4, vcc_lo, s17, v4, vcc_lo
	s_delay_alu instid0(VALU_DEP_4)
	v_add_co_u32 v1, vcc_lo, s18, v1
	v_add_co_ci_u32_e32 v2, vcc_lo, s19, v2, vcc_lo
	global_load_b128 v[19:22], v[3:4], off
	v_add_co_u32 v15, vcc_lo, s10, v5
	global_load_b128 v[1:4], v[1:2], off
	v_add_co_ci_u32_e32 v16, vcc_lo, s11, v6, vcc_lo
	global_load_b64 v[7:8], v[15:16], off
	s_waitcnt vmcnt(2)
	v_xor_b32_e32 v5, 0x80000000, v22
	s_delay_alu instid0(VALU_DEP_1) | instskip(NEXT) | instid1(VALU_DEP_1)
	v_cndmask_b32_e64 v22, v22, v5, s2
	v_mul_f64 v[5:6], v[9:10], v[21:22]
	v_mul_f64 v[21:22], v[21:22], -v[11:12]
	s_delay_alu instid0(VALU_DEP_2) | instskip(NEXT) | instid1(VALU_DEP_2)
	v_fma_f64 v[17:18], v[11:12], v[19:20], v[5:6]
	v_fma_f64 v[19:20], v[9:10], v[19:20], v[21:22]
	s_waitcnt vmcnt(1)
	s_delay_alu instid0(VALU_DEP_2) | instskip(NEXT) | instid1(VALU_DEP_1)
	v_mul_f64 v[5:6], v[3:4], -v[17:18]
	v_fma_f64 v[21:22], v[19:20], v[1:2], v[5:6]
.LBB38_49:                              ;   Parent Loop BB38_43 Depth=1
                                        ; =>  This Inner Loop Header: Depth=2
	s_waitcnt vmcnt(0)
	s_delay_alu instid0(VALU_DEP_1)
	v_add_f64 v[5:6], v[7:8], v[21:22]
	global_atomic_cmpswap_b64 v[5:6], v[15:16], v[5:8], off glc
	s_waitcnt vmcnt(0)
	v_cmp_eq_u64_e32 vcc_lo, v[5:6], v[7:8]
	v_dual_mov_b32 v8, v6 :: v_dual_mov_b32 v7, v5
	s_or_b32 s28, vcc_lo, s28
	s_delay_alu instid0(SALU_CYCLE_1)
	s_and_not1_b32 exec_lo, exec_lo, s28
	s_cbranch_execnz .LBB38_49
; %bb.50:                               ;   in Loop: Header=BB38_43 Depth=1
	s_or_b32 exec_lo, exec_lo, s28
	global_load_b64 v[5:6], v[15:16], off offset:8
	v_mul_f64 v[3:4], v[3:4], v[19:20]
	s_mov_b32 s28, 0
	s_delay_alu instid0(VALU_DEP_1)
	v_fma_f64 v[1:2], v[17:18], v[1:2], v[3:4]
.LBB38_51:                              ;   Parent Loop BB38_43 Depth=1
                                        ; =>  This Inner Loop Header: Depth=2
	s_waitcnt vmcnt(0)
	s_delay_alu instid0(VALU_DEP_1)
	v_add_f64 v[3:4], v[5:6], v[1:2]
	global_atomic_cmpswap_b64 v[3:4], v[15:16], v[3:6], off offset:8 glc
	s_waitcnt vmcnt(0)
	v_cmp_eq_u64_e32 vcc_lo, v[3:4], v[5:6]
	v_dual_mov_b32 v6, v4 :: v_dual_mov_b32 v5, v3
	s_or_b32 s28, vcc_lo, s28
	s_delay_alu instid0(SALU_CYCLE_1)
	s_and_not1_b32 exec_lo, exec_lo, s28
	s_cbranch_execnz .LBB38_51
	s_branch .LBB38_42
.LBB38_52:
	s_or_b32 exec_lo, exec_lo, s8
	s_mov_b32 s3, 0
.LBB38_53:
	s_delay_alu instid0(SALU_CYCLE_1)
	s_and_b32 vcc_lo, exec_lo, s3
	s_cbranch_vccz .LBB38_216
; %bb.54:
	s_load_b32 s3, s[0:1], 0x7c
	s_mov_b32 s29, 0
	s_mov_b64 s[34:35], 0
	s_waitcnt lgkmcnt(0)
	s_and_b32 s28, s3, 0xffff
	s_delay_alu instid0(SALU_CYCLE_1) | instskip(NEXT) | instid1(VALU_DEP_1)
	v_cmp_lt_u64_e64 s3, s[28:29], s[24:25]
	s_and_b32 vcc_lo, exec_lo, s3
	s_cbranch_vccnz .LBB38_56
; %bb.55:
	v_cvt_f32_u32_e32 v1, s24
	s_sub_i32 s4, 0, s24
	s_delay_alu instid0(VALU_DEP_1) | instskip(SKIP_2) | instid1(VALU_DEP_1)
	v_rcp_iflag_f32_e32 v1, v1
	s_waitcnt_depctr 0xfff
	v_mul_f32_e32 v1, 0x4f7ffffe, v1
	v_cvt_u32_f32_e32 v1, v1
	s_delay_alu instid0(VALU_DEP_1) | instskip(NEXT) | instid1(VALU_DEP_1)
	v_readfirstlane_b32 s3, v1
	s_mul_i32 s4, s4, s3
	s_delay_alu instid0(SALU_CYCLE_1) | instskip(NEXT) | instid1(SALU_CYCLE_1)
	s_mul_hi_u32 s4, s3, s4
	s_add_i32 s3, s3, s4
	s_delay_alu instid0(SALU_CYCLE_1) | instskip(NEXT) | instid1(SALU_CYCLE_1)
	s_mul_hi_u32 s3, s28, s3
	s_mul_i32 s4, s3, s24
	s_add_i32 s5, s3, 1
	s_sub_i32 s4, s28, s4
	s_delay_alu instid0(SALU_CYCLE_1)
	s_sub_i32 s6, s4, s24
	s_cmp_ge_u32 s4, s24
	s_cselect_b32 s3, s5, s3
	s_cselect_b32 s4, s6, s4
	s_add_i32 s5, s3, 1
	s_cmp_ge_u32 s4, s24
	s_cselect_b32 s34, s5, s3
.LBB38_56:
	s_lshl_b64 s[4:5], s[20:21], 3
	s_delay_alu instid0(SALU_CYCLE_1) | instskip(SKIP_4) | instid1(VALU_DEP_1)
	s_add_u32 s30, s12, s4
	s_addc_u32 s31, s13, s5
	s_load_b64 s[8:9], s[30:31], 0x0
	s_load_b128 s[4:7], s[0:1], 0x8
	v_sub_co_u32 v1, s0, v0, s26
	v_sub_co_ci_u32_e64 v2, null, 0, 0, s0
	s_waitcnt lgkmcnt(0)
	s_delay_alu instid0(VALU_DEP_2) | instskip(NEXT) | instid1(VALU_DEP_2)
	v_add_co_u32 v14, vcc_lo, s8, v1
	v_add_co_ci_u32_e32 v15, vcc_lo, s9, v2, vcc_lo
	v_mov_b32_e32 v1, 0
	s_delay_alu instid0(VALU_DEP_3) | instskip(NEXT) | instid1(VALU_DEP_3)
	v_add_co_u32 v16, vcc_lo, 0x300, v14
	v_add_co_ci_u32_e32 v17, vcc_lo, 0, v15, vcc_lo
	s_delay_alu instid0(VALU_DEP_1) | instskip(SKIP_1) | instid1(SALU_CYCLE_1)
	v_cmp_le_i64_e32 vcc_lo, s[4:5], v[16:17]
	s_and_saveexec_b32 s0, vcc_lo
	s_xor_b32 s3, exec_lo, s0
	s_cbranch_execnz .LBB38_59
; %bb.57:
	s_and_not1_saveexec_b32 s1, s3
	s_cbranch_execnz .LBB38_63
.LBB38_58:
	s_or_b32 exec_lo, exec_lo, s1
	s_delay_alu instid0(SALU_CYCLE_1)
	s_mov_b32 s1, exec_lo
	v_cmpx_gt_i64_e64 s[6:7], v[0:1]
	s_cbranch_execnz .LBB38_64
	s_branch .LBB38_66
.LBB38_59:
	s_lshl_b64 s[0:1], s[22:23], 3
	s_mov_b32 s27, exec_lo
	s_add_u32 s0, s12, s0
	s_addc_u32 s1, s13, s1
	s_load_b64 s[0:1], s[0:1], 0x0
	s_waitcnt lgkmcnt(0)
	s_sub_u32 s4, s0, s8
	s_subb_u32 s5, s1, s9
	s_delay_alu instid0(SALU_CYCLE_1)
	v_cmpx_gt_i64_e64 s[4:5], v[0:1]
	s_cbranch_execz .LBB38_62
; %bb.60:
	v_lshlrev_b64 v[2:3], 4, v[14:15]
	v_dual_mov_b32 v6, v26 :: v_dual_mov_b32 v5, v1
	v_mov_b32_e32 v4, v0
	s_delay_alu instid0(VALU_DEP_3) | instskip(NEXT) | instid1(VALU_DEP_1)
	v_add_co_u32 v2, s0, v2, s16
	v_add_co_ci_u32_e64 v3, s0, s17, v3, s0
	s_delay_alu instid0(VALU_DEP_2) | instskip(NEXT) | instid1(VALU_DEP_1)
	v_add_co_u32 v2, s0, v2, 8
	v_add_co_ci_u32_e64 v3, s0, 0, v3, s0
	s_set_inst_prefetch_distance 0x1
	.p2align	6
.LBB38_61:                              ; =>This Inner Loop Header: Depth=1
	global_load_b128 v[18:21], v[2:3], off offset:-8
	v_add_co_u32 v4, s0, 0x100, v4
	s_delay_alu instid0(VALU_DEP_1) | instskip(SKIP_1) | instid1(VALU_DEP_1)
	v_add_co_ci_u32_e64 v5, s0, 0, v5, s0
	v_add_co_u32 v2, s0, 0x1000, v2
	v_add_co_ci_u32_e64 v3, s0, 0, v3, s0
	s_delay_alu instid0(VALU_DEP_3) | instskip(NEXT) | instid1(VALU_DEP_1)
	v_cmp_le_i64_e64 s1, s[4:5], v[4:5]
	s_or_b32 s29, s1, s29
	s_waitcnt vmcnt(0)
	v_xor_b32_e32 v7, 0x80000000, v21
	s_delay_alu instid0(VALU_DEP_1) | instskip(NEXT) | instid1(VALU_DEP_1)
	v_cndmask_b32_e64 v21, v21, v7, s2
	v_mul_f64 v[7:8], v[20:21], -v[11:12]
	v_mul_f64 v[22:23], v[9:10], v[20:21]
	s_delay_alu instid0(VALU_DEP_2) | instskip(NEXT) | instid1(VALU_DEP_2)
	v_fma_f64 v[20:21], v[9:10], v[18:19], v[7:8]
	v_fma_f64 v[22:23], v[11:12], v[18:19], v[22:23]
	ds_store_b128 v6, v[20:23]
	v_add_nc_u32_e32 v6, 0x1000, v6
	s_and_not1_b32 exec_lo, exec_lo, s29
	s_cbranch_execnz .LBB38_61
.LBB38_62:
	s_set_inst_prefetch_distance 0x2
	s_or_b32 exec_lo, exec_lo, s27
                                        ; implicit-def: $vgpr11_vgpr12
                                        ; implicit-def: $vgpr9_vgpr10
	s_and_not1_saveexec_b32 s1, s3
	s_cbranch_execz .LBB38_58
.LBB38_63:
	v_lshlrev_b64 v[2:3], 4, v[14:15]
	s_delay_alu instid0(VALU_DEP_1) | instskip(NEXT) | instid1(VALU_DEP_1)
	v_add_co_u32 v6, s0, s16, v2
	v_add_co_ci_u32_e64 v7, s0, s17, v3, s0
	s_delay_alu instid0(VALU_DEP_2) | instskip(NEXT) | instid1(VALU_DEP_1)
	v_add_co_u32 v22, s0, v6, 0x2000
	v_add_co_ci_u32_e64 v23, s0, 0, v7, s0
	global_load_b128 v[2:5], v[6:7], off
	v_add_co_u32 v6, s0, 0x3000, v6
	s_delay_alu instid0(VALU_DEP_1)
	v_add_co_ci_u32_e64 v7, s0, 0, v7, s0
	s_clause 0x2
	global_load_b128 v[18:21], v[22:23], off offset:-4096
	global_load_b128 v[22:25], v[22:23], off
	global_load_b128 v[27:30], v[6:7], off
	s_waitcnt vmcnt(3)
	v_xor_b32_e32 v6, 0x80000000, v5
	s_waitcnt vmcnt(2)
	v_xor_b32_e32 v7, 0x80000000, v21
	;; [unrolled: 2-line block ×4, first 2 shown]
	v_cndmask_b32_e64 v5, v5, v6, s2
	v_cndmask_b32_e64 v21, v21, v7, s2
	;; [unrolled: 1-line block ×3, first 2 shown]
	s_delay_alu instid0(VALU_DEP_4) | instskip(NEXT) | instid1(VALU_DEP_4)
	v_cndmask_b32_e64 v30, v30, v13, s2
	v_mul_f64 v[6:7], v[4:5], -v[11:12]
	v_mul_f64 v[31:32], v[9:10], v[4:5]
	v_mul_f64 v[33:34], v[20:21], -v[11:12]
	v_mul_f64 v[20:21], v[9:10], v[20:21]
	;; [unrolled: 2-line block ×4, first 2 shown]
	v_fma_f64 v[4:5], v[9:10], v[2:3], v[6:7]
	v_fma_f64 v[6:7], v[11:12], v[2:3], v[31:32]
	v_fma_f64 v[29:30], v[9:10], v[18:19], v[33:34]
	v_fma_f64 v[31:32], v[11:12], v[18:19], v[20:21]
	v_fma_f64 v[18:19], v[9:10], v[22:23], v[35:36]
	v_fma_f64 v[20:21], v[11:12], v[22:23], v[24:25]
	v_fma_f64 v[8:9], v[9:10], v[27:28], v[37:38]
	v_fma_f64 v[10:11], v[11:12], v[27:28], v[39:40]
	ds_store_b128 v26, v[4:7]
	ds_store_b128 v26, v[29:32] offset:4096
	ds_store_b128 v26, v[18:21] offset:8192
	;; [unrolled: 1-line block ×3, first 2 shown]
	s_or_b32 exec_lo, exec_lo, s1
	s_delay_alu instid0(SALU_CYCLE_1)
	s_mov_b32 s1, exec_lo
	v_cmpx_gt_i64_e64 s[6:7], v[0:1]
	s_cbranch_execz .LBB38_66
.LBB38_64:
	s_mov_b32 s2, 0
	v_lshl_add_u32 v8, v0, 4, 0x4000
	s_mov_b32 s3, s2
	s_mov_b32 s4, s2
	s_mov_b32 s5, s2
	v_dual_mov_b32 v2, s2 :: v_dual_mov_b32 v3, s3
	v_dual_mov_b32 v4, s4 :: v_dual_mov_b32 v5, s5
	;; [unrolled: 1-line block ×3, first 2 shown]
.LBB38_65:                              ; =>This Inner Loop Header: Depth=1
	s_delay_alu instid0(VALU_DEP_1) | instskip(NEXT) | instid1(VALU_DEP_1)
	v_add_co_u32 v6, s0, 0x100, v6
	v_add_co_ci_u32_e64 v7, s0, 0, v7, s0
	ds_store_2addr_b64 v8, v[2:3], v[4:5] offset1:1
	v_add_nc_u32_e32 v8, 0x1000, v8
	v_cmp_le_i64_e64 s0, s[6:7], v[6:7]
	s_delay_alu instid0(VALU_DEP_1) | instskip(NEXT) | instid1(SALU_CYCLE_1)
	s_or_b32 s2, s0, s2
	s_and_not1_b32 exec_lo, exec_lo, s2
	s_cbranch_execnz .LBB38_65
.LBB38_66:
	s_or_b32 exec_lo, exec_lo, s1
	v_cmp_ge_i64_e64 s0, s[22:23], s[6:7]
	s_sub_u32 s1, s22, s6
	s_subb_u32 s2, s23, s7
	s_waitcnt lgkmcnt(0)
	s_barrier
	buffer_gl0_inv
	s_and_b32 s0, s0, exec_lo
	s_cselect_b32 s3, s2, 0
	s_cselect_b32 s2, s1, 0
	s_and_saveexec_b32 s0, vcc_lo
	s_delay_alu instid0(SALU_CYCLE_1)
	s_xor_b32 s27, exec_lo, s0
	s_cbranch_execz .LBB38_91
; %bb.67:
	s_lshl_b64 s[0:1], s[22:23], 3
	s_mov_b32 s29, exec_lo
	s_add_u32 s0, s12, s0
	s_addc_u32 s1, s13, s1
	s_load_b64 s[0:1], s[0:1], 0x0
	s_waitcnt lgkmcnt(0)
	s_sub_u32 s4, s0, s8
	s_subb_u32 s5, s1, s9
	s_delay_alu instid0(SALU_CYCLE_1)
	v_cmpx_gt_i64_e64 s[4:5], v[0:1]
	s_cbranch_execz .LBB38_90
; %bb.68:
	s_add_u32 s16, s22, -1
	s_addc_u32 s17, s23, -1
	s_add_u32 s36, s22, -2
	v_cmp_gt_i64_e64 s33, s[16:17], s[20:21]
	s_addc_u32 s37, s23, -1
	s_mov_b64 s[38:39], 0
	s_cmp_lg_u64 s[36:37], s[20:21]
	s_cselect_b32 s35, -1, 0
	s_delay_alu instid0(VALU_DEP_1) | instid1(SALU_CYCLE_1)
	s_and_b32 s33, s33, s35
	s_sub_u32 s36, s0, s26
	s_subb_u32 s37, s1, 0
	s_mov_b32 s1, 0
	s_branch .LBB38_71
.LBB38_69:                              ;   in Loop: Header=BB38_71 Depth=1
	s_or_b32 exec_lo, exec_lo, s0
.LBB38_70:                              ;   in Loop: Header=BB38_71 Depth=1
	s_delay_alu instid0(SALU_CYCLE_1) | instskip(SKIP_3) | instid1(VALU_DEP_1)
	s_or_b32 exec_lo, exec_lo, s35
	v_lshlrev_b64 v[6:7], 4, v[16:17]
	s_add_u32 s38, s38, 0x100
	s_addc_u32 s39, s39, 0
	v_add_co_u32 v6, vcc_lo, s18, v6
	s_delay_alu instid0(VALU_DEP_2) | instskip(SKIP_4) | instid1(VALU_DEP_2)
	v_add_co_ci_u32_e32 v7, vcc_lo, s19, v7, vcc_lo
	global_load_b128 v[6:9], v[6:7], off
	s_waitcnt vmcnt(0)
	v_mul_f64 v[10:11], v[8:9], v[18:19]
	v_mul_f64 v[8:9], v[8:9], v[2:3]
	v_fma_f64 v[2:3], v[2:3], v[6:7], v[10:11]
	s_delay_alu instid0(VALU_DEP_2) | instskip(SKIP_1) | instid1(VALU_DEP_1)
	v_fma_f64 v[4:5], v[4:5], v[6:7], v[8:9]
	v_add_co_u32 v6, s0, s38, v0
	v_add_co_ci_u32_e64 v7, null, s39, 0, s0
	s_delay_alu instid0(VALU_DEP_1)
	v_cmp_le_i64_e32 vcc_lo, s[4:5], v[6:7]
	v_lshlrev_b32_e32 v6, 4, v24
	s_or_b32 s1, vcc_lo, s1
	ds_store_b128 v6, v[2:5]
	s_and_not1_b32 exec_lo, exec_lo, s1
	s_cbranch_execz .LBB38_90
.LBB38_71:                              ; =>This Loop Header: Depth=1
                                        ;     Child Loop BB38_73 Depth 2
                                        ;     Child Loop BB38_80 Depth 2
	;; [unrolled: 1-line block ×5, first 2 shown]
	v_add_co_u32 v2, vcc_lo, s38, v14
	v_add_co_ci_u32_e32 v3, vcc_lo, s39, v15, vcc_lo
	v_dual_mov_b32 v4, s20 :: v_dual_mov_b32 v5, s21
	v_dual_mov_b32 v6, s16 :: v_dual_mov_b32 v7, s17
	s_and_not1_b32 vcc_lo, exec_lo, s33
	s_cbranch_vccnz .LBB38_75
; %bb.72:                               ;   in Loop: Header=BB38_71 Depth=1
	v_dual_mov_b32 v4, s20 :: v_dual_mov_b32 v5, s21
	v_dual_mov_b32 v6, s16 :: v_dual_mov_b32 v7, s17
	s_mov_b32 s35, 0
	s_set_inst_prefetch_distance 0x1
	.p2align	6
.LBB38_73:                              ;   Parent Loop BB38_71 Depth=1
                                        ; =>  This Inner Loop Header: Depth=2
	s_delay_alu instid0(VALU_DEP_1) | instskip(NEXT) | instid1(VALU_DEP_2)
	v_add_co_u32 v8, vcc_lo, v6, v4
	v_add_co_ci_u32_e32 v9, vcc_lo, v7, v5, vcc_lo
	s_delay_alu instid0(VALU_DEP_1) | instskip(NEXT) | instid1(VALU_DEP_1)
	v_lshrrev_b32_e32 v10, 31, v9
	v_add_co_u32 v8, vcc_lo, v8, v10
	v_add_co_ci_u32_e32 v9, vcc_lo, 0, v9, vcc_lo
	s_delay_alu instid0(VALU_DEP_1) | instskip(NEXT) | instid1(VALU_DEP_1)
	v_ashrrev_i64 v[8:9], 1, v[8:9]
	v_lshlrev_b64 v[10:11], 3, v[8:9]
	s_delay_alu instid0(VALU_DEP_1) | instskip(NEXT) | instid1(VALU_DEP_2)
	v_add_co_u32 v10, vcc_lo, s12, v10
	v_add_co_ci_u32_e32 v11, vcc_lo, s13, v11, vcc_lo
	global_load_b64 v[10:11], v[10:11], off
	s_waitcnt vmcnt(0)
	v_sub_co_u32 v10, vcc_lo, v10, s26
	v_subrev_co_ci_u32_e32 v11, vcc_lo, 0, v11, vcc_lo
	s_delay_alu instid0(VALU_DEP_1) | instskip(SKIP_2) | instid1(VALU_DEP_2)
	v_cmp_gt_i64_e32 vcc_lo, v[10:11], v[2:3]
	v_dual_cndmask_b32 v7, v7, v9 :: v_dual_cndmask_b32 v6, v6, v8
	v_dual_cndmask_b32 v5, v9, v5 :: v_dual_cndmask_b32 v4, v8, v4
	v_add_co_u32 v8, vcc_lo, v6, -1
	s_delay_alu instid0(VALU_DEP_3) | instskip(NEXT) | instid1(VALU_DEP_3)
	v_add_co_ci_u32_e32 v9, vcc_lo, -1, v7, vcc_lo
	v_cmp_ge_i64_e32 vcc_lo, v[4:5], v[6:7]
	s_delay_alu instid0(VALU_DEP_2) | instskip(NEXT) | instid1(VALU_DEP_1)
	v_cmp_eq_u64_e64 s0, v[4:5], v[8:9]
	s_or_b32 s0, vcc_lo, s0
	s_delay_alu instid0(SALU_CYCLE_1) | instskip(NEXT) | instid1(SALU_CYCLE_1)
	s_and_b32 s0, exec_lo, s0
	s_or_b32 s35, s0, s35
	s_delay_alu instid0(SALU_CYCLE_1)
	s_and_not1_b32 exec_lo, exec_lo, s35
	s_cbranch_execnz .LBB38_73
; %bb.74:                               ;   in Loop: Header=BB38_71 Depth=1
	s_set_inst_prefetch_distance 0x2
	s_or_b32 exec_lo, exec_lo, s35
.LBB38_75:                              ;   in Loop: Header=BB38_71 Depth=1
	s_delay_alu instid0(VALU_DEP_1) | instskip(SKIP_3) | instid1(VALU_DEP_4)
	v_lshlrev_b64 v[8:9], 3, v[6:7]
	v_lshlrev_b64 v[10:11], 2, v[2:3]
	v_add_co_u32 v24, null, s38, v0
	v_cmp_le_i64_e64 s0, s[36:37], v[2:3]
                                        ; implicit-def: $vgpr18_vgpr19
	v_add_co_u32 v8, vcc_lo, s12, v8
	v_add_co_ci_u32_e32 v9, vcc_lo, s13, v9, vcc_lo
	v_add_co_u32 v10, vcc_lo, s14, v10
	v_add_co_ci_u32_e32 v11, vcc_lo, s15, v11, vcc_lo
	global_load_b64 v[8:9], v[8:9], off
	global_load_b32 v10, v[10:11], off
	s_waitcnt vmcnt(1)
	v_sub_co_u32 v8, vcc_lo, v8, s26
	v_subrev_co_ci_u32_e32 v9, vcc_lo, 0, v9, vcc_lo
	s_waitcnt vmcnt(0)
	v_subrev_nc_u32_e32 v16, s26, v10
	v_lshlrev_b32_e32 v10, 4, v24
	s_delay_alu instid0(VALU_DEP_3) | instskip(NEXT) | instid1(VALU_DEP_3)
	v_cmp_gt_i64_e32 vcc_lo, v[8:9], v[2:3]
                                        ; implicit-def: $vgpr2_vgpr3
	v_ashrrev_i32_e32 v17, 31, v16
	v_dual_cndmask_b32 v7, v7, v5 :: v_dual_cndmask_b32 v6, v6, v4
	s_delay_alu instid0(VALU_DEP_1) | instskip(SKIP_1) | instid1(SALU_CYCLE_1)
	v_cmp_eq_u64_e32 vcc_lo, v[6:7], v[16:17]
	s_or_b32 s0, vcc_lo, s0
	s_and_saveexec_b32 s35, s0
	s_delay_alu instid0(SALU_CYCLE_1)
	s_xor_b32 s0, exec_lo, s35
	s_cbranch_execz .LBB38_77
; %bb.76:                               ;   in Loop: Header=BB38_71 Depth=1
	ds_load_b128 v[2:5], v10
                                        ; implicit-def: $vgpr6_vgpr7
                                        ; implicit-def: $vgpr10
	s_waitcnt lgkmcnt(0)
	v_xor_b32_e32 v19, 0x80000000, v5
	v_mov_b32_e32 v18, v4
.LBB38_77:                              ;   in Loop: Header=BB38_71 Depth=1
	s_and_not1_saveexec_b32 s35, s0
	s_cbranch_execz .LBB38_70
; %bb.78:                               ;   in Loop: Header=BB38_71 Depth=1
	v_cmp_gt_i64_e32 vcc_lo, s[2:3], v[16:17]
	v_cmp_le_i64_e64 s0, s[22:23], v[16:17]
	v_lshlrev_b64 v[6:7], 4, v[6:7]
                                        ; implicit-def: $vgpr2_vgpr3
                                        ; implicit-def: $vgpr18_vgpr19
	s_delay_alu instid0(VALU_DEP_2) | instskip(NEXT) | instid1(SALU_CYCLE_1)
	s_or_b32 s0, vcc_lo, s0
	s_and_saveexec_b32 s40, s0
	s_delay_alu instid0(SALU_CYCLE_1)
	s_xor_b32 s0, exec_lo, s40
	s_cbranch_execz .LBB38_84
; %bb.79:                               ;   in Loop: Header=BB38_71 Depth=1
	s_delay_alu instid0(VALU_DEP_1) | instskip(SKIP_4) | instid1(VALU_DEP_1)
	v_add_co_u32 v2, vcc_lo, s18, v6
	v_add_co_ci_u32_e32 v3, vcc_lo, s19, v7, vcc_lo
	s_mov_b32 s40, 0
	global_load_b128 v[6:9], v[2:3], off
	v_lshlrev_b64 v[2:3], 4, v[16:17]
	v_add_co_u32 v20, vcc_lo, s10, v2
	s_delay_alu instid0(VALU_DEP_2)
	v_add_co_ci_u32_e32 v21, vcc_lo, s11, v3, vcc_lo
	ds_load_b128 v[2:5], v10
	global_load_b64 v[12:13], v[20:21], off
	s_waitcnt lgkmcnt(0)
	v_xor_b32_e32 v19, 0x80000000, v5
	v_mov_b32_e32 v18, v4
	s_waitcnt vmcnt(1)
	v_mul_f64 v[10:11], v[8:9], -v[4:5]
	s_delay_alu instid0(VALU_DEP_1)
	v_fma_f64 v[22:23], v[2:3], v[6:7], v[10:11]
.LBB38_80:                              ;   Parent Loop BB38_71 Depth=1
                                        ; =>  This Inner Loop Header: Depth=2
	s_waitcnt vmcnt(0)
	s_delay_alu instid0(VALU_DEP_1)
	v_add_f64 v[10:11], v[12:13], v[22:23]
	global_atomic_cmpswap_b64 v[10:11], v[20:21], v[10:13], off glc
	s_waitcnt vmcnt(0)
	v_cmp_eq_u64_e32 vcc_lo, v[10:11], v[12:13]
	v_dual_mov_b32 v13, v11 :: v_dual_mov_b32 v12, v10
	s_or_b32 s40, vcc_lo, s40
	s_delay_alu instid0(SALU_CYCLE_1)
	s_and_not1_b32 exec_lo, exec_lo, s40
	s_cbranch_execnz .LBB38_80
; %bb.81:                               ;   in Loop: Header=BB38_71 Depth=1
	s_or_b32 exec_lo, exec_lo, s40
	global_load_b64 v[10:11], v[20:21], off offset:8
	v_mul_f64 v[8:9], v[8:9], v[2:3]
	s_mov_b32 s40, 0
	s_delay_alu instid0(VALU_DEP_1)
	v_fma_f64 v[6:7], v[4:5], v[6:7], v[8:9]
.LBB38_82:                              ;   Parent Loop BB38_71 Depth=1
                                        ; =>  This Inner Loop Header: Depth=2
	s_waitcnt vmcnt(0)
	s_delay_alu instid0(VALU_DEP_1)
	v_add_f64 v[8:9], v[10:11], v[6:7]
	global_atomic_cmpswap_b64 v[8:9], v[20:21], v[8:11], off offset:8 glc
	s_waitcnt vmcnt(0)
	v_cmp_eq_u64_e32 vcc_lo, v[8:9], v[10:11]
	v_dual_mov_b32 v11, v9 :: v_dual_mov_b32 v10, v8
	s_or_b32 s40, vcc_lo, s40
	s_delay_alu instid0(SALU_CYCLE_1)
	s_and_not1_b32 exec_lo, exec_lo, s40
	s_cbranch_execnz .LBB38_82
; %bb.83:                               ;   in Loop: Header=BB38_71 Depth=1
	s_or_b32 exec_lo, exec_lo, s40
                                        ; implicit-def: $vgpr6_vgpr7
                                        ; implicit-def: $vgpr10
.LBB38_84:                              ;   in Loop: Header=BB38_71 Depth=1
	s_and_not1_saveexec_b32 s0, s0
	s_cbranch_execz .LBB38_69
; %bb.85:                               ;   in Loop: Header=BB38_71 Depth=1
	v_add_co_u32 v2, vcc_lo, s18, v6
	v_add_co_ci_u32_e32 v3, vcc_lo, s19, v7, vcc_lo
	v_subrev_nc_u32_e32 v12, s2, v16
	s_mov_b32 s40, 0
	global_load_b128 v[6:9], v[2:3], off
	ds_load_b128 v[2:5], v10
	v_lshl_add_u32 v20, v12, 4, 0x4000
	ds_load_b64 v[12:13], v20
	s_waitcnt lgkmcnt(1)
	v_xor_b32_e32 v19, 0x80000000, v5
	v_mov_b32_e32 v18, v4
	s_waitcnt vmcnt(0)
	v_mul_f64 v[10:11], v[8:9], -v[4:5]
	s_delay_alu instid0(VALU_DEP_1)
	v_fma_f64 v[10:11], v[2:3], v[6:7], v[10:11]
.LBB38_86:                              ;   Parent Loop BB38_71 Depth=1
                                        ; =>  This Inner Loop Header: Depth=2
	s_waitcnt lgkmcnt(0)
	s_delay_alu instid0(VALU_DEP_1)
	v_add_f64 v[21:22], v[12:13], v[10:11]
	ds_cmpstore_rtn_b64 v[21:22], v20, v[21:22], v[12:13]
	s_waitcnt lgkmcnt(0)
	v_cmp_eq_u64_e32 vcc_lo, v[21:22], v[12:13]
	v_dual_mov_b32 v12, v21 :: v_dual_mov_b32 v13, v22
	s_or_b32 s40, vcc_lo, s40
	s_delay_alu instid0(SALU_CYCLE_1)
	s_and_not1_b32 exec_lo, exec_lo, s40
	s_cbranch_execnz .LBB38_86
; %bb.87:                               ;   in Loop: Header=BB38_71 Depth=1
	s_or_b32 exec_lo, exec_lo, s40
	v_mul_f64 v[8:9], v[8:9], v[2:3]
	s_mov_b32 s40, 0
	s_delay_alu instid0(VALU_DEP_1)
	v_fma_f64 v[6:7], v[4:5], v[6:7], v[8:9]
	ds_load_b64 v[8:9], v20 offset:8
.LBB38_88:                              ;   Parent Loop BB38_71 Depth=1
                                        ; =>  This Inner Loop Header: Depth=2
	s_waitcnt lgkmcnt(0)
	v_add_f64 v[10:11], v[8:9], v[6:7]
	ds_cmpstore_rtn_b64 v[10:11], v20, v[10:11], v[8:9] offset:8
	s_waitcnt lgkmcnt(0)
	v_cmp_eq_u64_e32 vcc_lo, v[10:11], v[8:9]
	v_dual_mov_b32 v8, v10 :: v_dual_mov_b32 v9, v11
	s_or_b32 s40, vcc_lo, s40
	s_delay_alu instid0(SALU_CYCLE_1)
	s_and_not1_b32 exec_lo, exec_lo, s40
	s_cbranch_execnz .LBB38_88
; %bb.89:                               ;   in Loop: Header=BB38_71 Depth=1
	s_or_b32 exec_lo, exec_lo, s40
	s_branch .LBB38_69
.LBB38_90:
	s_or_b32 exec_lo, exec_lo, s29
                                        ; implicit-def: $vgpr16_vgpr17
                                        ; implicit-def: $vgpr14
.LBB38_91:
	s_and_not1_saveexec_b32 s1, s27
	s_cbranch_execz .LBB38_165
; %bb.92:
	s_add_u32 s4, s22, -1
	s_addc_u32 s5, s23, -1
	s_add_u32 s16, s22, -2
	v_cmp_le_i64_e64 s0, s[4:5], s[20:21]
	s_addc_u32 s17, s23, -1
	v_dual_mov_b32 v2, s20 :: v_dual_mov_b32 v3, s21
	s_cmp_eq_u64 s[16:17], s[20:21]
	v_dual_mov_b32 v4, s4 :: v_dual_mov_b32 v5, s5
	s_cselect_b32 s16, -1, 0
	s_delay_alu instid0(SALU_CYCLE_1) | instskip(NEXT) | instid1(SALU_CYCLE_1)
	s_or_b32 s16, s0, s16
	s_and_b32 vcc_lo, exec_lo, s16
	s_cbranch_vccnz .LBB38_96
; %bb.93:
	v_dual_mov_b32 v2, s20 :: v_dual_mov_b32 v3, s21
	v_dual_mov_b32 v4, s4 :: v_dual_mov_b32 v5, s5
	s_mov_b32 s17, 0
	s_set_inst_prefetch_distance 0x1
	.p2align	6
.LBB38_94:                              ; =>This Inner Loop Header: Depth=1
	s_delay_alu instid0(VALU_DEP_1) | instskip(NEXT) | instid1(VALU_DEP_2)
	v_add_co_u32 v6, vcc_lo, v4, v2
	v_add_co_ci_u32_e32 v7, vcc_lo, v5, v3, vcc_lo
	s_delay_alu instid0(VALU_DEP_1) | instskip(NEXT) | instid1(VALU_DEP_1)
	v_lshrrev_b32_e32 v8, 31, v7
	v_add_co_u32 v6, vcc_lo, v6, v8
	v_add_co_ci_u32_e32 v7, vcc_lo, 0, v7, vcc_lo
	s_delay_alu instid0(VALU_DEP_1) | instskip(NEXT) | instid1(VALU_DEP_1)
	v_ashrrev_i64 v[6:7], 1, v[6:7]
	v_lshlrev_b64 v[8:9], 3, v[6:7]
	s_delay_alu instid0(VALU_DEP_1) | instskip(NEXT) | instid1(VALU_DEP_2)
	v_add_co_u32 v8, vcc_lo, s12, v8
	v_add_co_ci_u32_e32 v9, vcc_lo, s13, v9, vcc_lo
	global_load_b64 v[8:9], v[8:9], off
	s_waitcnt vmcnt(0)
	v_sub_co_u32 v8, vcc_lo, v8, s26
	v_subrev_co_ci_u32_e32 v9, vcc_lo, 0, v9, vcc_lo
	s_delay_alu instid0(VALU_DEP_1) | instskip(SKIP_2) | instid1(VALU_DEP_2)
	v_cmp_gt_i64_e32 vcc_lo, v[8:9], v[14:15]
	v_dual_cndmask_b32 v5, v5, v7 :: v_dual_cndmask_b32 v4, v4, v6
	v_dual_cndmask_b32 v3, v7, v3 :: v_dual_cndmask_b32 v2, v6, v2
	v_add_co_u32 v6, vcc_lo, v4, -1
	s_delay_alu instid0(VALU_DEP_3) | instskip(NEXT) | instid1(VALU_DEP_3)
	v_add_co_ci_u32_e32 v7, vcc_lo, -1, v5, vcc_lo
	v_cmp_ge_i64_e32 vcc_lo, v[2:3], v[4:5]
	s_delay_alu instid0(VALU_DEP_2) | instskip(NEXT) | instid1(VALU_DEP_1)
	v_cmp_eq_u64_e64 s0, v[2:3], v[6:7]
	s_or_b32 s0, vcc_lo, s0
	s_delay_alu instid0(SALU_CYCLE_1) | instskip(NEXT) | instid1(SALU_CYCLE_1)
	s_and_b32 s0, exec_lo, s0
	s_or_b32 s17, s0, s17
	s_delay_alu instid0(SALU_CYCLE_1)
	s_and_not1_b32 exec_lo, exec_lo, s17
	s_cbranch_execnz .LBB38_94
; %bb.95:
	s_set_inst_prefetch_distance 0x2
	s_or_b32 exec_lo, exec_lo, s17
.LBB38_96:
	v_lshlrev_b64 v[6:7], 3, v[4:5]
	v_lshlrev_b64 v[8:9], 2, v[14:15]
	s_xor_b32 s16, s16, -1
	s_mov_b32 s17, exec_lo
	s_delay_alu instid0(VALU_DEP_2) | instskip(NEXT) | instid1(VALU_DEP_3)
	v_add_co_u32 v6, vcc_lo, s12, v6
	v_add_co_ci_u32_e32 v7, vcc_lo, s13, v7, vcc_lo
	s_delay_alu instid0(VALU_DEP_3)
	v_add_co_u32 v18, vcc_lo, s14, v8
	v_add_co_ci_u32_e32 v19, vcc_lo, s15, v9, vcc_lo
	global_load_b64 v[6:7], v[6:7], off
	s_lshl_b64 s[14:15], s[22:23], 3
	global_load_b32 v8, v[18:19], off
	s_add_u32 s14, s12, s14
	s_addc_u32 s15, s13, s15
	s_waitcnt vmcnt(1)
	v_sub_co_u32 v6, vcc_lo, v6, s26
	v_subrev_co_ci_u32_e32 v7, vcc_lo, 0, v7, vcc_lo
	s_waitcnt vmcnt(0)
	v_subrev_nc_u32_e32 v20, s26, v8
	s_delay_alu instid0(VALU_DEP_2) | instskip(NEXT) | instid1(VALU_DEP_2)
	v_cmp_gt_i64_e32 vcc_lo, v[6:7], v[14:15]
	v_ashrrev_i32_e32 v21, 31, v20
	v_dual_cndmask_b32 v3, v5, v3 :: v_dual_cndmask_b32 v2, v4, v2
	s_delay_alu instid0(VALU_DEP_1)
	v_cmpx_ne_u64_e64 v[2:3], v[20:21]
	s_cbranch_execz .LBB38_110
; %bb.97:
	s_load_b64 s[36:37], s[14:15], 0x0
	s_waitcnt lgkmcnt(0)
	s_sub_u32 s36, s36, s26
	s_subb_u32 s37, s37, 0
	s_delay_alu instid0(SALU_CYCLE_1)
	v_cmp_gt_i64_e32 vcc_lo, s[36:37], v[14:15]
	s_and_b32 exec_lo, exec_lo, vcc_lo
	s_cbranch_execz .LBB38_110
; %bb.98:
	v_cmp_gt_i64_e32 vcc_lo, s[2:3], v[20:21]
	v_cmp_le_i64_e64 s0, s[22:23], v[20:21]
	v_lshlrev_b64 v[2:3], 4, v[2:3]
	s_delay_alu instid0(VALU_DEP_2) | instskip(NEXT) | instid1(SALU_CYCLE_1)
	s_or_b32 s0, vcc_lo, s0
	s_and_saveexec_b32 s27, s0
	s_delay_alu instid0(SALU_CYCLE_1)
	s_xor_b32 s0, exec_lo, s27
	s_cbranch_execz .LBB38_104
; %bb.99:
	s_delay_alu instid0(VALU_DEP_1)
	v_add_co_u32 v2, vcc_lo, s18, v2
	v_add_co_ci_u32_e32 v3, vcc_lo, s19, v3, vcc_lo
	v_lshlrev_b64 v[6:7], 4, v[20:21]
	s_mov_b32 s27, 0
	global_load_b128 v[2:5], v[2:3], off
	v_add_co_u32 v22, vcc_lo, s10, v6
	v_add_co_ci_u32_e32 v23, vcc_lo, s11, v7, vcc_lo
	ds_load_b128 v[6:9], v26
	global_load_b64 v[12:13], v[22:23], off
	s_waitcnt vmcnt(1) lgkmcnt(0)
	v_mul_f64 v[10:11], v[4:5], -v[8:9]
	s_delay_alu instid0(VALU_DEP_1)
	v_fma_f64 v[24:25], v[6:7], v[2:3], v[10:11]
.LBB38_100:                             ; =>This Inner Loop Header: Depth=1
	s_waitcnt vmcnt(0)
	s_delay_alu instid0(VALU_DEP_1)
	v_add_f64 v[10:11], v[12:13], v[24:25]
	global_atomic_cmpswap_b64 v[10:11], v[22:23], v[10:13], off glc
	s_waitcnt vmcnt(0)
	v_cmp_eq_u64_e32 vcc_lo, v[10:11], v[12:13]
	v_dual_mov_b32 v13, v11 :: v_dual_mov_b32 v12, v10
	s_or_b32 s27, vcc_lo, s27
	s_delay_alu instid0(SALU_CYCLE_1)
	s_and_not1_b32 exec_lo, exec_lo, s27
	s_cbranch_execnz .LBB38_100
; %bb.101:
	s_or_b32 exec_lo, exec_lo, s27
	global_load_b64 v[10:11], v[22:23], off offset:8
	v_mul_f64 v[4:5], v[4:5], v[6:7]
	s_mov_b32 s27, 0
	s_delay_alu instid0(VALU_DEP_1)
	v_fma_f64 v[2:3], v[8:9], v[2:3], v[4:5]
.LBB38_102:                             ; =>This Inner Loop Header: Depth=1
	s_waitcnt vmcnt(0)
	s_delay_alu instid0(VALU_DEP_1)
	v_add_f64 v[8:9], v[10:11], v[2:3]
	global_atomic_cmpswap_b64 v[4:5], v[22:23], v[8:11], off offset:8 glc
	s_waitcnt vmcnt(0)
	v_cmp_eq_u64_e32 vcc_lo, v[4:5], v[10:11]
	v_dual_mov_b32 v11, v5 :: v_dual_mov_b32 v10, v4
	s_or_b32 s27, vcc_lo, s27
	s_delay_alu instid0(SALU_CYCLE_1)
	s_and_not1_b32 exec_lo, exec_lo, s27
	s_cbranch_execnz .LBB38_102
; %bb.103:
	s_or_b32 exec_lo, exec_lo, s27
                                        ; implicit-def: $vgpr2_vgpr3
.LBB38_104:
	s_and_not1_saveexec_b32 s0, s0
	s_cbranch_execz .LBB38_110
; %bb.105:
	v_add_co_u32 v2, vcc_lo, s18, v2
	v_add_co_ci_u32_e32 v3, vcc_lo, s19, v3, vcc_lo
	ds_load_b128 v[6:9], v26
	v_subrev_nc_u32_e32 v12, s2, v20
	s_mov_b32 s0, 0
	global_load_b128 v[2:5], v[2:3], off
	v_lshl_add_u32 v22, v12, 4, 0x4000
	ds_load_b64 v[12:13], v22
	s_waitcnt vmcnt(0) lgkmcnt(1)
	v_mul_f64 v[10:11], v[4:5], -v[8:9]
	s_delay_alu instid0(VALU_DEP_1)
	v_fma_f64 v[10:11], v[6:7], v[2:3], v[10:11]
.LBB38_106:                             ; =>This Inner Loop Header: Depth=1
	s_waitcnt lgkmcnt(0)
	s_delay_alu instid0(VALU_DEP_1)
	v_add_f64 v[23:24], v[12:13], v[10:11]
	ds_cmpstore_rtn_b64 v[23:24], v22, v[23:24], v[12:13]
	s_waitcnt lgkmcnt(0)
	v_cmp_eq_u64_e32 vcc_lo, v[23:24], v[12:13]
	v_dual_mov_b32 v12, v23 :: v_dual_mov_b32 v13, v24
	s_or_b32 s0, vcc_lo, s0
	s_delay_alu instid0(SALU_CYCLE_1)
	s_and_not1_b32 exec_lo, exec_lo, s0
	s_cbranch_execnz .LBB38_106
; %bb.107:
	s_or_b32 exec_lo, exec_lo, s0
	v_mul_f64 v[4:5], v[4:5], v[6:7]
	s_mov_b32 s0, 0
	s_delay_alu instid0(VALU_DEP_1)
	v_fma_f64 v[2:3], v[8:9], v[2:3], v[4:5]
	ds_load_b64 v[4:5], v22 offset:8
.LBB38_108:                             ; =>This Inner Loop Header: Depth=1
	s_waitcnt lgkmcnt(0)
	v_add_f64 v[6:7], v[4:5], v[2:3]
	ds_cmpstore_rtn_b64 v[6:7], v22, v[6:7], v[4:5] offset:8
	s_waitcnt lgkmcnt(0)
	v_cmp_eq_u64_e32 vcc_lo, v[6:7], v[4:5]
	v_dual_mov_b32 v4, v6 :: v_dual_mov_b32 v5, v7
	s_or_b32 s0, vcc_lo, s0
	s_delay_alu instid0(SALU_CYCLE_1)
	s_and_not1_b32 exec_lo, exec_lo, s0
	s_cbranch_execnz .LBB38_108
; %bb.109:
	s_or_b32 exec_lo, exec_lo, s0
.LBB38_110:
	s_delay_alu instid0(SALU_CYCLE_1)
	s_or_b32 exec_lo, exec_lo, s17
	v_lshlrev_b64 v[2:3], 4, v[20:21]
	ds_load_b128 v[6:9], v26
	v_cndmask_b32_e64 v27, 0, 1, s16
	v_add_co_u32 v2, vcc_lo, s18, v2
	v_add_co_ci_u32_e32 v3, vcc_lo, s19, v3, vcc_lo
	global_load_b128 v[2:5], v[2:3], off
	s_waitcnt vmcnt(0) lgkmcnt(0)
	v_mul_f64 v[10:11], v[4:5], -v[8:9]
	v_mul_f64 v[4:5], v[4:5], v[6:7]
	s_delay_alu instid0(VALU_DEP_2) | instskip(NEXT) | instid1(VALU_DEP_2)
	v_fma_f64 v[10:11], v[6:7], v[2:3], v[10:11]
	v_fma_f64 v[12:13], v[8:9], v[2:3], v[4:5]
	v_add_co_u32 v2, vcc_lo, 0x100, v14
	v_add_co_ci_u32_e32 v3, vcc_lo, 0, v15, vcc_lo
	v_dual_mov_b32 v4, s20 :: v_dual_mov_b32 v5, s21
	v_dual_mov_b32 v7, s5 :: v_dual_mov_b32 v6, s4
	s_and_not1_b32 vcc_lo, exec_lo, s16
	ds_store_b128 v26, v[10:13]
	s_cbranch_vccnz .LBB38_114
; %bb.111:
	v_dual_mov_b32 v4, s20 :: v_dual_mov_b32 v5, s21
	v_dual_mov_b32 v7, s5 :: v_dual_mov_b32 v6, s4
	s_mov_b32 s16, 0
	s_set_inst_prefetch_distance 0x1
	.p2align	6
.LBB38_112:                             ; =>This Inner Loop Header: Depth=1
	s_delay_alu instid0(VALU_DEP_1) | instskip(NEXT) | instid1(VALU_DEP_2)
	v_add_co_u32 v8, vcc_lo, v6, v4
	v_add_co_ci_u32_e32 v9, vcc_lo, v7, v5, vcc_lo
	s_delay_alu instid0(VALU_DEP_1) | instskip(NEXT) | instid1(VALU_DEP_1)
	v_lshrrev_b32_e32 v10, 31, v9
	v_add_co_u32 v8, vcc_lo, v8, v10
	v_add_co_ci_u32_e32 v9, vcc_lo, 0, v9, vcc_lo
	s_delay_alu instid0(VALU_DEP_1) | instskip(NEXT) | instid1(VALU_DEP_1)
	v_ashrrev_i64 v[8:9], 1, v[8:9]
	v_lshlrev_b64 v[10:11], 3, v[8:9]
	s_delay_alu instid0(VALU_DEP_1) | instskip(NEXT) | instid1(VALU_DEP_2)
	v_add_co_u32 v10, vcc_lo, s12, v10
	v_add_co_ci_u32_e32 v11, vcc_lo, s13, v11, vcc_lo
	global_load_b64 v[10:11], v[10:11], off
	s_waitcnt vmcnt(0)
	v_sub_co_u32 v10, vcc_lo, v10, s26
	v_subrev_co_ci_u32_e32 v11, vcc_lo, 0, v11, vcc_lo
	s_delay_alu instid0(VALU_DEP_1) | instskip(SKIP_2) | instid1(VALU_DEP_2)
	v_cmp_gt_i64_e32 vcc_lo, v[10:11], v[2:3]
	v_dual_cndmask_b32 v7, v7, v9 :: v_dual_cndmask_b32 v6, v6, v8
	v_dual_cndmask_b32 v5, v9, v5 :: v_dual_cndmask_b32 v4, v8, v4
	v_add_co_u32 v8, vcc_lo, v6, -1
	s_delay_alu instid0(VALU_DEP_3) | instskip(NEXT) | instid1(VALU_DEP_3)
	v_add_co_ci_u32_e32 v9, vcc_lo, -1, v7, vcc_lo
	v_cmp_ge_i64_e32 vcc_lo, v[4:5], v[6:7]
	s_delay_alu instid0(VALU_DEP_2) | instskip(NEXT) | instid1(VALU_DEP_1)
	v_cmp_eq_u64_e64 s0, v[4:5], v[8:9]
	s_or_b32 s0, vcc_lo, s0
	s_delay_alu instid0(SALU_CYCLE_1) | instskip(NEXT) | instid1(SALU_CYCLE_1)
	s_and_b32 s0, exec_lo, s0
	s_or_b32 s16, s0, s16
	s_delay_alu instid0(SALU_CYCLE_1)
	s_and_not1_b32 exec_lo, exec_lo, s16
	s_cbranch_execnz .LBB38_112
; %bb.113:
	s_set_inst_prefetch_distance 0x2
	s_or_b32 exec_lo, exec_lo, s16
.LBB38_114:
	v_lshlrev_b64 v[8:9], 3, v[6:7]
	s_mov_b32 s16, exec_lo
	s_delay_alu instid0(VALU_DEP_1) | instskip(NEXT) | instid1(VALU_DEP_2)
	v_add_co_u32 v8, vcc_lo, s12, v8
	v_add_co_ci_u32_e32 v9, vcc_lo, s13, v9, vcc_lo
	global_load_b64 v[8:9], v[8:9], off
	global_load_b32 v10, v[18:19], off offset:1024
	s_waitcnt vmcnt(1)
	v_sub_co_u32 v8, vcc_lo, v8, s26
	v_subrev_co_ci_u32_e32 v9, vcc_lo, 0, v9, vcc_lo
	s_waitcnt vmcnt(0)
	v_subrev_nc_u32_e32 v20, s26, v10
	s_delay_alu instid0(VALU_DEP_2) | instskip(NEXT) | instid1(VALU_DEP_2)
	v_cmp_gt_i64_e32 vcc_lo, v[8:9], v[2:3]
	v_ashrrev_i32_e32 v21, 31, v20
	v_dual_cndmask_b32 v5, v7, v5 :: v_dual_cndmask_b32 v4, v6, v4
	s_delay_alu instid0(VALU_DEP_1)
	v_cmpx_ne_u64_e64 v[4:5], v[20:21]
	s_cbranch_execz .LBB38_128
; %bb.115:
	s_load_b64 s[36:37], s[14:15], 0x0
	s_waitcnt lgkmcnt(0)
	s_sub_u32 s36, s36, s26
	s_subb_u32 s37, s37, 0
	s_delay_alu instid0(SALU_CYCLE_1)
	v_cmp_gt_i64_e32 vcc_lo, s[36:37], v[2:3]
	s_and_b32 exec_lo, exec_lo, vcc_lo
	s_cbranch_execz .LBB38_128
; %bb.116:
	v_cmp_gt_i64_e32 vcc_lo, s[2:3], v[20:21]
	v_cmp_le_i64_e64 s0, s[22:23], v[20:21]
	v_lshlrev_b64 v[2:3], 4, v[4:5]
	s_delay_alu instid0(VALU_DEP_2) | instskip(NEXT) | instid1(SALU_CYCLE_1)
	s_or_b32 s0, vcc_lo, s0
	s_and_saveexec_b32 s17, s0
	s_delay_alu instid0(SALU_CYCLE_1)
	s_xor_b32 s0, exec_lo, s17
	s_cbranch_execz .LBB38_122
; %bb.117:
	s_delay_alu instid0(VALU_DEP_1)
	v_add_co_u32 v2, vcc_lo, s18, v2
	v_add_co_ci_u32_e32 v3, vcc_lo, s19, v3, vcc_lo
	v_lshlrev_b64 v[6:7], 4, v[20:21]
	s_mov_b32 s17, 0
	global_load_b128 v[2:5], v[2:3], off
	v_add_co_u32 v22, vcc_lo, s10, v6
	v_add_co_ci_u32_e32 v23, vcc_lo, s11, v7, vcc_lo
	ds_load_b128 v[6:9], v26 offset:4096
	global_load_b64 v[12:13], v[22:23], off
	s_waitcnt vmcnt(1) lgkmcnt(0)
	v_mul_f64 v[10:11], v[4:5], -v[8:9]
	s_delay_alu instid0(VALU_DEP_1)
	v_fma_f64 v[24:25], v[6:7], v[2:3], v[10:11]
.LBB38_118:                             ; =>This Inner Loop Header: Depth=1
	s_waitcnt vmcnt(0)
	s_delay_alu instid0(VALU_DEP_1)
	v_add_f64 v[10:11], v[12:13], v[24:25]
	global_atomic_cmpswap_b64 v[10:11], v[22:23], v[10:13], off glc
	s_waitcnt vmcnt(0)
	v_cmp_eq_u64_e32 vcc_lo, v[10:11], v[12:13]
	v_dual_mov_b32 v13, v11 :: v_dual_mov_b32 v12, v10
	s_or_b32 s17, vcc_lo, s17
	s_delay_alu instid0(SALU_CYCLE_1)
	s_and_not1_b32 exec_lo, exec_lo, s17
	s_cbranch_execnz .LBB38_118
; %bb.119:
	s_or_b32 exec_lo, exec_lo, s17
	global_load_b64 v[10:11], v[22:23], off offset:8
	v_mul_f64 v[4:5], v[4:5], v[6:7]
	s_mov_b32 s17, 0
	s_delay_alu instid0(VALU_DEP_1)
	v_fma_f64 v[2:3], v[8:9], v[2:3], v[4:5]
.LBB38_120:                             ; =>This Inner Loop Header: Depth=1
	s_waitcnt vmcnt(0)
	s_delay_alu instid0(VALU_DEP_1)
	v_add_f64 v[8:9], v[10:11], v[2:3]
	global_atomic_cmpswap_b64 v[4:5], v[22:23], v[8:11], off offset:8 glc
	s_waitcnt vmcnt(0)
	v_cmp_eq_u64_e32 vcc_lo, v[4:5], v[10:11]
	v_dual_mov_b32 v11, v5 :: v_dual_mov_b32 v10, v4
	s_or_b32 s17, vcc_lo, s17
	s_delay_alu instid0(SALU_CYCLE_1)
	s_and_not1_b32 exec_lo, exec_lo, s17
	s_cbranch_execnz .LBB38_120
; %bb.121:
	s_or_b32 exec_lo, exec_lo, s17
                                        ; implicit-def: $vgpr2_vgpr3
.LBB38_122:
	s_and_not1_saveexec_b32 s0, s0
	s_cbranch_execz .LBB38_128
; %bb.123:
	v_add_co_u32 v2, vcc_lo, s18, v2
	v_add_co_ci_u32_e32 v3, vcc_lo, s19, v3, vcc_lo
	ds_load_b128 v[6:9], v26 offset:4096
	v_subrev_nc_u32_e32 v12, s2, v20
	s_mov_b32 s0, 0
	global_load_b128 v[2:5], v[2:3], off
	v_lshl_add_u32 v22, v12, 4, 0x4000
	ds_load_b64 v[12:13], v22
	s_waitcnt vmcnt(0) lgkmcnt(1)
	v_mul_f64 v[10:11], v[4:5], -v[8:9]
	s_delay_alu instid0(VALU_DEP_1)
	v_fma_f64 v[10:11], v[6:7], v[2:3], v[10:11]
.LBB38_124:                             ; =>This Inner Loop Header: Depth=1
	s_waitcnt lgkmcnt(0)
	s_delay_alu instid0(VALU_DEP_1)
	v_add_f64 v[23:24], v[12:13], v[10:11]
	ds_cmpstore_rtn_b64 v[23:24], v22, v[23:24], v[12:13]
	s_waitcnt lgkmcnt(0)
	v_cmp_eq_u64_e32 vcc_lo, v[23:24], v[12:13]
	v_dual_mov_b32 v12, v23 :: v_dual_mov_b32 v13, v24
	s_or_b32 s0, vcc_lo, s0
	s_delay_alu instid0(SALU_CYCLE_1)
	s_and_not1_b32 exec_lo, exec_lo, s0
	s_cbranch_execnz .LBB38_124
; %bb.125:
	s_or_b32 exec_lo, exec_lo, s0
	v_mul_f64 v[4:5], v[4:5], v[6:7]
	s_mov_b32 s0, 0
	s_delay_alu instid0(VALU_DEP_1)
	v_fma_f64 v[2:3], v[8:9], v[2:3], v[4:5]
	ds_load_b64 v[4:5], v22 offset:8
.LBB38_126:                             ; =>This Inner Loop Header: Depth=1
	s_waitcnt lgkmcnt(0)
	v_add_f64 v[6:7], v[4:5], v[2:3]
	ds_cmpstore_rtn_b64 v[6:7], v22, v[6:7], v[4:5] offset:8
	s_waitcnt lgkmcnt(0)
	v_cmp_eq_u64_e32 vcc_lo, v[6:7], v[4:5]
	v_dual_mov_b32 v4, v6 :: v_dual_mov_b32 v5, v7
	s_or_b32 s0, vcc_lo, s0
	s_delay_alu instid0(SALU_CYCLE_1)
	s_and_not1_b32 exec_lo, exec_lo, s0
	s_cbranch_execnz .LBB38_126
; %bb.127:
	s_or_b32 exec_lo, exec_lo, s0
.LBB38_128:
	s_delay_alu instid0(SALU_CYCLE_1)
	s_or_b32 exec_lo, exec_lo, s16
	v_lshlrev_b64 v[2:3], 4, v[20:21]
	ds_load_b128 v[6:9], v26 offset:4096
	v_add_co_u32 v2, vcc_lo, s18, v2
	v_add_co_ci_u32_e32 v3, vcc_lo, s19, v3, vcc_lo
	v_cmp_ne_u32_e32 vcc_lo, 1, v27
	global_load_b128 v[2:5], v[2:3], off
	s_and_b32 vcc_lo, exec_lo, vcc_lo
	s_waitcnt vmcnt(0) lgkmcnt(0)
	v_mul_f64 v[10:11], v[4:5], -v[8:9]
	v_mul_f64 v[4:5], v[4:5], v[6:7]
	s_delay_alu instid0(VALU_DEP_2) | instskip(NEXT) | instid1(VALU_DEP_2)
	v_fma_f64 v[10:11], v[6:7], v[2:3], v[10:11]
	v_fma_f64 v[12:13], v[8:9], v[2:3], v[4:5]
	v_add_co_u32 v2, s0, 0x200, v14
	s_delay_alu instid0(VALU_DEP_1)
	v_add_co_ci_u32_e64 v3, s0, 0, v15, s0
	v_dual_mov_b32 v4, s20 :: v_dual_mov_b32 v5, s21
	v_dual_mov_b32 v7, s5 :: v_dual_mov_b32 v6, s4
	ds_store_b128 v26, v[10:13] offset:4096
	s_cbranch_vccnz .LBB38_132
; %bb.129:
	v_dual_mov_b32 v4, s20 :: v_dual_mov_b32 v5, s21
	v_dual_mov_b32 v7, s5 :: v_dual_mov_b32 v6, s4
	s_mov_b32 s16, 0
	s_set_inst_prefetch_distance 0x1
	.p2align	6
.LBB38_130:                             ; =>This Inner Loop Header: Depth=1
	s_delay_alu instid0(VALU_DEP_1) | instskip(NEXT) | instid1(VALU_DEP_2)
	v_add_co_u32 v8, vcc_lo, v6, v4
	v_add_co_ci_u32_e32 v9, vcc_lo, v7, v5, vcc_lo
	s_delay_alu instid0(VALU_DEP_1) | instskip(NEXT) | instid1(VALU_DEP_1)
	v_lshrrev_b32_e32 v10, 31, v9
	v_add_co_u32 v8, vcc_lo, v8, v10
	v_add_co_ci_u32_e32 v9, vcc_lo, 0, v9, vcc_lo
	s_delay_alu instid0(VALU_DEP_1) | instskip(NEXT) | instid1(VALU_DEP_1)
	v_ashrrev_i64 v[8:9], 1, v[8:9]
	v_lshlrev_b64 v[10:11], 3, v[8:9]
	s_delay_alu instid0(VALU_DEP_1) | instskip(NEXT) | instid1(VALU_DEP_2)
	v_add_co_u32 v10, vcc_lo, s12, v10
	v_add_co_ci_u32_e32 v11, vcc_lo, s13, v11, vcc_lo
	global_load_b64 v[10:11], v[10:11], off
	s_waitcnt vmcnt(0)
	v_sub_co_u32 v10, vcc_lo, v10, s26
	v_subrev_co_ci_u32_e32 v11, vcc_lo, 0, v11, vcc_lo
	s_delay_alu instid0(VALU_DEP_1) | instskip(SKIP_2) | instid1(VALU_DEP_2)
	v_cmp_gt_i64_e32 vcc_lo, v[10:11], v[2:3]
	v_dual_cndmask_b32 v7, v7, v9 :: v_dual_cndmask_b32 v6, v6, v8
	v_dual_cndmask_b32 v5, v9, v5 :: v_dual_cndmask_b32 v4, v8, v4
	v_add_co_u32 v8, vcc_lo, v6, -1
	s_delay_alu instid0(VALU_DEP_3) | instskip(NEXT) | instid1(VALU_DEP_3)
	v_add_co_ci_u32_e32 v9, vcc_lo, -1, v7, vcc_lo
	v_cmp_ge_i64_e32 vcc_lo, v[4:5], v[6:7]
	s_delay_alu instid0(VALU_DEP_2) | instskip(NEXT) | instid1(VALU_DEP_1)
	v_cmp_eq_u64_e64 s0, v[4:5], v[8:9]
	s_or_b32 s0, vcc_lo, s0
	s_delay_alu instid0(SALU_CYCLE_1) | instskip(NEXT) | instid1(SALU_CYCLE_1)
	s_and_b32 s0, exec_lo, s0
	s_or_b32 s16, s0, s16
	s_delay_alu instid0(SALU_CYCLE_1)
	s_and_not1_b32 exec_lo, exec_lo, s16
	s_cbranch_execnz .LBB38_130
; %bb.131:
	s_set_inst_prefetch_distance 0x2
	s_or_b32 exec_lo, exec_lo, s16
.LBB38_132:
	v_lshlrev_b64 v[8:9], 3, v[6:7]
	s_mov_b32 s16, exec_lo
	s_delay_alu instid0(VALU_DEP_1) | instskip(NEXT) | instid1(VALU_DEP_2)
	v_add_co_u32 v8, vcc_lo, s12, v8
	v_add_co_ci_u32_e32 v9, vcc_lo, s13, v9, vcc_lo
	global_load_b64 v[8:9], v[8:9], off
	global_load_b32 v10, v[18:19], off offset:2048
	s_waitcnt vmcnt(1)
	v_sub_co_u32 v8, vcc_lo, v8, s26
	v_subrev_co_ci_u32_e32 v9, vcc_lo, 0, v9, vcc_lo
	s_waitcnt vmcnt(0)
	v_subrev_nc_u32_e32 v14, s26, v10
	s_delay_alu instid0(VALU_DEP_2) | instskip(NEXT) | instid1(VALU_DEP_2)
	v_cmp_gt_i64_e32 vcc_lo, v[8:9], v[2:3]
	v_ashrrev_i32_e32 v15, 31, v14
	v_dual_cndmask_b32 v5, v7, v5 :: v_dual_cndmask_b32 v4, v6, v4
	s_delay_alu instid0(VALU_DEP_1)
	v_cmpx_ne_u64_e64 v[4:5], v[14:15]
	s_cbranch_execz .LBB38_146
; %bb.133:
	s_load_b64 s[36:37], s[14:15], 0x0
	s_waitcnt lgkmcnt(0)
	s_sub_u32 s36, s36, s26
	s_subb_u32 s37, s37, 0
	s_delay_alu instid0(SALU_CYCLE_1)
	v_cmp_gt_i64_e32 vcc_lo, s[36:37], v[2:3]
	s_and_b32 exec_lo, exec_lo, vcc_lo
	s_cbranch_execz .LBB38_146
; %bb.134:
	v_cmp_gt_i64_e32 vcc_lo, s[2:3], v[14:15]
	v_cmp_le_i64_e64 s0, s[22:23], v[14:15]
	v_lshlrev_b64 v[2:3], 4, v[4:5]
	s_delay_alu instid0(VALU_DEP_2) | instskip(NEXT) | instid1(SALU_CYCLE_1)
	s_or_b32 s0, vcc_lo, s0
	s_and_saveexec_b32 s17, s0
	s_delay_alu instid0(SALU_CYCLE_1)
	s_xor_b32 s0, exec_lo, s17
	s_cbranch_execz .LBB38_140
; %bb.135:
	s_delay_alu instid0(VALU_DEP_1)
	v_add_co_u32 v2, vcc_lo, s18, v2
	v_add_co_ci_u32_e32 v3, vcc_lo, s19, v3, vcc_lo
	v_lshlrev_b64 v[6:7], 4, v[14:15]
	s_mov_b32 s17, 0
	global_load_b128 v[2:5], v[2:3], off
	v_add_co_u32 v20, vcc_lo, s10, v6
	v_add_co_ci_u32_e32 v21, vcc_lo, s11, v7, vcc_lo
	ds_load_b128 v[6:9], v26 offset:8192
	global_load_b64 v[12:13], v[20:21], off
	s_waitcnt vmcnt(1) lgkmcnt(0)
	v_mul_f64 v[10:11], v[4:5], -v[8:9]
	s_delay_alu instid0(VALU_DEP_1)
	v_fma_f64 v[22:23], v[6:7], v[2:3], v[10:11]
.LBB38_136:                             ; =>This Inner Loop Header: Depth=1
	s_waitcnt vmcnt(0)
	s_delay_alu instid0(VALU_DEP_1)
	v_add_f64 v[10:11], v[12:13], v[22:23]
	global_atomic_cmpswap_b64 v[10:11], v[20:21], v[10:13], off glc
	s_waitcnt vmcnt(0)
	v_cmp_eq_u64_e32 vcc_lo, v[10:11], v[12:13]
	v_dual_mov_b32 v13, v11 :: v_dual_mov_b32 v12, v10
	s_or_b32 s17, vcc_lo, s17
	s_delay_alu instid0(SALU_CYCLE_1)
	s_and_not1_b32 exec_lo, exec_lo, s17
	s_cbranch_execnz .LBB38_136
; %bb.137:
	s_or_b32 exec_lo, exec_lo, s17
	global_load_b64 v[10:11], v[20:21], off offset:8
	v_mul_f64 v[4:5], v[4:5], v[6:7]
	s_mov_b32 s17, 0
	s_delay_alu instid0(VALU_DEP_1)
	v_fma_f64 v[2:3], v[8:9], v[2:3], v[4:5]
.LBB38_138:                             ; =>This Inner Loop Header: Depth=1
	s_waitcnt vmcnt(0)
	s_delay_alu instid0(VALU_DEP_1)
	v_add_f64 v[8:9], v[10:11], v[2:3]
	global_atomic_cmpswap_b64 v[4:5], v[20:21], v[8:11], off offset:8 glc
	s_waitcnt vmcnt(0)
	v_cmp_eq_u64_e32 vcc_lo, v[4:5], v[10:11]
	v_dual_mov_b32 v11, v5 :: v_dual_mov_b32 v10, v4
	s_or_b32 s17, vcc_lo, s17
	s_delay_alu instid0(SALU_CYCLE_1)
	s_and_not1_b32 exec_lo, exec_lo, s17
	s_cbranch_execnz .LBB38_138
; %bb.139:
	s_or_b32 exec_lo, exec_lo, s17
                                        ; implicit-def: $vgpr2_vgpr3
.LBB38_140:
	s_and_not1_saveexec_b32 s0, s0
	s_cbranch_execz .LBB38_146
; %bb.141:
	v_add_co_u32 v2, vcc_lo, s18, v2
	v_add_co_ci_u32_e32 v3, vcc_lo, s19, v3, vcc_lo
	ds_load_b128 v[6:9], v26 offset:8192
	v_subrev_nc_u32_e32 v12, s2, v14
	s_mov_b32 s0, 0
	global_load_b128 v[2:5], v[2:3], off
	v_lshl_add_u32 v20, v12, 4, 0x4000
	ds_load_b64 v[12:13], v20
	s_waitcnt vmcnt(0) lgkmcnt(1)
	v_mul_f64 v[10:11], v[4:5], -v[8:9]
	s_delay_alu instid0(VALU_DEP_1)
	v_fma_f64 v[10:11], v[6:7], v[2:3], v[10:11]
.LBB38_142:                             ; =>This Inner Loop Header: Depth=1
	s_waitcnt lgkmcnt(0)
	s_delay_alu instid0(VALU_DEP_1)
	v_add_f64 v[21:22], v[12:13], v[10:11]
	ds_cmpstore_rtn_b64 v[21:22], v20, v[21:22], v[12:13]
	s_waitcnt lgkmcnt(0)
	v_cmp_eq_u64_e32 vcc_lo, v[21:22], v[12:13]
	v_dual_mov_b32 v12, v21 :: v_dual_mov_b32 v13, v22
	s_or_b32 s0, vcc_lo, s0
	s_delay_alu instid0(SALU_CYCLE_1)
	s_and_not1_b32 exec_lo, exec_lo, s0
	s_cbranch_execnz .LBB38_142
; %bb.143:
	s_or_b32 exec_lo, exec_lo, s0
	v_mul_f64 v[4:5], v[4:5], v[6:7]
	s_mov_b32 s0, 0
	s_delay_alu instid0(VALU_DEP_1)
	v_fma_f64 v[2:3], v[8:9], v[2:3], v[4:5]
	ds_load_b64 v[4:5], v20 offset:8
.LBB38_144:                             ; =>This Inner Loop Header: Depth=1
	s_waitcnt lgkmcnt(0)
	v_add_f64 v[6:7], v[4:5], v[2:3]
	ds_cmpstore_rtn_b64 v[6:7], v20, v[6:7], v[4:5] offset:8
	s_waitcnt lgkmcnt(0)
	v_cmp_eq_u64_e32 vcc_lo, v[6:7], v[4:5]
	v_dual_mov_b32 v4, v6 :: v_dual_mov_b32 v5, v7
	s_or_b32 s0, vcc_lo, s0
	s_delay_alu instid0(SALU_CYCLE_1)
	s_and_not1_b32 exec_lo, exec_lo, s0
	s_cbranch_execnz .LBB38_144
; %bb.145:
	s_or_b32 exec_lo, exec_lo, s0
.LBB38_146:
	s_delay_alu instid0(SALU_CYCLE_1)
	s_or_b32 exec_lo, exec_lo, s16
	v_lshlrev_b64 v[2:3], 4, v[14:15]
	ds_load_b128 v[6:9], v26 offset:8192
	v_add_co_u32 v2, vcc_lo, s18, v2
	v_add_co_ci_u32_e32 v3, vcc_lo, s19, v3, vcc_lo
	v_cmp_ne_u32_e32 vcc_lo, 1, v27
	global_load_b128 v[2:5], v[2:3], off
	s_and_b32 vcc_lo, exec_lo, vcc_lo
	s_waitcnt vmcnt(0) lgkmcnt(0)
	v_mul_f64 v[10:11], v[4:5], -v[8:9]
	v_mul_f64 v[4:5], v[4:5], v[6:7]
	s_delay_alu instid0(VALU_DEP_2) | instskip(NEXT) | instid1(VALU_DEP_2)
	v_fma_f64 v[6:7], v[6:7], v[2:3], v[10:11]
	v_fma_f64 v[8:9], v[8:9], v[2:3], v[4:5]
	v_dual_mov_b32 v2, s20 :: v_dual_mov_b32 v3, s21
	v_dual_mov_b32 v4, s4 :: v_dual_mov_b32 v5, s5
	ds_store_b128 v26, v[6:9] offset:8192
	s_cbranch_vccnz .LBB38_150
; %bb.147:
	v_dual_mov_b32 v2, s20 :: v_dual_mov_b32 v3, s21
	v_dual_mov_b32 v4, s4 :: v_dual_mov_b32 v5, s5
	s_mov_b32 s4, 0
	s_set_inst_prefetch_distance 0x1
	.p2align	6
.LBB38_148:                             ; =>This Inner Loop Header: Depth=1
	s_delay_alu instid0(VALU_DEP_1) | instskip(NEXT) | instid1(VALU_DEP_2)
	v_add_co_u32 v6, vcc_lo, v4, v2
	v_add_co_ci_u32_e32 v7, vcc_lo, v5, v3, vcc_lo
	s_delay_alu instid0(VALU_DEP_1) | instskip(NEXT) | instid1(VALU_DEP_1)
	v_lshrrev_b32_e32 v8, 31, v7
	v_add_co_u32 v6, vcc_lo, v6, v8
	v_add_co_ci_u32_e32 v7, vcc_lo, 0, v7, vcc_lo
	s_delay_alu instid0(VALU_DEP_1) | instskip(NEXT) | instid1(VALU_DEP_1)
	v_ashrrev_i64 v[6:7], 1, v[6:7]
	v_lshlrev_b64 v[8:9], 3, v[6:7]
	s_delay_alu instid0(VALU_DEP_1) | instskip(NEXT) | instid1(VALU_DEP_2)
	v_add_co_u32 v8, vcc_lo, s12, v8
	v_add_co_ci_u32_e32 v9, vcc_lo, s13, v9, vcc_lo
	global_load_b64 v[8:9], v[8:9], off
	s_waitcnt vmcnt(0)
	v_sub_co_u32 v8, vcc_lo, v8, s26
	v_subrev_co_ci_u32_e32 v9, vcc_lo, 0, v9, vcc_lo
	s_delay_alu instid0(VALU_DEP_1) | instskip(SKIP_2) | instid1(VALU_DEP_2)
	v_cmp_gt_i64_e32 vcc_lo, v[8:9], v[16:17]
	v_dual_cndmask_b32 v5, v5, v7 :: v_dual_cndmask_b32 v4, v4, v6
	v_dual_cndmask_b32 v3, v7, v3 :: v_dual_cndmask_b32 v2, v6, v2
	v_add_co_u32 v6, vcc_lo, v4, -1
	s_delay_alu instid0(VALU_DEP_3) | instskip(NEXT) | instid1(VALU_DEP_3)
	v_add_co_ci_u32_e32 v7, vcc_lo, -1, v5, vcc_lo
	v_cmp_ge_i64_e32 vcc_lo, v[2:3], v[4:5]
	s_delay_alu instid0(VALU_DEP_2) | instskip(NEXT) | instid1(VALU_DEP_1)
	v_cmp_eq_u64_e64 s0, v[2:3], v[6:7]
	s_or_b32 s0, vcc_lo, s0
	s_delay_alu instid0(SALU_CYCLE_1) | instskip(NEXT) | instid1(SALU_CYCLE_1)
	s_and_b32 s0, exec_lo, s0
	s_or_b32 s4, s0, s4
	s_delay_alu instid0(SALU_CYCLE_1)
	s_and_not1_b32 exec_lo, exec_lo, s4
	s_cbranch_execnz .LBB38_148
; %bb.149:
	s_set_inst_prefetch_distance 0x2
	s_or_b32 exec_lo, exec_lo, s4
.LBB38_150:
	v_lshlrev_b64 v[6:7], 3, v[4:5]
	s_mov_b32 s4, exec_lo
	s_delay_alu instid0(VALU_DEP_1) | instskip(NEXT) | instid1(VALU_DEP_2)
	v_add_co_u32 v6, vcc_lo, s12, v6
	v_add_co_ci_u32_e32 v7, vcc_lo, s13, v7, vcc_lo
	global_load_b64 v[6:7], v[6:7], off
	global_load_b32 v8, v[18:19], off offset:3072
	s_waitcnt vmcnt(1)
	v_sub_co_u32 v6, vcc_lo, v6, s26
	v_subrev_co_ci_u32_e32 v7, vcc_lo, 0, v7, vcc_lo
	s_waitcnt vmcnt(0)
	v_subrev_nc_u32_e32 v14, s26, v8
	s_delay_alu instid0(VALU_DEP_2) | instskip(NEXT) | instid1(VALU_DEP_2)
	v_cmp_gt_i64_e32 vcc_lo, v[6:7], v[16:17]
	v_ashrrev_i32_e32 v15, 31, v14
	v_dual_cndmask_b32 v3, v5, v3 :: v_dual_cndmask_b32 v2, v4, v2
	s_delay_alu instid0(VALU_DEP_1)
	v_cmpx_ne_u64_e64 v[2:3], v[14:15]
	s_cbranch_execz .LBB38_164
; %bb.151:
	s_load_b64 s[14:15], s[14:15], 0x0
	s_waitcnt lgkmcnt(0)
	s_sub_u32 s14, s14, s26
	s_subb_u32 s15, s15, 0
	s_delay_alu instid0(SALU_CYCLE_1)
	v_cmp_gt_i64_e32 vcc_lo, s[14:15], v[16:17]
	s_and_b32 exec_lo, exec_lo, vcc_lo
	s_cbranch_execz .LBB38_164
; %bb.152:
	v_cmp_gt_i64_e32 vcc_lo, s[2:3], v[14:15]
	v_cmp_le_i64_e64 s0, s[22:23], v[14:15]
	v_lshlrev_b64 v[2:3], 4, v[2:3]
	s_delay_alu instid0(VALU_DEP_2) | instskip(NEXT) | instid1(SALU_CYCLE_1)
	s_or_b32 s0, vcc_lo, s0
	s_and_saveexec_b32 s5, s0
	s_delay_alu instid0(SALU_CYCLE_1)
	s_xor_b32 s0, exec_lo, s5
	s_cbranch_execz .LBB38_158
; %bb.153:
	s_delay_alu instid0(VALU_DEP_1)
	v_add_co_u32 v2, vcc_lo, s18, v2
	v_add_co_ci_u32_e32 v3, vcc_lo, s19, v3, vcc_lo
	v_lshlrev_b64 v[6:7], 4, v[14:15]
	s_mov_b32 s5, 0
	global_load_b128 v[2:5], v[2:3], off
	v_add_co_u32 v16, vcc_lo, s10, v6
	v_add_co_ci_u32_e32 v17, vcc_lo, s11, v7, vcc_lo
	ds_load_b128 v[6:9], v26 offset:12288
	global_load_b64 v[12:13], v[16:17], off
	s_waitcnt vmcnt(1) lgkmcnt(0)
	v_mul_f64 v[10:11], v[4:5], -v[8:9]
	s_delay_alu instid0(VALU_DEP_1)
	v_fma_f64 v[18:19], v[6:7], v[2:3], v[10:11]
.LBB38_154:                             ; =>This Inner Loop Header: Depth=1
	s_waitcnt vmcnt(0)
	s_delay_alu instid0(VALU_DEP_1)
	v_add_f64 v[10:11], v[12:13], v[18:19]
	global_atomic_cmpswap_b64 v[10:11], v[16:17], v[10:13], off glc
	s_waitcnt vmcnt(0)
	v_cmp_eq_u64_e32 vcc_lo, v[10:11], v[12:13]
	v_dual_mov_b32 v13, v11 :: v_dual_mov_b32 v12, v10
	s_or_b32 s5, vcc_lo, s5
	s_delay_alu instid0(SALU_CYCLE_1)
	s_and_not1_b32 exec_lo, exec_lo, s5
	s_cbranch_execnz .LBB38_154
; %bb.155:
	s_or_b32 exec_lo, exec_lo, s5
	global_load_b64 v[10:11], v[16:17], off offset:8
	v_mul_f64 v[4:5], v[4:5], v[6:7]
	s_mov_b32 s5, 0
	s_delay_alu instid0(VALU_DEP_1)
	v_fma_f64 v[2:3], v[8:9], v[2:3], v[4:5]
.LBB38_156:                             ; =>This Inner Loop Header: Depth=1
	s_waitcnt vmcnt(0)
	s_delay_alu instid0(VALU_DEP_1)
	v_add_f64 v[8:9], v[10:11], v[2:3]
	global_atomic_cmpswap_b64 v[4:5], v[16:17], v[8:11], off offset:8 glc
	s_waitcnt vmcnt(0)
	v_cmp_eq_u64_e32 vcc_lo, v[4:5], v[10:11]
	v_dual_mov_b32 v11, v5 :: v_dual_mov_b32 v10, v4
	s_or_b32 s5, vcc_lo, s5
	s_delay_alu instid0(SALU_CYCLE_1)
	s_and_not1_b32 exec_lo, exec_lo, s5
	s_cbranch_execnz .LBB38_156
; %bb.157:
	s_or_b32 exec_lo, exec_lo, s5
                                        ; implicit-def: $vgpr2_vgpr3
.LBB38_158:
	s_and_not1_saveexec_b32 s0, s0
	s_cbranch_execz .LBB38_164
; %bb.159:
	v_add_co_u32 v2, vcc_lo, s18, v2
	v_add_co_ci_u32_e32 v3, vcc_lo, s19, v3, vcc_lo
	ds_load_b128 v[6:9], v26 offset:12288
	v_subrev_nc_u32_e32 v12, s2, v14
	s_mov_b32 s0, 0
	global_load_b128 v[2:5], v[2:3], off
	v_lshl_add_u32 v16, v12, 4, 0x4000
	ds_load_b64 v[12:13], v16
	s_waitcnt vmcnt(0) lgkmcnt(1)
	v_mul_f64 v[10:11], v[4:5], -v[8:9]
	s_delay_alu instid0(VALU_DEP_1)
	v_fma_f64 v[10:11], v[6:7], v[2:3], v[10:11]
.LBB38_160:                             ; =>This Inner Loop Header: Depth=1
	s_waitcnt lgkmcnt(0)
	s_delay_alu instid0(VALU_DEP_1)
	v_add_f64 v[17:18], v[12:13], v[10:11]
	ds_cmpstore_rtn_b64 v[17:18], v16, v[17:18], v[12:13]
	s_waitcnt lgkmcnt(0)
	v_cmp_eq_u64_e32 vcc_lo, v[17:18], v[12:13]
	v_dual_mov_b32 v12, v17 :: v_dual_mov_b32 v13, v18
	s_or_b32 s0, vcc_lo, s0
	s_delay_alu instid0(SALU_CYCLE_1)
	s_and_not1_b32 exec_lo, exec_lo, s0
	s_cbranch_execnz .LBB38_160
; %bb.161:
	s_or_b32 exec_lo, exec_lo, s0
	v_mul_f64 v[4:5], v[4:5], v[6:7]
	s_mov_b32 s0, 0
	s_delay_alu instid0(VALU_DEP_1)
	v_fma_f64 v[2:3], v[8:9], v[2:3], v[4:5]
	ds_load_b64 v[4:5], v16 offset:8
.LBB38_162:                             ; =>This Inner Loop Header: Depth=1
	s_waitcnt lgkmcnt(0)
	v_add_f64 v[6:7], v[4:5], v[2:3]
	ds_cmpstore_rtn_b64 v[6:7], v16, v[6:7], v[4:5] offset:8
	s_waitcnt lgkmcnt(0)
	v_cmp_eq_u64_e32 vcc_lo, v[6:7], v[4:5]
	v_dual_mov_b32 v4, v6 :: v_dual_mov_b32 v5, v7
	s_or_b32 s0, vcc_lo, s0
	s_delay_alu instid0(SALU_CYCLE_1)
	s_and_not1_b32 exec_lo, exec_lo, s0
	s_cbranch_execnz .LBB38_162
; %bb.163:
	s_or_b32 exec_lo, exec_lo, s0
.LBB38_164:
	s_delay_alu instid0(SALU_CYCLE_1)
	s_or_b32 exec_lo, exec_lo, s4
	v_lshlrev_b64 v[2:3], 4, v[14:15]
	ds_load_b128 v[6:9], v26 offset:12288
	v_add_co_u32 v2, vcc_lo, s18, v2
	v_add_co_ci_u32_e32 v3, vcc_lo, s19, v3, vcc_lo
	global_load_b128 v[2:5], v[2:3], off
	s_waitcnt vmcnt(0) lgkmcnt(0)
	v_mul_f64 v[10:11], v[4:5], -v[8:9]
	v_mul_f64 v[12:13], v[4:5], v[6:7]
	s_delay_alu instid0(VALU_DEP_2) | instskip(NEXT) | instid1(VALU_DEP_2)
	v_fma_f64 v[4:5], v[6:7], v[2:3], v[10:11]
	v_fma_f64 v[6:7], v[8:9], v[2:3], v[12:13]
	ds_store_b128 v26, v[4:7] offset:12288
.LBB38_165:
	s_or_b32 exec_lo, exec_lo, s1
	v_cmp_lt_i64_e64 s0, s[22:23], s[6:7]
	s_waitcnt lgkmcnt(0)
	s_barrier
	buffer_gl0_inv
	s_and_b32 s0, s0, exec_lo
	s_cselect_b32 s1, s22, s6
	s_cselect_b32 s0, s23, s7
	s_sub_u32 s4, s1, s24
	s_subb_u32 s5, s0, s25
	s_mov_b32 s0, exec_lo
	v_cmpx_gt_i64_e64 s[4:5], v[0:1]
	s_cbranch_execz .LBB38_172
; %bb.166:
	s_lshl_b64 s[2:3], s[2:3], 4
	v_dual_mov_b32 v11, v1 :: v_dual_mov_b32 v10, v0
	s_add_u32 s2, s10, s2
	s_addc_u32 s3, s11, s3
	s_mov_b32 s6, 0
	s_set_inst_prefetch_distance 0x1
	.p2align	6
.LBB38_167:                             ; =>This Loop Header: Depth=1
                                        ;     Child Loop BB38_168 Depth 2
                                        ;     Child Loop BB38_170 Depth 2
	v_lshlrev_b64 v[2:3], 4, v[10:11]
	s_mov_b32 s7, 0
	s_delay_alu instid0(VALU_DEP_1) | instskip(NEXT) | instid1(VALU_DEP_2)
	v_add_co_u32 v12, vcc_lo, s2, v2
	v_add_co_ci_u32_e32 v13, vcc_lo, s3, v3, vcc_lo
	v_lshl_add_u32 v2, v10, 4, 0x4000
	global_load_b64 v[8:9], v[12:13], off
	ds_load_2addr_b64 v[2:5], v2 offset1:1
.LBB38_168:                             ;   Parent Loop BB38_167 Depth=1
                                        ; =>  This Inner Loop Header: Depth=2
	s_waitcnt vmcnt(0) lgkmcnt(0)
	v_add_f64 v[6:7], v[8:9], v[2:3]
	global_atomic_cmpswap_b64 v[6:7], v[12:13], v[6:9], off glc
	s_waitcnt vmcnt(0)
	v_cmp_eq_u64_e32 vcc_lo, v[6:7], v[8:9]
	v_dual_mov_b32 v9, v7 :: v_dual_mov_b32 v8, v6
	s_or_b32 s7, vcc_lo, s7
	s_delay_alu instid0(SALU_CYCLE_1)
	s_and_not1_b32 exec_lo, exec_lo, s7
	s_cbranch_execnz .LBB38_168
; %bb.169:                              ;   in Loop: Header=BB38_167 Depth=1
	s_or_b32 exec_lo, exec_lo, s7
	global_load_b64 v[8:9], v[12:13], off offset:8
	s_mov_b32 s7, 0
.LBB38_170:                             ;   Parent Loop BB38_167 Depth=1
                                        ; =>  This Inner Loop Header: Depth=2
	s_waitcnt vmcnt(0)
	v_add_f64 v[6:7], v[8:9], v[4:5]
	global_atomic_cmpswap_b64 v[2:3], v[12:13], v[6:9], off offset:8 glc
	s_waitcnt vmcnt(0)
	v_cmp_eq_u64_e32 vcc_lo, v[2:3], v[8:9]
	v_dual_mov_b32 v9, v3 :: v_dual_mov_b32 v8, v2
	s_or_b32 s7, vcc_lo, s7
	s_delay_alu instid0(SALU_CYCLE_1)
	s_and_not1_b32 exec_lo, exec_lo, s7
	s_cbranch_execnz .LBB38_170
; %bb.171:                              ;   in Loop: Header=BB38_167 Depth=1
	s_or_b32 exec_lo, exec_lo, s7
	v_add_co_u32 v10, vcc_lo, 0x100, v10
	v_add_co_ci_u32_e32 v11, vcc_lo, 0, v11, vcc_lo
	s_delay_alu instid0(VALU_DEP_1) | instskip(SKIP_1) | instid1(SALU_CYCLE_1)
	v_cmp_le_i64_e32 vcc_lo, s[4:5], v[10:11]
	s_or_b32 s6, vcc_lo, s6
	s_and_not1_b32 exec_lo, exec_lo, s6
	s_cbranch_execnz .LBB38_167
.LBB38_172:
	s_set_inst_prefetch_distance 0x2
	s_or_b32 exec_lo, exec_lo, s0
	s_add_i32 s0, s34, -1
	v_add_co_u32 v10, s5, s20, v0
	s_ashr_i32 s2, s0, 1
	v_add_co_ci_u32_e64 v11, null, s21, 0, s5
	s_or_b32 s0, s2, s0
	s_delay_alu instid0(SALU_CYCLE_1) | instskip(SKIP_4) | instid1(SALU_CYCLE_1)
	s_ashr_i32 s2, s0, 2
	s_barrier
	s_or_b32 s0, s2, s0
	buffer_gl0_inv
	s_ashr_i32 s2, s0, 4
	s_or_b32 s0, s2, s0
	s_delay_alu instid0(SALU_CYCLE_1) | instskip(NEXT) | instid1(SALU_CYCLE_1)
	s_ashr_i32 s2, s0, 8
	s_or_b32 s0, s2, s0
	s_delay_alu instid0(SALU_CYCLE_1) | instskip(NEXT) | instid1(SALU_CYCLE_1)
	s_ashr_i32 s2, s0, 16
	s_or_b32 s2, s2, s0
	s_mov_b32 s0, -1
	s_add_i32 s2, s2, 1
	s_delay_alu instid0(SALU_CYCLE_1) | instskip(NEXT) | instid1(SALU_CYCLE_1)
	s_ashr_i32 s3, s2, 1
	s_cmp_gt_i32 s3, 1
	s_cbranch_scc1 .LBB38_185
; %bb.173:
	s_mov_b32 s0, exec_lo
	v_cmpx_gt_i64_e64 s[22:23], v[10:11]
	s_cbranch_execz .LBB38_184
; %bb.174:
	s_sub_i32 s1, s1, s22
	v_dual_mov_b32 v13, v11 :: v_dual_mov_b32 v12, v10
	s_lshl_b32 s6, s8, 4
	s_lshl_b32 s1, s1, 4
	s_mov_b32 s5, 0
	s_addk_i32 s1, 0x4000
	s_sub_i32 s6, 0, s6
.LBB38_175:                             ; =>This Loop Header: Depth=1
                                        ;     Child Loop BB38_177 Depth 2
                                        ;     Child Loop BB38_180 Depth 2
	;; [unrolled: 1-line block ×3, first 2 shown]
	v_lshlrev_b64 v[2:3], 3, v[12:13]
	v_mov_b32_e32 v14, 0
	v_mov_b32_e32 v15, 0
	s_delay_alu instid0(VALU_DEP_2) | instskip(SKIP_1) | instid1(VALU_DEP_4)
	v_mov_b32_e32 v6, v14
	s_mov_b32 s7, exec_lo
	v_add_co_u32 v2, vcc_lo, s12, v2
	s_delay_alu instid0(VALU_DEP_3)
	v_mov_b32_e32 v7, v15
	v_add_co_ci_u32_e32 v3, vcc_lo, s13, v3, vcc_lo
	global_load_b128 v[2:5], v[2:3], off
	s_waitcnt vmcnt(0)
	v_cmpx_lt_i64_e64 v[2:3], v[4:5]
	s_cbranch_execz .LBB38_179
; %bb.176:                              ;   in Loop: Header=BB38_175 Depth=1
	v_mov_b32_e32 v14, 0
	v_sub_co_u32 v4, vcc_lo, v4, s8
	v_mov_b32_e32 v15, 0
	v_subrev_co_ci_u32_e32 v5, vcc_lo, s9, v5, vcc_lo
	v_sub_co_u32 v8, vcc_lo, v2, s8
	v_subrev_co_ci_u32_e32 v9, vcc_lo, s9, v3, vcc_lo
	v_lshl_add_u32 v2, v2, 4, s6
	v_dual_mov_b32 v6, v14 :: v_dual_mov_b32 v7, v15
	s_mov_b32 s14, 0
.LBB38_177:                             ;   Parent Loop BB38_175 Depth=1
                                        ; =>  This Inner Loop Header: Depth=2
	ds_load_b128 v[16:19], v2
	v_add_co_u32 v8, vcc_lo, v8, 1
	v_add_co_ci_u32_e32 v9, vcc_lo, 0, v9, vcc_lo
	v_add_nc_u32_e32 v2, 16, v2
	s_delay_alu instid0(VALU_DEP_2)
	v_cmp_ge_i64_e32 vcc_lo, v[8:9], v[4:5]
	s_or_b32 s14, vcc_lo, s14
	s_waitcnt lgkmcnt(0)
	v_add_f64 v[6:7], v[6:7], v[16:17]
	v_add_f64 v[14:15], v[14:15], v[18:19]
	s_and_not1_b32 exec_lo, exec_lo, s14
	s_cbranch_execnz .LBB38_177
; %bb.178:                              ;   in Loop: Header=BB38_175 Depth=1
	s_or_b32 exec_lo, exec_lo, s14
.LBB38_179:                             ;   in Loop: Header=BB38_175 Depth=1
	s_delay_alu instid0(SALU_CYCLE_1) | instskip(SKIP_2) | instid1(VALU_DEP_1)
	s_or_b32 exec_lo, exec_lo, s7
	v_lshlrev_b64 v[2:3], 4, v[12:13]
	s_mov_b32 s7, 0
	v_add_co_u32 v16, vcc_lo, s10, v2
	s_delay_alu instid0(VALU_DEP_2)
	v_add_co_ci_u32_e32 v17, vcc_lo, s11, v3, vcc_lo
	v_lshl_add_u32 v2, v12, 4, s1
	global_load_b64 v[8:9], v[16:17], off
	ds_load_2addr_b64 v[2:5], v2 offset1:1
	s_waitcnt lgkmcnt(0)
	v_add_f64 v[2:3], v[6:7], v[2:3]
.LBB38_180:                             ;   Parent Loop BB38_175 Depth=1
                                        ; =>  This Inner Loop Header: Depth=2
	s_waitcnt vmcnt(0)
	s_delay_alu instid0(VALU_DEP_1)
	v_add_f64 v[6:7], v[8:9], v[2:3]
	global_atomic_cmpswap_b64 v[6:7], v[16:17], v[6:9], off glc
	s_waitcnt vmcnt(0)
	v_cmp_eq_u64_e32 vcc_lo, v[6:7], v[8:9]
	v_dual_mov_b32 v9, v7 :: v_dual_mov_b32 v8, v6
	s_or_b32 s7, vcc_lo, s7
	s_delay_alu instid0(SALU_CYCLE_1)
	s_and_not1_b32 exec_lo, exec_lo, s7
	s_cbranch_execnz .LBB38_180
; %bb.181:                              ;   in Loop: Header=BB38_175 Depth=1
	s_or_b32 exec_lo, exec_lo, s7
	global_load_b64 v[6:7], v[16:17], off offset:8
	v_add_f64 v[2:3], v[14:15], v[4:5]
	s_mov_b32 s7, 0
.LBB38_182:                             ;   Parent Loop BB38_175 Depth=1
                                        ; =>  This Inner Loop Header: Depth=2
	s_waitcnt vmcnt(0)
	s_delay_alu instid0(VALU_DEP_1)
	v_add_f64 v[4:5], v[6:7], v[2:3]
	global_atomic_cmpswap_b64 v[4:5], v[16:17], v[4:7], off offset:8 glc
	s_waitcnt vmcnt(0)
	v_cmp_eq_u64_e32 vcc_lo, v[4:5], v[6:7]
	v_dual_mov_b32 v7, v5 :: v_dual_mov_b32 v6, v4
	s_or_b32 s7, vcc_lo, s7
	s_delay_alu instid0(SALU_CYCLE_1)
	s_and_not1_b32 exec_lo, exec_lo, s7
	s_cbranch_execnz .LBB38_182
; %bb.183:                              ;   in Loop: Header=BB38_175 Depth=1
	s_or_b32 exec_lo, exec_lo, s7
	v_add_co_u32 v12, vcc_lo, v12, s28
	v_add_co_ci_u32_e32 v13, vcc_lo, 0, v13, vcc_lo
	s_delay_alu instid0(VALU_DEP_1) | instskip(SKIP_1) | instid1(SALU_CYCLE_1)
	v_cmp_le_i64_e32 vcc_lo, s[22:23], v[12:13]
	s_or_b32 s5, vcc_lo, s5
	s_and_not1_b32 exec_lo, exec_lo, s5
	s_cbranch_execnz .LBB38_175
.LBB38_184:
	s_or_b32 exec_lo, exec_lo, s0
	s_mov_b32 s0, 0
.LBB38_185:
	s_delay_alu instid0(SALU_CYCLE_1)
	s_and_not1_b32 vcc_lo, exec_lo, s0
	s_cbranch_vccnz .LBB38_216
; %bb.186:
	v_cvt_f32_u32_e32 v6, s3
	s_sub_i32 s1, 0, s3
                                        ; implicit-def: $vgpr12_vgpr13
	s_mov_b32 s0, exec_lo
	v_mov_b32_e32 v15, 0
	s_delay_alu instid0(VALU_DEP_2) | instskip(SKIP_2) | instid1(VALU_DEP_1)
	v_rcp_iflag_f32_e32 v2, v6
	s_waitcnt_depctr 0xfff
	v_mul_f32_e32 v2, 0x4f7ffffe, v2
	v_cvt_u32_f32_e32 v2, v2
	s_delay_alu instid0(VALU_DEP_1) | instskip(NEXT) | instid1(VALU_DEP_1)
	v_mul_lo_u32 v3, s1, v2
	v_mul_hi_u32 v3, v2, v3
	s_delay_alu instid0(VALU_DEP_1) | instskip(NEXT) | instid1(VALU_DEP_1)
	v_add_nc_u32_e32 v2, v2, v3
	v_mul_hi_u32 v2, v0, v2
	s_delay_alu instid0(VALU_DEP_1) | instskip(SKIP_1) | instid1(VALU_DEP_2)
	v_mul_lo_u32 v3, v2, s3
	v_add_nc_u32_e32 v4, 1, v2
	v_sub_nc_u32_e32 v3, v0, v3
	s_delay_alu instid0(VALU_DEP_1) | instskip(SKIP_1) | instid1(VALU_DEP_2)
	v_subrev_nc_u32_e32 v5, s3, v3
	v_cmp_le_u32_e32 vcc_lo, s3, v3
	v_dual_cndmask_b32 v2, v2, v4 :: v_dual_cndmask_b32 v3, v3, v5
	s_delay_alu instid0(VALU_DEP_1) | instskip(NEXT) | instid1(VALU_DEP_2)
	v_add_nc_u32_e32 v4, 1, v2
	v_cmp_le_u32_e32 vcc_lo, s3, v3
	s_delay_alu instid0(VALU_DEP_2) | instskip(NEXT) | instid1(VALU_DEP_1)
	v_cndmask_b32_e32 v14, v2, v4, vcc_lo
	v_lshlrev_b64 v[2:3], 3, v[14:15]
	s_delay_alu instid0(VALU_DEP_1) | instskip(NEXT) | instid1(VALU_DEP_2)
	v_add_co_u32 v2, vcc_lo, s30, v2
	v_add_co_ci_u32_e32 v3, vcc_lo, s31, v3, vcc_lo
	global_load_b128 v[2:5], v[2:3], off
	s_waitcnt vmcnt(0)
	v_sub_co_u32 v7, vcc_lo, v2, s8
	v_subrev_co_ci_u32_e32 v8, vcc_lo, s9, v3, vcc_lo
	v_mov_b32_e32 v3, v15
	v_sub_co_u32 v9, vcc_lo, v4, s8
	v_subrev_co_ci_u32_e32 v18, vcc_lo, s9, v5, vcc_lo
	s_delay_alu instid0(VALU_DEP_2) | instskip(NEXT) | instid1(VALU_DEP_2)
	v_sub_co_u32 v5, vcc_lo, v9, v7
	v_sub_co_ci_u32_e32 v4, vcc_lo, v18, v8, vcc_lo
	s_delay_alu instid0(VALU_DEP_1)
	v_cmpx_ne_u64_e32 0, v[3:4]
	s_xor_b32 s5, exec_lo, s0
	s_cbranch_execz .LBB38_188
; %bb.187:
	v_cvt_f32_ubyte0_e32 v3, 0
	s_sub_u32 s0, 0, s3
	s_subb_u32 s6, 0, 0
	s_delay_alu instid0(VALU_DEP_1) | instskip(NEXT) | instid1(VALU_DEP_1)
	v_fmamk_f32 v3, v3, 0x4f800000, v6
	v_rcp_f32_e32 v3, v3
	s_waitcnt_depctr 0xfff
	v_mul_f32_e32 v3, 0x5f7ffffc, v3
	s_delay_alu instid0(VALU_DEP_1) | instskip(NEXT) | instid1(VALU_DEP_1)
	v_mul_f32_e32 v6, 0x2f800000, v3
	v_trunc_f32_e32 v6, v6
	s_delay_alu instid0(VALU_DEP_1) | instskip(SKIP_1) | instid1(VALU_DEP_2)
	v_fmamk_f32 v3, v6, 0xcf800000, v3
	v_cvt_u32_f32_e32 v6, v6
	v_cvt_u32_f32_e32 v3, v3
	s_delay_alu instid0(VALU_DEP_2) | instskip(NEXT) | instid1(VALU_DEP_2)
	v_mul_lo_u32 v12, s0, v6
	v_mul_hi_u32 v13, s0, v3
	v_mul_lo_u32 v16, s6, v3
	s_delay_alu instid0(VALU_DEP_2) | instskip(SKIP_1) | instid1(VALU_DEP_2)
	v_add_nc_u32_e32 v12, v13, v12
	v_mul_lo_u32 v13, s0, v3
	v_add_nc_u32_e32 v12, v12, v16
	s_delay_alu instid0(VALU_DEP_2) | instskip(NEXT) | instid1(VALU_DEP_2)
	v_mul_hi_u32 v16, v3, v13
	v_mul_lo_u32 v17, v3, v12
	v_mul_hi_u32 v19, v3, v12
	v_mul_hi_u32 v20, v6, v13
	v_mul_lo_u32 v13, v6, v13
	v_mul_hi_u32 v21, v6, v12
	v_mul_lo_u32 v12, v6, v12
	v_add_co_u32 v16, vcc_lo, v16, v17
	v_add_co_ci_u32_e32 v17, vcc_lo, 0, v19, vcc_lo
	s_delay_alu instid0(VALU_DEP_2) | instskip(NEXT) | instid1(VALU_DEP_2)
	v_add_co_u32 v13, vcc_lo, v16, v13
	v_add_co_ci_u32_e32 v13, vcc_lo, v17, v20, vcc_lo
	v_add_co_ci_u32_e32 v16, vcc_lo, 0, v21, vcc_lo
	v_ashrrev_i32_e32 v20, 31, v4
	s_delay_alu instid0(VALU_DEP_3) | instskip(NEXT) | instid1(VALU_DEP_3)
	v_add_co_u32 v12, vcc_lo, v13, v12
	v_add_co_ci_u32_e32 v13, vcc_lo, 0, v16, vcc_lo
	s_delay_alu instid0(VALU_DEP_2) | instskip(NEXT) | instid1(VALU_DEP_2)
	v_add_co_u32 v3, vcc_lo, v3, v12
	v_add_co_ci_u32_e32 v6, vcc_lo, v6, v13, vcc_lo
	s_delay_alu instid0(VALU_DEP_2) | instskip(SKIP_1) | instid1(VALU_DEP_3)
	v_mul_hi_u32 v12, s0, v3
	v_mul_lo_u32 v16, s6, v3
	v_mul_lo_u32 v13, s0, v6
	s_delay_alu instid0(VALU_DEP_1) | instskip(SKIP_1) | instid1(VALU_DEP_2)
	v_add_nc_u32_e32 v12, v12, v13
	v_mul_lo_u32 v13, s0, v3
	v_add_nc_u32_e32 v12, v12, v16
	s_delay_alu instid0(VALU_DEP_2) | instskip(NEXT) | instid1(VALU_DEP_2)
	v_mul_hi_u32 v16, v3, v13
	v_mul_lo_u32 v17, v3, v12
	v_mul_hi_u32 v19, v3, v12
	v_mul_hi_u32 v21, v6, v13
	v_mul_lo_u32 v13, v6, v13
	v_mul_hi_u32 v22, v6, v12
	v_mul_lo_u32 v12, v6, v12
	v_add_co_u32 v16, vcc_lo, v16, v17
	v_add_co_ci_u32_e32 v17, vcc_lo, 0, v19, vcc_lo
	s_delay_alu instid0(VALU_DEP_2) | instskip(NEXT) | instid1(VALU_DEP_2)
	v_add_co_u32 v13, vcc_lo, v16, v13
	v_add_co_ci_u32_e32 v13, vcc_lo, v17, v21, vcc_lo
	v_add_co_ci_u32_e32 v16, vcc_lo, 0, v22, vcc_lo
	v_add_co_u32 v5, vcc_lo, v5, v20
	v_add_co_ci_u32_e32 v4, vcc_lo, v4, v20, vcc_lo
	s_delay_alu instid0(VALU_DEP_4) | instskip(NEXT) | instid1(VALU_DEP_4)
	v_add_co_u32 v12, vcc_lo, v13, v12
	v_add_co_ci_u32_e32 v13, vcc_lo, 0, v16, vcc_lo
	s_delay_alu instid0(VALU_DEP_4) | instskip(NEXT) | instid1(VALU_DEP_3)
	v_xor_b32_e32 v16, v5, v20
	v_add_co_u32 v12, vcc_lo, v3, v12
	s_delay_alu instid0(VALU_DEP_3) | instskip(SKIP_1) | instid1(VALU_DEP_3)
	v_add_co_ci_u32_e32 v17, vcc_lo, v6, v13, vcc_lo
	v_xor_b32_e32 v19, v4, v20
	v_mul_hi_u32 v21, v16, v12
	s_delay_alu instid0(VALU_DEP_3) | instskip(NEXT) | instid1(VALU_DEP_3)
	v_mad_u64_u32 v[3:4], null, v16, v17, 0
	v_mad_u64_u32 v[5:6], null, v19, v12, 0
	;; [unrolled: 1-line block ×3, first 2 shown]
	s_delay_alu instid0(VALU_DEP_3) | instskip(NEXT) | instid1(VALU_DEP_4)
	v_add_co_u32 v3, vcc_lo, v21, v3
	v_add_co_ci_u32_e32 v4, vcc_lo, 0, v4, vcc_lo
	s_delay_alu instid0(VALU_DEP_2) | instskip(NEXT) | instid1(VALU_DEP_2)
	v_add_co_u32 v3, vcc_lo, v3, v5
	v_add_co_ci_u32_e32 v3, vcc_lo, v4, v6, vcc_lo
	v_add_co_ci_u32_e32 v4, vcc_lo, 0, v13, vcc_lo
	s_delay_alu instid0(VALU_DEP_2) | instskip(NEXT) | instid1(VALU_DEP_2)
	v_add_co_u32 v12, vcc_lo, v3, v12
	v_add_co_ci_u32_e32 v13, vcc_lo, 0, v4, vcc_lo
	s_delay_alu instid0(VALU_DEP_2) | instskip(NEXT) | instid1(VALU_DEP_1)
	v_mad_u64_u32 v[3:4], null, s3, v12, 0
	v_mad_u64_u32 v[5:6], null, s3, v13, v[4:5]
	s_delay_alu instid0(VALU_DEP_2) | instskip(NEXT) | instid1(VALU_DEP_2)
	v_sub_co_u32 v3, vcc_lo, v16, v3
	v_sub_co_ci_u32_e32 v4, vcc_lo, v19, v5, vcc_lo
	s_delay_alu instid0(VALU_DEP_2) | instskip(NEXT) | instid1(VALU_DEP_2)
	v_sub_co_u32 v5, vcc_lo, v3, s3
	v_subrev_co_ci_u32_e32 v6, vcc_lo, 0, v4, vcc_lo
	s_delay_alu instid0(VALU_DEP_2)
	v_cmp_le_u32_e32 vcc_lo, s3, v5
	v_cmp_eq_u32_e64 s0, 0, v4
	v_cndmask_b32_e64 v5, 0, -1, vcc_lo
	v_add_co_u32 v16, vcc_lo, v12, 2
	v_add_co_ci_u32_e32 v17, vcc_lo, 0, v13, vcc_lo
	v_cmp_le_u32_e32 vcc_lo, s3, v3
	v_cndmask_b32_e64 v3, 0, -1, vcc_lo
	v_cmp_eq_u32_e32 vcc_lo, 0, v6
	s_delay_alu instid0(VALU_DEP_2) | instskip(SKIP_3) | instid1(VALU_DEP_3)
	v_cndmask_b32_e64 v3, -1, v3, s0
	v_cndmask_b32_e32 v5, -1, v5, vcc_lo
	v_add_co_u32 v6, vcc_lo, v12, 1
	v_add_co_ci_u32_e32 v19, vcc_lo, 0, v13, vcc_lo
	v_cmp_ne_u32_e32 vcc_lo, 0, v5
	s_delay_alu instid0(VALU_DEP_2) | instskip(SKIP_1) | instid1(VALU_DEP_2)
	v_dual_cndmask_b32 v4, v19, v17 :: v_dual_cndmask_b32 v5, v6, v16
	v_cmp_ne_u32_e32 vcc_lo, 0, v3
	v_dual_cndmask_b32 v3, v13, v4 :: v_dual_cndmask_b32 v4, v12, v5
                                        ; implicit-def: $vgpr5
	s_delay_alu instid0(VALU_DEP_1) | instskip(NEXT) | instid1(VALU_DEP_2)
	v_xor_b32_e32 v3, v3, v20
	v_xor_b32_e32 v4, v4, v20
	s_delay_alu instid0(VALU_DEP_1) | instskip(NEXT) | instid1(VALU_DEP_3)
	v_sub_co_u32 v12, vcc_lo, v4, v20
	v_sub_co_ci_u32_e32 v13, vcc_lo, v3, v20, vcc_lo
.LBB38_188:
	s_and_not1_saveexec_b32 s0, s5
	s_cbranch_execz .LBB38_190
; %bb.189:
	v_cvt_f32_u32_e32 v3, s3
	v_mov_b32_e32 v13, 0
	s_delay_alu instid0(VALU_DEP_2) | instskip(SKIP_2) | instid1(VALU_DEP_1)
	v_rcp_iflag_f32_e32 v3, v3
	s_waitcnt_depctr 0xfff
	v_mul_f32_e32 v3, 0x4f7ffffe, v3
	v_cvt_u32_f32_e32 v3, v3
	s_delay_alu instid0(VALU_DEP_1) | instskip(NEXT) | instid1(VALU_DEP_1)
	v_mul_lo_u32 v4, s1, v3
	v_mul_hi_u32 v4, v3, v4
	s_delay_alu instid0(VALU_DEP_1) | instskip(NEXT) | instid1(VALU_DEP_1)
	v_add_nc_u32_e32 v3, v3, v4
	v_mul_hi_u32 v3, v5, v3
	s_delay_alu instid0(VALU_DEP_1) | instskip(NEXT) | instid1(VALU_DEP_1)
	v_mul_lo_u32 v4, v3, s3
	v_sub_nc_u32_e32 v4, v5, v4
	v_add_nc_u32_e32 v5, 1, v3
	s_delay_alu instid0(VALU_DEP_2) | instskip(SKIP_1) | instid1(VALU_DEP_2)
	v_subrev_nc_u32_e32 v6, s3, v4
	v_cmp_le_u32_e32 vcc_lo, s3, v4
	v_dual_cndmask_b32 v4, v4, v6 :: v_dual_cndmask_b32 v3, v3, v5
	s_delay_alu instid0(VALU_DEP_1) | instskip(NEXT) | instid1(VALU_DEP_2)
	v_cmp_le_u32_e32 vcc_lo, s3, v4
	v_add_nc_u32_e32 v5, 1, v3
	s_delay_alu instid0(VALU_DEP_1)
	v_cndmask_b32_e32 v12, v3, v5, vcc_lo
.LBB38_190:
	s_or_b32 exec_lo, exec_lo, s0
	v_mov_b32_e32 v5, 0
	v_mov_b32_e32 v6, 0
	s_delay_alu instid0(VALU_DEP_2) | instskip(SKIP_1) | instid1(VALU_DEP_2)
	v_mov_b32_e32 v3, v5
	s_mov_b32 s5, exec_lo
	v_mov_b32_e32 v4, v6
	v_cmpx_gt_i64_e64 s[24:25], v[14:15]
	s_cbranch_execz .LBB38_204
; %bb.191:
	s_add_i32 s0, s3, -1
	s_delay_alu instid0(SALU_CYCLE_1) | instskip(SKIP_1) | instid1(VALU_DEP_2)
	v_dual_mov_b32 v5, 0 :: v_dual_and_b32 v14, s0, v0
	v_mov_b32_e32 v6, 0
	v_mov_b32_e32 v3, v5
	s_mov_b32 s6, exec_lo
	s_delay_alu instid0(VALU_DEP_2)
	v_mov_b32_e32 v4, v6
	v_cmpx_lt_i64_e32 0, v[12:13]
	s_cbranch_execz .LBB38_201
; %bb.192:
	v_mov_b32_e32 v3, 0
	v_dual_mov_b32 v4, 0 :: v_dual_mov_b32 v15, 0
	s_mov_b32 s7, exec_lo
	v_mov_b32_e32 v16, 0
	s_delay_alu instid0(VALU_DEP_2)
	v_dual_mov_b32 v6, v4 :: v_dual_mov_b32 v5, v3
	v_cmpx_lt_u64_e32 3, v[12:13]
	s_cbranch_execz .LBB38_196
; %bb.193:
	v_add_nc_u32_e32 v3, v14, v2
	v_dual_mov_b32 v5, 0 :: v_dual_and_b32 v16, 0x7fffffff, v13
	v_dual_mov_b32 v6, 0 :: v_dual_and_b32 v15, -4, v12
	s_delay_alu instid0(VALU_DEP_3)
	v_subrev_nc_u32_e32 v3, s8, v3
	s_lshl_b32 s9, s3, 6
	s_lshl_b32 s12, s3, 4
	s_mov_b64 s[0:1], 0
	s_mov_b32 s13, 0
	v_lshlrev_b32_e32 v17, 4, v3
	v_dual_mov_b32 v3, v5 :: v_dual_mov_b32 v4, v6
	s_set_inst_prefetch_distance 0x1
	.p2align	6
.LBB38_194:                             ; =>This Inner Loop Header: Depth=1
	ds_load_b128 v[19:22], v17
	v_add_nc_u32_e32 v25, s12, v17
	s_add_u32 s0, s0, 4
	s_addc_u32 s1, s1, 0
	s_delay_alu instid0(SALU_CYCLE_1) | instskip(NEXT) | instid1(VALU_DEP_2)
	v_cmp_eq_u64_e32 vcc_lo, s[0:1], v[15:16]
	v_add_nc_u32_e32 v33, s12, v25
	s_or_b32 s13, vcc_lo, s13
	s_delay_alu instid0(VALU_DEP_1)
	v_add_nc_u32_e32 v23, s12, v33
	ds_load_b128 v[27:30], v23
	v_add_nc_u32_e32 v17, s9, v17
	s_waitcnt lgkmcnt(1)
	v_add_f64 v[23:24], v[3:4], v[19:20]
	v_add_f64 v[31:32], v[5:6], v[21:22]
	ds_load_b128 v[3:6], v25
	ds_load_b128 v[19:22], v33
	s_waitcnt lgkmcnt(1)
	v_add_f64 v[3:4], v[23:24], v[3:4]
	v_add_f64 v[5:6], v[31:32], v[5:6]
	s_waitcnt lgkmcnt(0)
	s_delay_alu instid0(VALU_DEP_2) | instskip(NEXT) | instid1(VALU_DEP_2)
	v_add_f64 v[3:4], v[3:4], v[19:20]
	v_add_f64 v[5:6], v[5:6], v[21:22]
	s_delay_alu instid0(VALU_DEP_2) | instskip(NEXT) | instid1(VALU_DEP_2)
	v_add_f64 v[3:4], v[3:4], v[27:28]
	v_add_f64 v[5:6], v[5:6], v[29:30]
	s_and_not1_b32 exec_lo, exec_lo, s13
	s_cbranch_execnz .LBB38_194
; %bb.195:
	s_set_inst_prefetch_distance 0x2
	s_or_b32 exec_lo, exec_lo, s13
.LBB38_196:
	s_delay_alu instid0(SALU_CYCLE_1) | instskip(SKIP_2) | instid1(VALU_DEP_1)
	s_or_b32 exec_lo, exec_lo, s7
	v_dual_mov_b32 v17, 0 :: v_dual_and_b32 v16, 3, v12
	s_mov_b32 s0, exec_lo
	v_cmpx_ne_u64_e32 0, v[16:17]
	s_cbranch_execz .LBB38_200
; %bb.197:
	v_mul_lo_u32 v15, s3, v15
	s_lshl_b32 s7, s3, 4
	s_mov_b32 s1, 0
	s_delay_alu instid0(VALU_DEP_1) | instskip(NEXT) | instid1(VALU_DEP_1)
	v_add3_u32 v2, v14, v15, v2
	v_subrev_nc_u32_e32 v2, s8, v2
	s_delay_alu instid0(VALU_DEP_1)
	v_lshlrev_b32_e32 v2, 4, v2
.LBB38_198:                             ; =>This Inner Loop Header: Depth=1
	ds_load_b128 v[19:22], v2
	v_add_co_u32 v16, vcc_lo, v16, -1
	v_add_co_ci_u32_e32 v17, vcc_lo, -1, v17, vcc_lo
	v_add_nc_u32_e32 v2, s7, v2
	s_delay_alu instid0(VALU_DEP_2)
	v_cmp_eq_u64_e32 vcc_lo, 0, v[16:17]
	s_or_b32 s1, vcc_lo, s1
	s_waitcnt lgkmcnt(0)
	v_add_f64 v[3:4], v[3:4], v[19:20]
	v_add_f64 v[5:6], v[5:6], v[21:22]
	s_and_not1_b32 exec_lo, exec_lo, s1
	s_cbranch_execnz .LBB38_198
; %bb.199:
	s_or_b32 exec_lo, exec_lo, s1
.LBB38_200:
	s_delay_alu instid0(SALU_CYCLE_1)
	s_or_b32 exec_lo, exec_lo, s0
.LBB38_201:
	s_delay_alu instid0(SALU_CYCLE_1) | instskip(SKIP_2) | instid1(VALU_DEP_1)
	s_or_b32 exec_lo, exec_lo, s6
	v_mad_u64_u32 v[16:17], null, v12, s3, v[7:8]
	s_mov_b32 s0, exec_lo
	v_dual_mov_b32 v15, 0 :: v_dual_mov_b32 v2, v17
	s_delay_alu instid0(VALU_DEP_1) | instskip(NEXT) | instid1(VALU_DEP_1)
	v_mad_u64_u32 v[7:8], null, v13, s3, v[2:3]
	v_mov_b32_e32 v2, v7
	s_delay_alu instid0(VALU_DEP_4) | instskip(NEXT) | instid1(VALU_DEP_2)
	v_sub_co_u32 v7, vcc_lo, v9, v16
	v_sub_co_ci_u32_e32 v8, vcc_lo, v18, v2, vcc_lo
	s_delay_alu instid0(VALU_DEP_1)
	v_cmpx_gt_i64_e64 v[7:8], v[14:15]
	s_cbranch_execz .LBB38_203
; %bb.202:
	v_add_lshl_u32 v2, v14, v16, 4
	ds_load_b128 v[12:15], v2
	s_waitcnt lgkmcnt(0)
	v_add_f64 v[3:4], v[3:4], v[12:13]
	v_add_f64 v[5:6], v[5:6], v[14:15]
.LBB38_203:
	s_or_b32 exec_lo, exec_lo, s0
.LBB38_204:
	s_delay_alu instid0(SALU_CYCLE_1)
	s_or_b32 exec_lo, exec_lo, s5
	v_cmp_gt_i64_e32 vcc_lo, s[24:25], v[0:1]
	s_barrier
	buffer_gl0_inv
	ds_store_b128 v26, v[3:6]
	s_waitcnt lgkmcnt(0)
	s_barrier
	buffer_gl0_inv
	s_and_b32 exec_lo, exec_lo, vcc_lo
	s_cbranch_execz .LBB38_216
; %bb.205:
	v_mul_lo_u32 v1, s3, v0
	v_mov_b32_e32 v4, 0
	v_mov_b32_e32 v5, 0
	s_cmp_lt_u32 s3, 8
	s_cbranch_scc1 .LBB38_208
; %bb.206:
	v_mov_b32_e32 v8, 0
	s_delay_alu instid0(VALU_DEP_4) | instskip(NEXT) | instid1(VALU_DEP_2)
	v_dual_mov_b32 v9, 0 :: v_dual_lshlrev_b32 v2, 4, v1
	v_mov_b32_e32 v4, v8
	s_and_b32 s0, s3, 0x7ffffff8
	s_mov_b32 s1, 0
	s_delay_alu instid0(VALU_DEP_2)
	v_mov_b32_e32 v5, v9
.LBB38_207:                             ; =>This Inner Loop Header: Depth=1
	ds_load_b128 v[12:15], v2
	ds_load_b128 v[16:19], v2 offset:16
	s_add_i32 s1, s1, 8
	s_delay_alu instid0(SALU_CYCLE_1) | instskip(SKIP_4) | instid1(VALU_DEP_2)
	s_cmp_eq_u32 s0, s1
	s_waitcnt lgkmcnt(1)
	v_add_f64 v[3:4], v[4:5], v[12:13]
	v_add_f64 v[5:6], v[8:9], v[14:15]
	s_waitcnt lgkmcnt(0)
	v_add_f64 v[7:8], v[3:4], v[16:17]
	s_delay_alu instid0(VALU_DEP_2)
	v_add_f64 v[16:17], v[5:6], v[18:19]
	ds_load_b128 v[3:6], v2 offset:32
	ds_load_b128 v[12:15], v2 offset:48
	s_waitcnt lgkmcnt(1)
	v_add_f64 v[3:4], v[7:8], v[3:4]
	v_add_f64 v[5:6], v[16:17], v[5:6]
	s_waitcnt lgkmcnt(0)
	s_delay_alu instid0(VALU_DEP_2) | instskip(NEXT) | instid1(VALU_DEP_2)
	v_add_f64 v[7:8], v[3:4], v[12:13]
	v_add_f64 v[16:17], v[5:6], v[14:15]
	ds_load_b128 v[3:6], v2 offset:64
	ds_load_b128 v[12:15], v2 offset:80
	s_waitcnt lgkmcnt(1)
	v_add_f64 v[3:4], v[7:8], v[3:4]
	v_add_f64 v[5:6], v[16:17], v[5:6]
	s_waitcnt lgkmcnt(0)
	s_delay_alu instid0(VALU_DEP_2) | instskip(NEXT) | instid1(VALU_DEP_2)
	v_add_f64 v[7:8], v[3:4], v[12:13]
	v_add_f64 v[16:17], v[5:6], v[14:15]
	ds_load_b128 v[3:6], v2 offset:96
	ds_load_b128 v[12:15], v2 offset:112
	v_add_nc_u32_e32 v2, 0x80, v2
	s_waitcnt lgkmcnt(1)
	v_add_f64 v[3:4], v[7:8], v[3:4]
	v_add_f64 v[6:7], v[16:17], v[5:6]
	s_waitcnt lgkmcnt(0)
	s_delay_alu instid0(VALU_DEP_2) | instskip(NEXT) | instid1(VALU_DEP_2)
	v_add_f64 v[4:5], v[3:4], v[12:13]
	v_add_f64 v[8:9], v[6:7], v[14:15]
	s_cbranch_scc0 .LBB38_207
	s_branch .LBB38_209
.LBB38_208:
	s_delay_alu instid0(VALU_DEP_1)
	v_dual_mov_b32 v9, v5 :: v_dual_mov_b32 v8, v4
	s_mov_b32 s0, 0
.LBB38_209:
	s_bfe_u32 s1, s2, 0x30001
	s_delay_alu instid0(SALU_CYCLE_1)
	s_cmp_eq_u32 s1, 0
	s_cbranch_scc1 .LBB38_212
; %bb.210:
	v_add_lshl_u32 v1, s0, v1, 4
.LBB38_211:                             ; =>This Inner Loop Header: Depth=1
	ds_load_b128 v[12:15], v1
	v_add_nc_u32_e32 v1, 16, v1
	s_add_i32 s1, s1, -1
	s_delay_alu instid0(SALU_CYCLE_1)
	s_cmp_lg_u32 s1, 0
	s_waitcnt lgkmcnt(0)
	v_add_f64 v[4:5], v[4:5], v[12:13]
	v_add_f64 v[8:9], v[8:9], v[14:15]
	s_cbranch_scc1 .LBB38_211
.LBB38_212:
	v_lshlrev_b64 v[1:2], 4, v[10:11]
	v_lshlrev_b32_e32 v0, 4, v0
	s_lshl_b32 s0, s4, 4
	s_delay_alu instid0(VALU_DEP_1) | instid1(SALU_CYCLE_1)
	v_add3_u32 v0, 0x4000, s0, v0
	s_delay_alu instid0(VALU_DEP_3) | instskip(NEXT) | instid1(VALU_DEP_4)
	v_add_co_u32 v10, vcc_lo, s10, v1
	v_add_co_ci_u32_e32 v11, vcc_lo, s11, v2, vcc_lo
	ds_load_2addr_b64 v[0:3], v0 offset1:1
	s_mov_b32 s0, 0
	global_load_b64 v[6:7], v[10:11], off
	s_waitcnt lgkmcnt(0)
	v_add_f64 v[0:1], v[4:5], v[0:1]
.LBB38_213:                             ; =>This Inner Loop Header: Depth=1
	s_waitcnt vmcnt(0)
	s_delay_alu instid0(VALU_DEP_1)
	v_add_f64 v[4:5], v[6:7], v[0:1]
	global_atomic_cmpswap_b64 v[4:5], v[10:11], v[4:7], off glc
	s_waitcnt vmcnt(0)
	v_cmp_eq_u64_e32 vcc_lo, v[4:5], v[6:7]
	v_dual_mov_b32 v7, v5 :: v_dual_mov_b32 v6, v4
	s_or_b32 s0, vcc_lo, s0
	s_delay_alu instid0(SALU_CYCLE_1)
	s_and_not1_b32 exec_lo, exec_lo, s0
	s_cbranch_execnz .LBB38_213
; %bb.214:
	s_or_b32 exec_lo, exec_lo, s0
	global_load_b64 v[4:5], v[10:11], off offset:8
	v_add_f64 v[0:1], v[8:9], v[2:3]
	s_mov_b32 s0, 0
.LBB38_215:                             ; =>This Inner Loop Header: Depth=1
	s_waitcnt vmcnt(0)
	s_delay_alu instid0(VALU_DEP_1)
	v_add_f64 v[2:3], v[4:5], v[0:1]
	global_atomic_cmpswap_b64 v[2:3], v[10:11], v[2:5], off offset:8 glc
	s_waitcnt vmcnt(0)
	v_cmp_eq_u64_e32 vcc_lo, v[2:3], v[4:5]
	v_dual_mov_b32 v5, v3 :: v_dual_mov_b32 v4, v2
	s_or_b32 s0, vcc_lo, s0
	s_delay_alu instid0(SALU_CYCLE_1)
	s_and_not1_b32 exec_lo, exec_lo, s0
	s_cbranch_execnz .LBB38_215
.LBB38_216:
	s_endpgm
	.section	.rodata,"a",@progbits
	.p2align	6, 0x0
	.amdhsa_kernel _ZN9rocsparseL27csrmvn_symm_adaptive_kernelIli21rocsparse_complex_numIdES2_S2_S2_EEvbT_S3_PKS3_NS_24const_host_device_scalarIT4_EES5_PKT0_PKT1_PKT2_S8_PT3_21rocsparse_index_base_b
		.amdhsa_group_segment_fixed_size 16384
		.amdhsa_private_segment_fixed_size 24
		.amdhsa_kernarg_size 368
		.amdhsa_user_sgpr_count 15
		.amdhsa_user_sgpr_dispatch_ptr 0
		.amdhsa_user_sgpr_queue_ptr 0
		.amdhsa_user_sgpr_kernarg_segment_ptr 1
		.amdhsa_user_sgpr_dispatch_id 0
		.amdhsa_user_sgpr_private_segment_size 0
		.amdhsa_wavefront_size32 1
		.amdhsa_uses_dynamic_stack 0
		.amdhsa_enable_private_segment 1
		.amdhsa_system_sgpr_workgroup_id_x 1
		.amdhsa_system_sgpr_workgroup_id_y 0
		.amdhsa_system_sgpr_workgroup_id_z 0
		.amdhsa_system_sgpr_workgroup_info 0
		.amdhsa_system_vgpr_workitem_id 0
		.amdhsa_next_free_vgpr 41
		.amdhsa_next_free_sgpr 43
		.amdhsa_reserve_vcc 1
		.amdhsa_float_round_mode_32 0
		.amdhsa_float_round_mode_16_64 0
		.amdhsa_float_denorm_mode_32 3
		.amdhsa_float_denorm_mode_16_64 3
		.amdhsa_dx10_clamp 1
		.amdhsa_ieee_mode 1
		.amdhsa_fp16_overflow 0
		.amdhsa_workgroup_processor_mode 1
		.amdhsa_memory_ordered 1
		.amdhsa_forward_progress 0
		.amdhsa_shared_vgpr_count 0
		.amdhsa_exception_fp_ieee_invalid_op 0
		.amdhsa_exception_fp_denorm_src 0
		.amdhsa_exception_fp_ieee_div_zero 0
		.amdhsa_exception_fp_ieee_overflow 0
		.amdhsa_exception_fp_ieee_underflow 0
		.amdhsa_exception_fp_ieee_inexact 0
		.amdhsa_exception_int_div_zero 0
	.end_amdhsa_kernel
	.section	.text._ZN9rocsparseL27csrmvn_symm_adaptive_kernelIli21rocsparse_complex_numIdES2_S2_S2_EEvbT_S3_PKS3_NS_24const_host_device_scalarIT4_EES5_PKT0_PKT1_PKT2_S8_PT3_21rocsparse_index_base_b,"axG",@progbits,_ZN9rocsparseL27csrmvn_symm_adaptive_kernelIli21rocsparse_complex_numIdES2_S2_S2_EEvbT_S3_PKS3_NS_24const_host_device_scalarIT4_EES5_PKT0_PKT1_PKT2_S8_PT3_21rocsparse_index_base_b,comdat
.Lfunc_end38:
	.size	_ZN9rocsparseL27csrmvn_symm_adaptive_kernelIli21rocsparse_complex_numIdES2_S2_S2_EEvbT_S3_PKS3_NS_24const_host_device_scalarIT4_EES5_PKT0_PKT1_PKT2_S8_PT3_21rocsparse_index_base_b, .Lfunc_end38-_ZN9rocsparseL27csrmvn_symm_adaptive_kernelIli21rocsparse_complex_numIdES2_S2_S2_EEvbT_S3_PKS3_NS_24const_host_device_scalarIT4_EES5_PKT0_PKT1_PKT2_S8_PT3_21rocsparse_index_base_b
                                        ; -- End function
	.section	.AMDGPU.csdata,"",@progbits
; Kernel info:
; codeLenInByte = 12888
; NumSgprs: 45
; NumVgprs: 41
; ScratchSize: 24
; MemoryBound: 0
; FloatMode: 240
; IeeeMode: 1
; LDSByteSize: 16384 bytes/workgroup (compile time only)
; SGPRBlocks: 5
; VGPRBlocks: 5
; NumSGPRsForWavesPerEU: 45
; NumVGPRsForWavesPerEU: 41
; Occupancy: 16
; WaveLimiterHint : 1
; COMPUTE_PGM_RSRC2:SCRATCH_EN: 1
; COMPUTE_PGM_RSRC2:USER_SGPR: 15
; COMPUTE_PGM_RSRC2:TRAP_HANDLER: 0
; COMPUTE_PGM_RSRC2:TGID_X_EN: 1
; COMPUTE_PGM_RSRC2:TGID_Y_EN: 0
; COMPUTE_PGM_RSRC2:TGID_Z_EN: 0
; COMPUTE_PGM_RSRC2:TIDIG_COMP_CNT: 0
	.section	.text._ZL33csrmvn_symm_large_adaptive_kernelIli21rocsparse_complex_numIdES1_S1_S1_EvbT_PKS2_N9rocsparse24const_host_device_scalarIT4_EES4_PKT0_PKT1_PKT2_S8_PT3_21rocsparse_index_base_b,"axG",@progbits,_ZL33csrmvn_symm_large_adaptive_kernelIli21rocsparse_complex_numIdES1_S1_S1_EvbT_PKS2_N9rocsparse24const_host_device_scalarIT4_EES4_PKT0_PKT1_PKT2_S8_PT3_21rocsparse_index_base_b,comdat
	.globl	_ZL33csrmvn_symm_large_adaptive_kernelIli21rocsparse_complex_numIdES1_S1_S1_EvbT_PKS2_N9rocsparse24const_host_device_scalarIT4_EES4_PKT0_PKT1_PKT2_S8_PT3_21rocsparse_index_base_b ; -- Begin function _ZL33csrmvn_symm_large_adaptive_kernelIli21rocsparse_complex_numIdES1_S1_S1_EvbT_PKS2_N9rocsparse24const_host_device_scalarIT4_EES4_PKT0_PKT1_PKT2_S8_PT3_21rocsparse_index_base_b
	.p2align	8
	.type	_ZL33csrmvn_symm_large_adaptive_kernelIli21rocsparse_complex_numIdES1_S1_S1_EvbT_PKS2_N9rocsparse24const_host_device_scalarIT4_EES4_PKT0_PKT1_PKT2_S8_PT3_21rocsparse_index_base_b,@function
_ZL33csrmvn_symm_large_adaptive_kernelIli21rocsparse_complex_numIdES1_S1_S1_EvbT_PKS2_N9rocsparse24const_host_device_scalarIT4_EES4_PKT0_PKT1_PKT2_S8_PT3_21rocsparse_index_base_b: ; @_ZL33csrmvn_symm_large_adaptive_kernelIli21rocsparse_complex_numIdES1_S1_S1_EvbT_PKS2_N9rocsparse24const_host_device_scalarIT4_EES4_PKT0_PKT1_PKT2_S8_PT3_21rocsparse_index_base_b
; %bb.0:
	s_clause 0x2
	s_load_b64 s[20:21], s[0:1], 0x60
	s_load_b128 s[8:11], s[0:1], 0x18
	s_load_b128 s[4:7], s[0:1], 0x48
	s_mov_b64 s[2:3], src_private_base
	v_mov_b32_e32 v1, 0
	s_mov_b32 s12, s15
	s_waitcnt lgkmcnt(0)
	s_bitcmp1_b32 s21, 0
	v_dual_mov_b32 v3, s8 :: v_dual_mov_b32 v6, s5
	s_cselect_b32 s2, -1, 0
	v_mov_b32_e32 v4, s9
	s_and_b32 vcc_lo, s2, exec_lo
	s_cselect_b32 s13, s3, s9
	v_cndmask_b32_e64 v1, s8, v1, s2
	v_dual_mov_b32 v5, s4 :: v_dual_mov_b32 v2, s13
	s_clause 0x1
	scratch_store_b64 off, v[3:4], off
	scratch_store_b64 off, v[5:6], off offset:8
	v_dual_mov_b32 v10, s10 :: v_dual_mov_b32 v11, s11
	flat_load_b64 v[8:9], v[1:2]
	s_xor_b32 s10, s2, -1
	s_cbranch_vccnz .LBB39_2
; %bb.1:
	v_dual_mov_b32 v1, s8 :: v_dual_mov_b32 v2, s9
	flat_load_b64 v[10:11], v[1:2] offset:8
.LBB39_2:
	s_and_b32 s8, s2, exec_lo
	s_cselect_b32 s3, s3, s5
	s_delay_alu instid0(SALU_CYCLE_1) | instskip(SKIP_2) | instid1(VALU_DEP_2)
	v_dual_mov_b32 v1, 8 :: v_dual_mov_b32 v2, s3
	v_dual_mov_b32 v3, s6 :: v_dual_mov_b32 v4, s7
	s_and_not1_b32 vcc_lo, exec_lo, s10
	v_cndmask_b32_e64 v1, s4, v1, s2
	flat_load_b64 v[1:2], v[1:2]
	s_cbranch_vccnz .LBB39_4
; %bb.3:
	v_dual_mov_b32 v3, s4 :: v_dual_mov_b32 v4, s5
	flat_load_b64 v[3:4], v[3:4] offset:8
.LBB39_4:
	s_waitcnt vmcnt(1) lgkmcnt(1)
	v_cmp_eq_f64_e32 vcc_lo, 0, v[8:9]
	v_cmp_eq_f64_e64 s2, 0, v[10:11]
	s_delay_alu instid0(VALU_DEP_1)
	s_and_b32 s4, vcc_lo, s2
	s_mov_b32 s2, -1
	s_and_saveexec_b32 s3, s4
	s_cbranch_execz .LBB39_6
; %bb.5:
	s_waitcnt vmcnt(0) lgkmcnt(0)
	v_cmp_neq_f64_e32 vcc_lo, 1.0, v[1:2]
	v_cmp_neq_f64_e64 s2, 0, v[3:4]
	s_delay_alu instid0(VALU_DEP_1) | instskip(NEXT) | instid1(SALU_CYCLE_1)
	s_or_b32 s2, vcc_lo, s2
	s_or_not1_b32 s2, s2, exec_lo
.LBB39_6:
	s_or_b32 exec_lo, exec_lo, s3
	s_and_saveexec_b32 s3, s2
	s_cbranch_execz .LBB39_51
; %bb.7:
	s_clause 0x1
	s_load_b32 s2, s[0:1], 0x0
	s_load_b64 s[8:9], s[0:1], 0x10
	s_mov_b32 s4, 0
	s_delay_alu instid0(SALU_CYCLE_1)
	s_mov_b32 s5, s4
	s_mov_b32 s6, s4
	;; [unrolled: 1-line block ×3, first 2 shown]
	s_waitcnt vmcnt(0) lgkmcnt(0)
	v_dual_mov_b32 v1, s4 :: v_dual_lshlrev_b32 v14, 4, v0
	v_dual_mov_b32 v2, s5 :: v_dual_mov_b32 v3, s6
	v_mov_b32_e32 v4, s7
	ds_store_b128 v14, v[1:4]
	ds_store_b128 v14, v[1:4] offset:4096
	ds_store_b128 v14, v[1:4] offset:8192
	;; [unrolled: 1-line block ×3, first 2 shown]
	s_waitcnt lgkmcnt(0)
	s_waitcnt_vscnt null, 0x0
	s_barrier
	s_bitcmp1_b32 s2, 0
	buffer_gl0_inv
	s_cselect_b32 s2, -1, 0
	s_ashr_i32 s13, s12, 31
	s_delay_alu instid0(SALU_CYCLE_1) | instskip(NEXT) | instid1(SALU_CYCLE_1)
	s_lshl_b64 s[6:7], s[12:13], 3
	s_add_u32 s6, s8, s6
	s_addc_u32 s7, s9, s7
	s_load_b128 s[16:19], s[6:7], 0x0
	s_clause 0x1
	s_load_b64 s[22:23], s[0:1], 0x58
	s_load_b256 s[8:15], s[0:1], 0x28
	v_sub_co_u32 v15, s1, v0, s20
	s_delay_alu instid0(VALU_DEP_1) | instskip(SKIP_2) | instid1(VALU_DEP_1)
	v_sub_co_ci_u32_e64 v16, null, 0, 0, s1
	s_waitcnt lgkmcnt(0)
	v_cmp_lt_i64_e64 s0, s[16:17], s[18:19]
	s_and_b32 vcc_lo, exec_lo, s0
	s_cbranch_vccnz .LBB39_9
; %bb.8:
	s_lshl_b64 s[0:1], s[16:17], 3
	s_delay_alu instid0(SALU_CYCLE_1)
	s_add_u32 s0, s8, s0
	s_addc_u32 s1, s9, s1
	s_load_b64 s[24:25], s[0:1], 0x0
	s_and_not1_b32 vcc_lo, exec_lo, s4
	s_cbranch_vccz .LBB39_10
	s_branch .LBB39_39
.LBB39_9:
                                        ; implicit-def: $sgpr24_sgpr25
.LBB39_10:
	s_lshl_b64 s[0:1], s[16:17], 3
	v_cmp_gt_u32_e64 s3, 16, v0
	s_add_u32 s0, s8, s0
	s_addc_u32 s1, s9, s1
	v_cmp_gt_u32_e64 s4, 4, v0
	s_waitcnt lgkmcnt(0)
	s_load_b64 s[24:25], s[0:1], 0x0
	v_cmp_gt_u32_e64 s0, 0x100, v0
	v_cmp_gt_u32_e64 s1, 64, v0
	v_cmp_eq_u32_e64 s5, 0, v0
	v_mov_b32_e32 v17, 0
	s_add_u32 s21, s8, 8
	s_addc_u32 s33, s9, 0
	s_add_u32 s34, s12, 8
	s_addc_u32 s35, s13, 0
	s_mov_b64 s[26:27], s[16:17]
	s_waitcnt lgkmcnt(0)
	s_mov_b64 s[28:29], s[24:25]
	s_branch .LBB39_12
.LBB39_11:                              ;   in Loop: Header=BB39_12 Depth=1
	s_or_b32 exec_lo, exec_lo, s30
	s_add_u32 s26, s26, 1
	s_addc_u32 s27, s27, 0
	s_delay_alu instid0(SALU_CYCLE_1) | instskip(NEXT) | instid1(VALU_DEP_1)
	v_cmp_ge_i64_e64 s6, s[26:27], s[18:19]
	s_and_b32 vcc_lo, exec_lo, s6
	s_cbranch_vccnz .LBB39_39
.LBB39_12:                              ; =>This Loop Header: Depth=1
                                        ;     Child Loop BB39_14 Depth 2
                                        ;     Child Loop BB39_28 Depth 2
	;; [unrolled: 1-line block ×5, first 2 shown]
	s_lshl_b64 s[6:7], s[26:27], 3
	s_mov_b64 s[30:31], s[28:29]
	s_add_u32 s6, s21, s6
	s_addc_u32 s7, s33, s7
	v_mov_b32_e32 v2, 0
	s_load_b64 s[28:29], s[6:7], 0x0
	v_mov_b32_e32 v3, 0
	v_add_co_u32 v4, vcc_lo, s30, v15
	v_add_co_ci_u32_e32 v5, vcc_lo, s31, v16, vcc_lo
	s_delay_alu instid0(VALU_DEP_3) | instskip(SKIP_4) | instid1(SALU_CYCLE_1)
	v_dual_mov_b32 v0, v2 :: v_dual_mov_b32 v1, v3
	s_mov_b32 s7, exec_lo
	s_waitcnt lgkmcnt(0)
	s_sub_u32 s30, s28, s20
	s_subb_u32 s31, s29, 0
	v_cmpx_gt_i64_e64 s[30:31], v[4:5]
	s_cbranch_execz .LBB39_16
; %bb.13:                               ;   in Loop: Header=BB39_12 Depth=1
	v_lshlrev_b64 v[0:1], 2, v[4:5]
	v_lshlrev_b64 v[12:13], 4, v[4:5]
	v_mov_b32_e32 v2, 0
	v_mov_b32_e32 v3, 0
	s_mov_b32 s36, 0
	s_delay_alu instid0(VALU_DEP_4)
	v_add_co_u32 v6, vcc_lo, s10, v0
	v_add_co_ci_u32_e32 v7, vcc_lo, s11, v1, vcc_lo
	v_add_co_u32 v12, vcc_lo, s34, v12
	v_add_co_ci_u32_e32 v13, vcc_lo, s35, v13, vcc_lo
	v_dual_mov_b32 v0, v2 :: v_dual_mov_b32 v1, v3
	s_set_inst_prefetch_distance 0x1
	.p2align	6
.LBB39_14:                              ;   Parent Loop BB39_12 Depth=1
                                        ; =>  This Inner Loop Header: Depth=2
	global_load_b32 v18, v[6:7], off
	s_waitcnt vmcnt(0)
	v_subrev_nc_u32_e32 v18, s20, v18
	s_delay_alu instid0(VALU_DEP_1) | instskip(NEXT) | instid1(VALU_DEP_1)
	v_ashrrev_i32_e32 v19, 31, v18
	v_lshlrev_b64 v[22:23], 4, v[18:19]
	global_load_b128 v[18:21], v[12:13], off offset:-8
	v_add_co_u32 v12, s6, 0x1000, v12
	s_delay_alu instid0(VALU_DEP_1)
	v_add_co_ci_u32_e64 v13, s6, 0, v13, s6
	v_add_co_u32 v22, vcc_lo, s14, v22
	v_add_co_ci_u32_e32 v23, vcc_lo, s15, v23, vcc_lo
	v_add_co_u32 v4, vcc_lo, 0x100, v4
	v_add_co_ci_u32_e32 v5, vcc_lo, 0, v5, vcc_lo
	global_load_b128 v[22:25], v[22:23], off
	v_add_co_u32 v6, vcc_lo, 0x400, v6
	v_add_co_ci_u32_e32 v7, vcc_lo, 0, v7, vcc_lo
	v_cmp_le_i64_e32 vcc_lo, s[30:31], v[4:5]
	s_or_b32 s36, vcc_lo, s36
	s_waitcnt vmcnt(1)
	v_xor_b32_e32 v26, 0x80000000, v21
	s_delay_alu instid0(VALU_DEP_1) | instskip(SKIP_2) | instid1(VALU_DEP_2)
	v_cndmask_b32_e64 v21, v21, v26, s2
	s_waitcnt vmcnt(0)
	v_fma_f64 v[0:1], v[18:19], v[22:23], v[0:1]
	v_fma_f64 v[2:3], v[20:21], v[22:23], v[2:3]
	s_delay_alu instid0(VALU_DEP_2) | instskip(NEXT) | instid1(VALU_DEP_2)
	v_fma_f64 v[0:1], -v[20:21], v[24:25], v[0:1]
	v_fma_f64 v[2:3], v[18:19], v[24:25], v[2:3]
	s_and_not1_b32 exec_lo, exec_lo, s36
	s_cbranch_execnz .LBB39_14
; %bb.15:                               ;   in Loop: Header=BB39_12 Depth=1
	s_set_inst_prefetch_distance 0x2
	s_or_b32 exec_lo, exec_lo, s36
.LBB39_16:                              ;   in Loop: Header=BB39_12 Depth=1
	s_delay_alu instid0(SALU_CYCLE_1)
	s_or_b32 exec_lo, exec_lo, s7
	ds_store_b128 v14, v[0:3]
	s_waitcnt lgkmcnt(0)
	s_barrier
	buffer_gl0_inv
	s_and_saveexec_b32 s6, s0
	s_cbranch_execz .LBB39_18
; %bb.17:                               ;   in Loop: Header=BB39_12 Depth=1
	ds_load_b128 v[0:3], v14 offset:4096
	ds_load_b128 v[4:7], v14 offset:8192
	ds_load_b128 v[18:21], v14 offset:12288
	ds_load_b128 v[22:25], v14
	s_waitcnt lgkmcnt(2)
	v_add_f64 v[0:1], v[4:5], v[0:1]
	v_add_f64 v[2:3], v[6:7], v[2:3]
	s_waitcnt lgkmcnt(1)
	s_delay_alu instid0(VALU_DEP_2) | instskip(NEXT) | instid1(VALU_DEP_2)
	v_add_f64 v[0:1], v[0:1], v[18:19]
	v_add_f64 v[2:3], v[2:3], v[20:21]
	s_waitcnt lgkmcnt(0)
	s_delay_alu instid0(VALU_DEP_2) | instskip(NEXT) | instid1(VALU_DEP_2)
	v_add_f64 v[0:1], v[0:1], v[22:23]
	v_add_f64 v[2:3], v[2:3], v[24:25]
	ds_store_b128 v14, v[0:3]
.LBB39_18:                              ;   in Loop: Header=BB39_12 Depth=1
	s_or_b32 exec_lo, exec_lo, s6
	s_waitcnt lgkmcnt(0)
	s_barrier
	buffer_gl0_inv
	s_and_saveexec_b32 s6, s1
	s_cbranch_execz .LBB39_20
; %bb.19:                               ;   in Loop: Header=BB39_12 Depth=1
	ds_load_b128 v[0:3], v14 offset:1024
	ds_load_b128 v[4:7], v14 offset:2048
	ds_load_b128 v[18:21], v14 offset:3072
	ds_load_b128 v[22:25], v14
	s_waitcnt lgkmcnt(2)
	v_add_f64 v[0:1], v[4:5], v[0:1]
	v_add_f64 v[2:3], v[6:7], v[2:3]
	s_waitcnt lgkmcnt(1)
	s_delay_alu instid0(VALU_DEP_2) | instskip(NEXT) | instid1(VALU_DEP_2)
	v_add_f64 v[0:1], v[0:1], v[18:19]
	v_add_f64 v[2:3], v[2:3], v[20:21]
	s_waitcnt lgkmcnt(0)
	s_delay_alu instid0(VALU_DEP_2) | instskip(NEXT) | instid1(VALU_DEP_2)
	v_add_f64 v[0:1], v[0:1], v[22:23]
	v_add_f64 v[2:3], v[2:3], v[24:25]
	ds_store_b128 v14, v[0:3]
.LBB39_20:                              ;   in Loop: Header=BB39_12 Depth=1
	s_or_b32 exec_lo, exec_lo, s6
	s_waitcnt lgkmcnt(0)
	s_barrier
	buffer_gl0_inv
	s_and_saveexec_b32 s6, s3
	s_cbranch_execz .LBB39_22
; %bb.21:                               ;   in Loop: Header=BB39_12 Depth=1
	ds_load_b128 v[0:3], v14 offset:256
	ds_load_b128 v[4:7], v14 offset:512
	ds_load_b128 v[18:21], v14 offset:768
	ds_load_b128 v[22:25], v14
	s_waitcnt lgkmcnt(2)
	v_add_f64 v[0:1], v[4:5], v[0:1]
	v_add_f64 v[2:3], v[6:7], v[2:3]
	s_waitcnt lgkmcnt(1)
	s_delay_alu instid0(VALU_DEP_2) | instskip(NEXT) | instid1(VALU_DEP_2)
	v_add_f64 v[0:1], v[0:1], v[18:19]
	v_add_f64 v[2:3], v[2:3], v[20:21]
	s_waitcnt lgkmcnt(0)
	s_delay_alu instid0(VALU_DEP_2) | instskip(NEXT) | instid1(VALU_DEP_2)
	v_add_f64 v[0:1], v[0:1], v[22:23]
	v_add_f64 v[2:3], v[2:3], v[24:25]
	ds_store_b128 v14, v[0:3]
.LBB39_22:                              ;   in Loop: Header=BB39_12 Depth=1
	s_or_b32 exec_lo, exec_lo, s6
	s_waitcnt lgkmcnt(0)
	s_barrier
	buffer_gl0_inv
	s_and_saveexec_b32 s6, s4
	s_cbranch_execz .LBB39_24
; %bb.23:                               ;   in Loop: Header=BB39_12 Depth=1
	ds_load_b128 v[0:3], v14 offset:64
	ds_load_b128 v[4:7], v14 offset:128
	ds_load_b128 v[18:21], v14 offset:192
	ds_load_b128 v[22:25], v14
	s_waitcnt lgkmcnt(2)
	v_add_f64 v[0:1], v[4:5], v[0:1]
	v_add_f64 v[2:3], v[6:7], v[2:3]
	s_waitcnt lgkmcnt(1)
	s_delay_alu instid0(VALU_DEP_2) | instskip(NEXT) | instid1(VALU_DEP_2)
	v_add_f64 v[0:1], v[0:1], v[18:19]
	v_add_f64 v[2:3], v[2:3], v[20:21]
	s_waitcnt lgkmcnt(0)
	s_delay_alu instid0(VALU_DEP_2) | instskip(NEXT) | instid1(VALU_DEP_2)
	v_add_f64 v[0:1], v[0:1], v[22:23]
	v_add_f64 v[2:3], v[2:3], v[24:25]
	ds_store_b128 v14, v[0:3]
.LBB39_24:                              ;   in Loop: Header=BB39_12 Depth=1
	s_or_b32 exec_lo, exec_lo, s6
	s_waitcnt lgkmcnt(0)
	s_barrier
	buffer_gl0_inv
	s_and_saveexec_b32 s6, s5
	s_cbranch_execz .LBB39_26
; %bb.25:                               ;   in Loop: Header=BB39_12 Depth=1
	ds_load_b128 v[0:3], v17 offset:16
	ds_load_b128 v[4:7], v17 offset:32
	ds_load_b128 v[18:21], v17 offset:48
	ds_load_b128 v[22:25], v14
	s_waitcnt lgkmcnt(2)
	v_add_f64 v[0:1], v[4:5], v[0:1]
	v_add_f64 v[2:3], v[6:7], v[2:3]
	s_waitcnt lgkmcnt(1)
	s_delay_alu instid0(VALU_DEP_2) | instskip(NEXT) | instid1(VALU_DEP_2)
	v_add_f64 v[0:1], v[0:1], v[18:19]
	v_add_f64 v[2:3], v[2:3], v[20:21]
	s_waitcnt lgkmcnt(0)
	s_delay_alu instid0(VALU_DEP_2) | instskip(NEXT) | instid1(VALU_DEP_2)
	v_add_f64 v[0:1], v[0:1], v[22:23]
	v_add_f64 v[2:3], v[2:3], v[24:25]
	ds_store_b128 v14, v[0:3]
.LBB39_26:                              ;   in Loop: Header=BB39_12 Depth=1
	s_or_b32 exec_lo, exec_lo, s6
	s_waitcnt lgkmcnt(0)
	s_barrier
	buffer_gl0_inv
	s_and_saveexec_b32 s30, s5
	s_cbranch_execz .LBB39_11
; %bb.27:                               ;   in Loop: Header=BB39_12 Depth=1
	ds_load_b128 v[0:3], v17
	v_mov_b32_e32 v12, 0
	v_bfrev_b32_e32 v13, 1
	s_mov_b32 s6, exec_lo
	s_waitcnt lgkmcnt(0)
	v_mul_f64 v[4:5], v[2:3], -v[10:11]
	s_delay_alu instid0(VALU_DEP_1)
	v_fma_f64 v[4:5], v[8:9], v[0:1], v[4:5]
.LBB39_28:                              ;   Parent Loop BB39_12 Depth=1
                                        ; =>  This Inner Loop Header: Depth=2
	s_ctz_i32_b32 s7, s6
	s_delay_alu instid0(VALU_DEP_1) | instid1(SALU_CYCLE_1)
	v_readlane_b32 s37, v5, s7
	s_delay_alu instid0(VALU_DEP_2) | instskip(SKIP_1) | instid1(SALU_CYCLE_1)
	v_readlane_b32 s36, v4, s7
	s_lshl_b32 s7, 1, s7
	s_and_not1_b32 s6, s6, s7
	s_delay_alu instid0(VALU_DEP_1)
	v_add_f64 v[12:13], v[12:13], s[36:37]
	s_cmp_lg_u32 s6, 0
	s_cbranch_scc1 .LBB39_28
; %bb.29:                               ;   in Loop: Header=BB39_12 Depth=1
	v_mbcnt_lo_u32_b32 v4, exec_lo, 0
	s_lshl_b64 s[6:7], s[26:27], 4
	s_mov_b32 s31, exec_lo
	s_add_u32 s6, s22, s6
	s_addc_u32 s7, s23, s7
	v_cmpx_eq_u32_e32 0, v4
	s_xor_b32 s31, exec_lo, s31
	s_cbranch_execz .LBB39_33
; %bb.30:                               ;   in Loop: Header=BB39_12 Depth=1
	global_load_b64 v[6:7], v17, s[6:7]
	s_mov_b32 s36, 0
.LBB39_31:                              ;   Parent Loop BB39_12 Depth=1
                                        ; =>  This Inner Loop Header: Depth=2
	s_waitcnt vmcnt(0)
	v_add_f64 v[4:5], v[6:7], v[12:13]
	global_atomic_cmpswap_b64 v[4:5], v17, v[4:7], s[6:7] glc
	s_waitcnt vmcnt(0)
	v_cmp_eq_u64_e32 vcc_lo, v[4:5], v[6:7]
	v_dual_mov_b32 v7, v5 :: v_dual_mov_b32 v6, v4
	s_or_b32 s36, vcc_lo, s36
	s_delay_alu instid0(SALU_CYCLE_1)
	s_and_not1_b32 exec_lo, exec_lo, s36
	s_cbranch_execnz .LBB39_31
; %bb.32:                               ;   in Loop: Header=BB39_12 Depth=1
	s_or_b32 exec_lo, exec_lo, s36
.LBB39_33:                              ;   in Loop: Header=BB39_12 Depth=1
	s_delay_alu instid0(SALU_CYCLE_1) | instskip(SKIP_4) | instid1(VALU_DEP_3)
	s_or_b32 exec_lo, exec_lo, s31
	v_mul_f64 v[2:3], v[8:9], v[2:3]
	v_mov_b32_e32 v4, 0
	v_bfrev_b32_e32 v5, 1
	s_mov_b32 s31, exec_lo
	v_fma_f64 v[0:1], v[10:11], v[0:1], v[2:3]
.LBB39_34:                              ;   Parent Loop BB39_12 Depth=1
                                        ; =>  This Inner Loop Header: Depth=2
	s_ctz_i32_b32 s38, s31
	s_delay_alu instid0(VALU_DEP_1) | instid1(SALU_CYCLE_1)
	v_readlane_b32 s37, v1, s38
	s_delay_alu instid0(VALU_DEP_2) | instskip(NEXT) | instid1(VALU_DEP_1)
	v_readlane_b32 s36, v0, s38
	v_add_f64 v[4:5], v[4:5], s[36:37]
	s_lshl_b32 s36, 1, s38
	s_delay_alu instid0(SALU_CYCLE_1) | instskip(NEXT) | instid1(SALU_CYCLE_1)
	s_and_not1_b32 s31, s31, s36
	s_cmp_lg_u32 s31, 0
	s_cbranch_scc1 .LBB39_34
; %bb.35:                               ;   in Loop: Header=BB39_12 Depth=1
	v_mbcnt_lo_u32_b32 v0, exec_lo, 0
	s_mov_b32 s31, exec_lo
	s_delay_alu instid0(VALU_DEP_1)
	v_cmpx_eq_u32_e32 0, v0
	s_xor_b32 s31, exec_lo, s31
	s_cbranch_execz .LBB39_11
; %bb.36:                               ;   in Loop: Header=BB39_12 Depth=1
	global_load_b64 v[2:3], v17, s[6:7] offset:8
	s_mov_b32 s31, 0
.LBB39_37:                              ;   Parent Loop BB39_12 Depth=1
                                        ; =>  This Inner Loop Header: Depth=2
	s_waitcnt vmcnt(0)
	v_add_f64 v[0:1], v[2:3], v[4:5]
	global_atomic_cmpswap_b64 v[0:1], v17, v[0:3], s[6:7] offset:8 glc
	s_waitcnt vmcnt(0)
	v_cmp_eq_u64_e32 vcc_lo, v[0:1], v[2:3]
	v_dual_mov_b32 v3, v1 :: v_dual_mov_b32 v2, v0
	s_or_b32 s31, vcc_lo, s31
	s_delay_alu instid0(SALU_CYCLE_1)
	s_and_not1_b32 exec_lo, exec_lo, s31
	s_cbranch_execnz .LBB39_37
; %bb.38:                               ;   in Loop: Header=BB39_12 Depth=1
	s_or_b32 exec_lo, exec_lo, s31
	s_branch .LBB39_11
.LBB39_39:
	s_lshl_b64 s[0:1], s[18:19], 3
	s_waitcnt lgkmcnt(0)
	v_add_co_u32 v12, vcc_lo, s24, v15
	s_add_u32 s0, s8, s0
	s_addc_u32 s1, s9, s1
	v_add_co_ci_u32_e32 v13, vcc_lo, s25, v16, vcc_lo
	s_load_b64 s[0:1], s[0:1], 0x0
	s_waitcnt lgkmcnt(0)
	s_sub_u32 s4, s0, s20
	s_subb_u32 s5, s1, 0
	s_delay_alu instid0(SALU_CYCLE_1)
	v_cmp_gt_i64_e32 vcc_lo, s[4:5], v[12:13]
	s_and_b32 exec_lo, exec_lo, vcc_lo
	s_cbranch_execz .LBB39_51
; %bb.40:
	s_add_u32 s6, s18, -1
	s_addc_u32 s7, s19, -1
	s_add_u32 s0, s18, -2
	v_cmp_gt_i64_e64 s3, s[6:7], s[16:17]
	s_addc_u32 s1, s19, -1
	s_delay_alu instid0(SALU_CYCLE_1)
	s_cmp_lg_u64 s[0:1], s[16:17]
	s_cselect_b32 s0, -1, 0
	s_delay_alu instid0(VALU_DEP_1) | instid1(SALU_CYCLE_1)
	s_and_b32 s1, s3, s0
	s_mov_b32 s3, 0
	s_branch .LBB39_42
.LBB39_41:                              ;   in Loop: Header=BB39_42 Depth=1
	s_or_b32 exec_lo, exec_lo, s0
	v_add_co_u32 v12, vcc_lo, 0x100, v12
	v_add_co_ci_u32_e32 v13, vcc_lo, 0, v13, vcc_lo
	s_delay_alu instid0(VALU_DEP_1) | instskip(SKIP_1) | instid1(SALU_CYCLE_1)
	v_cmp_le_i64_e32 vcc_lo, s[4:5], v[12:13]
	s_or_b32 s3, vcc_lo, s3
	s_and_not1_b32 exec_lo, exec_lo, s3
	s_cbranch_execz .LBB39_51
.LBB39_42:                              ; =>This Loop Header: Depth=1
                                        ;     Child Loop BB39_44 Depth 2
                                        ;     Child Loop BB39_48 Depth 2
	;; [unrolled: 1-line block ×3, first 2 shown]
	v_dual_mov_b32 v0, s16 :: v_dual_mov_b32 v1, s17
	v_dual_mov_b32 v2, s6 :: v_dual_mov_b32 v3, s7
	s_and_not1_b32 vcc_lo, exec_lo, s1
	s_cbranch_vccnz .LBB39_46
; %bb.43:                               ;   in Loop: Header=BB39_42 Depth=1
	v_dual_mov_b32 v0, s16 :: v_dual_mov_b32 v1, s17
	v_dual_mov_b32 v2, s6 :: v_dual_mov_b32 v3, s7
	s_mov_b32 s18, 0
	s_set_inst_prefetch_distance 0x1
	.p2align	6
.LBB39_44:                              ;   Parent Loop BB39_42 Depth=1
                                        ; =>  This Inner Loop Header: Depth=2
	s_delay_alu instid0(VALU_DEP_1) | instskip(NEXT) | instid1(VALU_DEP_2)
	v_add_co_u32 v4, vcc_lo, v2, v0
	v_add_co_ci_u32_e32 v5, vcc_lo, v3, v1, vcc_lo
	s_delay_alu instid0(VALU_DEP_1) | instskip(NEXT) | instid1(VALU_DEP_1)
	v_lshrrev_b32_e32 v6, 31, v5
	v_add_co_u32 v4, vcc_lo, v4, v6
	v_add_co_ci_u32_e32 v5, vcc_lo, 0, v5, vcc_lo
	s_delay_alu instid0(VALU_DEP_1) | instskip(NEXT) | instid1(VALU_DEP_1)
	v_ashrrev_i64 v[4:5], 1, v[4:5]
	v_lshlrev_b64 v[6:7], 3, v[4:5]
	s_delay_alu instid0(VALU_DEP_1) | instskip(NEXT) | instid1(VALU_DEP_2)
	v_add_co_u32 v6, vcc_lo, s8, v6
	v_add_co_ci_u32_e32 v7, vcc_lo, s9, v7, vcc_lo
	global_load_b64 v[6:7], v[6:7], off
	s_waitcnt vmcnt(0)
	v_sub_co_u32 v6, vcc_lo, v6, s20
	v_subrev_co_ci_u32_e32 v7, vcc_lo, 0, v7, vcc_lo
	s_delay_alu instid0(VALU_DEP_1) | instskip(SKIP_2) | instid1(VALU_DEP_2)
	v_cmp_gt_i64_e32 vcc_lo, v[6:7], v[12:13]
	v_dual_cndmask_b32 v3, v3, v5 :: v_dual_cndmask_b32 v2, v2, v4
	v_dual_cndmask_b32 v1, v5, v1 :: v_dual_cndmask_b32 v0, v4, v0
	v_add_co_u32 v4, vcc_lo, v2, -1
	s_delay_alu instid0(VALU_DEP_3) | instskip(NEXT) | instid1(VALU_DEP_3)
	v_add_co_ci_u32_e32 v5, vcc_lo, -1, v3, vcc_lo
	v_cmp_ge_i64_e32 vcc_lo, v[0:1], v[2:3]
	s_delay_alu instid0(VALU_DEP_2) | instskip(NEXT) | instid1(VALU_DEP_1)
	v_cmp_eq_u64_e64 s0, v[0:1], v[4:5]
	s_or_b32 s0, vcc_lo, s0
	s_delay_alu instid0(SALU_CYCLE_1) | instskip(NEXT) | instid1(SALU_CYCLE_1)
	s_and_b32 s0, exec_lo, s0
	s_or_b32 s18, s0, s18
	s_delay_alu instid0(SALU_CYCLE_1)
	s_and_not1_b32 exec_lo, exec_lo, s18
	s_cbranch_execnz .LBB39_44
; %bb.45:                               ;   in Loop: Header=BB39_42 Depth=1
	s_set_inst_prefetch_distance 0x2
	s_or_b32 exec_lo, exec_lo, s18
.LBB39_46:                              ;   in Loop: Header=BB39_42 Depth=1
	s_delay_alu instid0(VALU_DEP_1) | instskip(SKIP_2) | instid1(VALU_DEP_2)
	v_lshlrev_b64 v[4:5], 3, v[2:3]
	v_lshlrev_b64 v[6:7], 2, v[12:13]
	s_mov_b32 s0, exec_lo
	v_add_co_u32 v4, vcc_lo, s8, v4
	s_delay_alu instid0(VALU_DEP_3) | instskip(NEXT) | instid1(VALU_DEP_3)
	v_add_co_ci_u32_e32 v5, vcc_lo, s9, v5, vcc_lo
	v_add_co_u32 v6, vcc_lo, s10, v6
	s_delay_alu instid0(VALU_DEP_4)
	v_add_co_ci_u32_e32 v7, vcc_lo, s11, v7, vcc_lo
	global_load_b64 v[4:5], v[4:5], off
	global_load_b32 v6, v[6:7], off
	s_waitcnt vmcnt(1)
	v_sub_co_u32 v4, vcc_lo, v4, s20
	v_subrev_co_ci_u32_e32 v5, vcc_lo, 0, v5, vcc_lo
	s_delay_alu instid0(VALU_DEP_1) | instskip(SKIP_2) | instid1(VALU_DEP_1)
	v_cmp_gt_i64_e32 vcc_lo, v[4:5], v[12:13]
	s_waitcnt vmcnt(0)
	v_subrev_nc_u32_e32 v4, s20, v6
	v_ashrrev_i32_e32 v5, 31, v4
	v_dual_cndmask_b32 v1, v3, v1 :: v_dual_cndmask_b32 v0, v2, v0
	s_delay_alu instid0(VALU_DEP_1)
	v_cmpx_ne_u64_e64 v[0:1], v[4:5]
	s_cbranch_execz .LBB39_41
; %bb.47:                               ;   in Loop: Header=BB39_42 Depth=1
	v_lshlrev_b64 v[2:3], 4, v[12:13]
	v_lshlrev_b64 v[0:1], 4, v[0:1]
	;; [unrolled: 1-line block ×3, first 2 shown]
	s_mov_b32 s18, 0
	s_delay_alu instid0(VALU_DEP_3) | instskip(NEXT) | instid1(VALU_DEP_4)
	v_add_co_u32 v2, vcc_lo, s12, v2
	v_add_co_ci_u32_e32 v3, vcc_lo, s13, v3, vcc_lo
	s_delay_alu instid0(VALU_DEP_4)
	v_add_co_u32 v0, vcc_lo, s14, v0
	v_add_co_ci_u32_e32 v1, vcc_lo, s15, v1, vcc_lo
	global_load_b128 v[18:21], v[2:3], off
	v_add_co_u32 v14, vcc_lo, s22, v4
	global_load_b128 v[0:3], v[0:1], off
	v_add_co_ci_u32_e32 v15, vcc_lo, s23, v5, vcc_lo
	global_load_b64 v[6:7], v[14:15], off
	s_waitcnt vmcnt(2)
	v_xor_b32_e32 v4, 0x80000000, v21
	s_delay_alu instid0(VALU_DEP_1) | instskip(NEXT) | instid1(VALU_DEP_1)
	v_cndmask_b32_e64 v21, v21, v4, s2
	v_mul_f64 v[4:5], v[8:9], v[20:21]
	v_mul_f64 v[20:21], v[20:21], -v[10:11]
	s_delay_alu instid0(VALU_DEP_2) | instskip(NEXT) | instid1(VALU_DEP_2)
	v_fma_f64 v[16:17], v[10:11], v[18:19], v[4:5]
	v_fma_f64 v[18:19], v[8:9], v[18:19], v[20:21]
	s_waitcnt vmcnt(1)
	s_delay_alu instid0(VALU_DEP_2) | instskip(NEXT) | instid1(VALU_DEP_1)
	v_mul_f64 v[4:5], v[2:3], -v[16:17]
	v_fma_f64 v[20:21], v[18:19], v[0:1], v[4:5]
.LBB39_48:                              ;   Parent Loop BB39_42 Depth=1
                                        ; =>  This Inner Loop Header: Depth=2
	s_waitcnt vmcnt(0)
	s_delay_alu instid0(VALU_DEP_1)
	v_add_f64 v[4:5], v[6:7], v[20:21]
	global_atomic_cmpswap_b64 v[4:5], v[14:15], v[4:7], off glc
	s_waitcnt vmcnt(0)
	v_cmp_eq_u64_e32 vcc_lo, v[4:5], v[6:7]
	v_dual_mov_b32 v7, v5 :: v_dual_mov_b32 v6, v4
	s_or_b32 s18, vcc_lo, s18
	s_delay_alu instid0(SALU_CYCLE_1)
	s_and_not1_b32 exec_lo, exec_lo, s18
	s_cbranch_execnz .LBB39_48
; %bb.49:                               ;   in Loop: Header=BB39_42 Depth=1
	s_or_b32 exec_lo, exec_lo, s18
	global_load_b64 v[4:5], v[14:15], off offset:8
	v_mul_f64 v[2:3], v[2:3], v[18:19]
	s_mov_b32 s18, 0
	s_delay_alu instid0(VALU_DEP_1)
	v_fma_f64 v[0:1], v[16:17], v[0:1], v[2:3]
.LBB39_50:                              ;   Parent Loop BB39_42 Depth=1
                                        ; =>  This Inner Loop Header: Depth=2
	s_waitcnt vmcnt(0)
	s_delay_alu instid0(VALU_DEP_1)
	v_add_f64 v[2:3], v[4:5], v[0:1]
	global_atomic_cmpswap_b64 v[2:3], v[14:15], v[2:5], off offset:8 glc
	s_waitcnt vmcnt(0)
	v_cmp_eq_u64_e32 vcc_lo, v[2:3], v[4:5]
	v_dual_mov_b32 v5, v3 :: v_dual_mov_b32 v4, v2
	s_or_b32 s18, vcc_lo, s18
	s_delay_alu instid0(SALU_CYCLE_1)
	s_and_not1_b32 exec_lo, exec_lo, s18
	s_cbranch_execnz .LBB39_50
	s_branch .LBB39_41
.LBB39_51:
	s_endpgm
	.section	.rodata,"a",@progbits
	.p2align	6, 0x0
	.amdhsa_kernel _ZL33csrmvn_symm_large_adaptive_kernelIli21rocsparse_complex_numIdES1_S1_S1_EvbT_PKS2_N9rocsparse24const_host_device_scalarIT4_EES4_PKT0_PKT1_PKT2_S8_PT3_21rocsparse_index_base_b
		.amdhsa_group_segment_fixed_size 16384
		.amdhsa_private_segment_fixed_size 24
		.amdhsa_kernarg_size 104
		.amdhsa_user_sgpr_count 15
		.amdhsa_user_sgpr_dispatch_ptr 0
		.amdhsa_user_sgpr_queue_ptr 0
		.amdhsa_user_sgpr_kernarg_segment_ptr 1
		.amdhsa_user_sgpr_dispatch_id 0
		.amdhsa_user_sgpr_private_segment_size 0
		.amdhsa_wavefront_size32 1
		.amdhsa_uses_dynamic_stack 0
		.amdhsa_enable_private_segment 1
		.amdhsa_system_sgpr_workgroup_id_x 1
		.amdhsa_system_sgpr_workgroup_id_y 0
		.amdhsa_system_sgpr_workgroup_id_z 0
		.amdhsa_system_sgpr_workgroup_info 0
		.amdhsa_system_vgpr_workitem_id 0
		.amdhsa_next_free_vgpr 27
		.amdhsa_next_free_sgpr 39
		.amdhsa_reserve_vcc 1
		.amdhsa_float_round_mode_32 0
		.amdhsa_float_round_mode_16_64 0
		.amdhsa_float_denorm_mode_32 3
		.amdhsa_float_denorm_mode_16_64 3
		.amdhsa_dx10_clamp 1
		.amdhsa_ieee_mode 1
		.amdhsa_fp16_overflow 0
		.amdhsa_workgroup_processor_mode 1
		.amdhsa_memory_ordered 1
		.amdhsa_forward_progress 0
		.amdhsa_shared_vgpr_count 0
		.amdhsa_exception_fp_ieee_invalid_op 0
		.amdhsa_exception_fp_denorm_src 0
		.amdhsa_exception_fp_ieee_div_zero 0
		.amdhsa_exception_fp_ieee_overflow 0
		.amdhsa_exception_fp_ieee_underflow 0
		.amdhsa_exception_fp_ieee_inexact 0
		.amdhsa_exception_int_div_zero 0
	.end_amdhsa_kernel
	.section	.text._ZL33csrmvn_symm_large_adaptive_kernelIli21rocsparse_complex_numIdES1_S1_S1_EvbT_PKS2_N9rocsparse24const_host_device_scalarIT4_EES4_PKT0_PKT1_PKT2_S8_PT3_21rocsparse_index_base_b,"axG",@progbits,_ZL33csrmvn_symm_large_adaptive_kernelIli21rocsparse_complex_numIdES1_S1_S1_EvbT_PKS2_N9rocsparse24const_host_device_scalarIT4_EES4_PKT0_PKT1_PKT2_S8_PT3_21rocsparse_index_base_b,comdat
.Lfunc_end39:
	.size	_ZL33csrmvn_symm_large_adaptive_kernelIli21rocsparse_complex_numIdES1_S1_S1_EvbT_PKS2_N9rocsparse24const_host_device_scalarIT4_EES4_PKT0_PKT1_PKT2_S8_PT3_21rocsparse_index_base_b, .Lfunc_end39-_ZL33csrmvn_symm_large_adaptive_kernelIli21rocsparse_complex_numIdES1_S1_S1_EvbT_PKS2_N9rocsparse24const_host_device_scalarIT4_EES4_PKT0_PKT1_PKT2_S8_PT3_21rocsparse_index_base_b
                                        ; -- End function
	.section	.AMDGPU.csdata,"",@progbits
; Kernel info:
; codeLenInByte = 3008
; NumSgprs: 41
; NumVgprs: 27
; ScratchSize: 24
; MemoryBound: 0
; FloatMode: 240
; IeeeMode: 1
; LDSByteSize: 16384 bytes/workgroup (compile time only)
; SGPRBlocks: 5
; VGPRBlocks: 3
; NumSGPRsForWavesPerEU: 41
; NumVGPRsForWavesPerEU: 27
; Occupancy: 16
; WaveLimiterHint : 1
; COMPUTE_PGM_RSRC2:SCRATCH_EN: 1
; COMPUTE_PGM_RSRC2:USER_SGPR: 15
; COMPUTE_PGM_RSRC2:TRAP_HANDLER: 0
; COMPUTE_PGM_RSRC2:TGID_X_EN: 1
; COMPUTE_PGM_RSRC2:TGID_Y_EN: 0
; COMPUTE_PGM_RSRC2:TGID_Z_EN: 0
; COMPUTE_PGM_RSRC2:TIDIG_COMP_CNT: 0
	.section	.text._ZN9rocsparseL22csrmvn_adaptive_kernelIll21rocsparse_complex_numIdES2_S2_S2_EEvbT_PKS3_PjPKT0_NS_24const_host_device_scalarIT4_EES5_S9_PKT1_PKT2_SC_PT3_21rocsparse_index_base_b,"axG",@progbits,_ZN9rocsparseL22csrmvn_adaptive_kernelIll21rocsparse_complex_numIdES2_S2_S2_EEvbT_PKS3_PjPKT0_NS_24const_host_device_scalarIT4_EES5_S9_PKT1_PKT2_SC_PT3_21rocsparse_index_base_b,comdat
	.globl	_ZN9rocsparseL22csrmvn_adaptive_kernelIll21rocsparse_complex_numIdES2_S2_S2_EEvbT_PKS3_PjPKT0_NS_24const_host_device_scalarIT4_EES5_S9_PKT1_PKT2_SC_PT3_21rocsparse_index_base_b ; -- Begin function _ZN9rocsparseL22csrmvn_adaptive_kernelIll21rocsparse_complex_numIdES2_S2_S2_EEvbT_PKS3_PjPKT0_NS_24const_host_device_scalarIT4_EES5_S9_PKT1_PKT2_SC_PT3_21rocsparse_index_base_b
	.p2align	8
	.type	_ZN9rocsparseL22csrmvn_adaptive_kernelIll21rocsparse_complex_numIdES2_S2_S2_EEvbT_PKS3_PjPKT0_NS_24const_host_device_scalarIT4_EES5_S9_PKT1_PKT2_SC_PT3_21rocsparse_index_base_b,@function
_ZN9rocsparseL22csrmvn_adaptive_kernelIll21rocsparse_complex_numIdES2_S2_S2_EEvbT_PKS3_PjPKT0_NS_24const_host_device_scalarIT4_EES5_S9_PKT1_PKT2_SC_PT3_21rocsparse_index_base_b: ; @_ZN9rocsparseL22csrmvn_adaptive_kernelIll21rocsparse_complex_numIdES2_S2_S2_EEvbT_PKS3_PjPKT0_NS_24const_host_device_scalarIT4_EES5_S9_PKT1_PKT2_SC_PT3_21rocsparse_index_base_b
; %bb.0:
	s_clause 0x2
	s_load_b64 s[34:35], s[0:1], 0x70
	s_load_b128 s[8:11], s[0:1], 0x28
	s_load_b128 s[4:7], s[0:1], 0x58
	s_mov_b64 s[2:3], src_private_base
	v_mov_b32_e32 v1, 0
	s_mov_b32 s36, s15
	s_waitcnt lgkmcnt(0)
	s_bitcmp1_b32 s35, 0
	v_dual_mov_b32 v3, s8 :: v_dual_mov_b32 v6, s5
	s_cselect_b32 s2, -1, 0
	v_mov_b32_e32 v4, s9
	s_and_b32 vcc_lo, s2, exec_lo
	s_cselect_b32 s12, s3, s9
	v_cndmask_b32_e64 v1, s8, v1, s2
	v_dual_mov_b32 v5, s4 :: v_dual_mov_b32 v2, s12
	s_clause 0x1
	scratch_store_b64 off, v[3:4], off
	scratch_store_b64 off, v[5:6], off offset:8
	v_dual_mov_b32 v16, s11 :: v_dual_mov_b32 v15, s10
	flat_load_b64 v[13:14], v[1:2]
	s_xor_b32 s10, s2, -1
	s_cbranch_vccnz .LBB40_2
; %bb.1:
	v_dual_mov_b32 v1, s8 :: v_dual_mov_b32 v2, s9
	flat_load_b64 v[15:16], v[1:2] offset:8
.LBB40_2:
	s_and_b32 s8, s2, exec_lo
	s_cselect_b32 s3, s3, s5
	s_delay_alu instid0(SALU_CYCLE_1) | instskip(SKIP_2) | instid1(VALU_DEP_2)
	v_dual_mov_b32 v1, 8 :: v_dual_mov_b32 v2, s3
	v_dual_mov_b32 v12, s7 :: v_dual_mov_b32 v11, s6
	s_and_not1_b32 vcc_lo, exec_lo, s10
	v_cndmask_b32_e64 v1, s4, v1, s2
	flat_load_b64 v[9:10], v[1:2]
	s_cbranch_vccnz .LBB40_4
; %bb.3:
	v_dual_mov_b32 v1, s4 :: v_dual_mov_b32 v2, s5
	flat_load_b64 v[11:12], v[1:2] offset:8
.LBB40_4:
	s_waitcnt vmcnt(1) lgkmcnt(1)
	v_cmp_eq_f64_e32 vcc_lo, 0, v[13:14]
	v_cmp_eq_f64_e64 s2, 0, v[15:16]
	s_delay_alu instid0(VALU_DEP_1)
	s_and_b32 s4, vcc_lo, s2
	s_mov_b32 s2, -1
	s_and_saveexec_b32 s3, s4
	s_cbranch_execz .LBB40_6
; %bb.5:
	s_waitcnt vmcnt(0) lgkmcnt(0)
	v_cmp_neq_f64_e32 vcc_lo, 1.0, v[9:10]
	v_cmp_neq_f64_e64 s2, 0, v[11:12]
	s_delay_alu instid0(VALU_DEP_1) | instskip(NEXT) | instid1(SALU_CYCLE_1)
	s_or_b32 s2, vcc_lo, s2
	s_or_not1_b32 s2, s2, exec_lo
.LBB40_6:
	s_or_b32 exec_lo, exec_lo, s3
	s_and_saveexec_b32 s3, s2
	s_cbranch_execz .LBB40_121
; %bb.7:
	s_clause 0x3
	s_load_b64 s[6:7], s[0:1], 0x20
	s_load_b32 s2, s[0:1], 0x0
	s_load_b64 s[4:5], s[0:1], 0x10
	s_load_b64 s[24:25], s[0:1], 0x68
	s_waitcnt lgkmcnt(0)
	s_bitcmp1_b32 s2, 0
	s_cselect_b32 s2, -1, 0
	s_ashr_i32 s37, s36, 31
	s_delay_alu instid0(SALU_CYCLE_1) | instskip(NEXT) | instid1(SALU_CYCLE_1)
	s_lshl_b64 s[8:9], s[36:37], 3
	s_add_u32 s4, s4, s8
	s_addc_u32 s5, s5, s9
	s_load_b128 s[20:23], s[4:5], 0x0
	s_load_b256 s[12:19], s[0:1], 0x38
	s_waitcnt lgkmcnt(0)
	s_sub_u32 s4, s22, s20
	s_subb_u32 s5, s23, s21
	s_add_u32 s6, s6, s8
	s_addc_u32 s7, s7, s9
	s_lshl_b64 s[8:9], s[20:21], 3
	v_cmp_lt_i64_e64 s3, s[4:5], 2
	s_add_u32 s30, s12, s8
	s_addc_u32 s31, s13, s9
	s_load_b64 s[26:27], s[6:7], 0x0
	s_load_b64 s[28:29], s[30:31], 0x0
	s_delay_alu instid0(VALU_DEP_1)
	s_and_b32 vcc_lo, exec_lo, s3
	s_mov_b32 s3, -1
	s_cbranch_vccz .LBB40_77
; %bb.8:
	s_cmp_lg_u64 s[4:5], 1
	s_cselect_b32 s3, -1, 0
	s_waitcnt lgkmcnt(0)
	s_cmp_lg_u64 s[26:27], 0
	s_cselect_b32 s4, -1, 0
	s_delay_alu instid0(SALU_CYCLE_1) | instskip(NEXT) | instid1(SALU_CYCLE_1)
	s_or_b32 s3, s3, s4
	s_and_b32 vcc_lo, exec_lo, s3
	s_mov_b32 s3, -1
	s_cbranch_vccnz .LBB40_37
; %bb.9:
	v_cmp_le_i64_e64 s3, s[22:23], s[20:21]
	s_delay_alu instid0(VALU_DEP_1)
	s_and_b32 vcc_lo, exec_lo, s3
	s_cbranch_vccnz .LBB40_36
; %bb.10:
	s_waitcnt vmcnt(0)
	v_cmp_neq_f64_e32 vcc_lo, 0, v[9:10]
	v_cmp_neq_f64_e64 s11, 0, v[11:12]
	v_sub_co_u32 v19, s3, v0, s34
	s_delay_alu instid0(VALU_DEP_1)
	v_sub_co_ci_u32_e64 v20, null, 0, 0, s3
	v_dual_mov_b32 v22, 0 :: v_dual_lshlrev_b32 v21, 4, v0
	v_cmp_gt_u32_e64 s3, 0x80, v0
	v_cmp_gt_u32_e64 s4, 64, v0
	;; [unrolled: 1-line block ×7, first 2 shown]
	v_cmp_eq_u32_e64 s10, 0, v0
	s_mov_b64 s[38:39], s[28:29]
	s_mov_b64 s[40:41], s[20:21]
	s_or_b32 s33, vcc_lo, s11
	s_add_u32 s35, s12, 8
	s_addc_u32 s44, s13, 0
	s_add_u32 s45, s16, 8
	s_addc_u32 s46, s17, 0
	s_branch .LBB40_13
.LBB40_11:                              ;   in Loop: Header=BB40_13 Depth=1
	s_or_b32 exec_lo, exec_lo, s42
	s_lshl_b64 s[42:43], s[40:41], 4
	s_delay_alu instid0(SALU_CYCLE_1)
	s_add_u32 s42, s24, s42
	s_addc_u32 s43, s25, s43
	s_waitcnt lgkmcnt(0)
	global_store_b128 v22, v[1:4], s[42:43]
.LBB40_12:                              ;   in Loop: Header=BB40_13 Depth=1
	s_or_b32 exec_lo, exec_lo, s11
	s_add_u32 s40, s40, 1
	s_addc_u32 s41, s41, 0
	s_delay_alu instid0(SALU_CYCLE_1) | instskip(NEXT) | instid1(VALU_DEP_1)
	v_cmp_ge_i64_e64 s11, s[40:41], s[22:23]
	s_and_b32 vcc_lo, exec_lo, s11
	s_cbranch_vccnz .LBB40_36
.LBB40_13:                              ; =>This Loop Header: Depth=1
                                        ;     Child Loop BB40_15 Depth 2
	s_lshl_b64 s[42:43], s[40:41], 3
	s_mov_b64 s[48:49], s[38:39]
	s_add_u32 s42, s35, s42
	s_addc_u32 s43, s44, s43
	v_mov_b32_e32 v3, 0
	s_load_b64 s[38:39], s[42:43], 0x0
	v_mov_b32_e32 v4, 0
	v_add_co_u32 v5, vcc_lo, s48, v19
	v_add_co_ci_u32_e32 v6, vcc_lo, s49, v20, vcc_lo
	s_delay_alu instid0(VALU_DEP_3) | instskip(SKIP_4) | instid1(SALU_CYCLE_1)
	v_dual_mov_b32 v1, v3 :: v_dual_mov_b32 v2, v4
	s_mov_b32 s47, exec_lo
	s_waitcnt lgkmcnt(0)
	s_sub_u32 s42, s38, s34
	s_subb_u32 s43, s39, 0
	v_cmpx_gt_i64_e64 s[42:43], v[5:6]
	s_cbranch_execz .LBB40_17
; %bb.14:                               ;   in Loop: Header=BB40_13 Depth=1
	v_lshlrev_b64 v[1:2], 4, v[5:6]
	v_lshlrev_b64 v[17:18], 3, v[5:6]
	v_mov_b32_e32 v3, 0
	v_mov_b32_e32 v4, 0
	s_mov_b32 s48, 0
	s_delay_alu instid0(VALU_DEP_4)
	v_add_co_u32 v7, vcc_lo, s45, v1
	v_add_co_ci_u32_e32 v8, vcc_lo, s46, v2, vcc_lo
	v_add_co_u32 v17, vcc_lo, s14, v17
	v_add_co_ci_u32_e32 v18, vcc_lo, s15, v18, vcc_lo
	v_dual_mov_b32 v1, v3 :: v_dual_mov_b32 v2, v4
.LBB40_15:                              ;   Parent Loop BB40_13 Depth=1
                                        ; =>  This Inner Loop Header: Depth=2
	global_load_b64 v[27:28], v[17:18], off
	global_load_b128 v[23:26], v[7:8], off offset:-8
	v_add_co_u32 v17, s11, 0x800, v17
	s_delay_alu instid0(VALU_DEP_1)
	v_add_co_ci_u32_e64 v18, s11, 0, v18, s11
	s_waitcnt vmcnt(1)
	v_sub_co_u32 v27, vcc_lo, v27, s34
	v_subrev_co_ci_u32_e32 v28, vcc_lo, 0, v28, vcc_lo
	s_waitcnt vmcnt(0)
	v_xor_b32_e32 v31, 0x80000000, v26
	s_delay_alu instid0(VALU_DEP_2) | instskip(NEXT) | instid1(VALU_DEP_2)
	v_lshlrev_b64 v[27:28], 4, v[27:28]
	v_cndmask_b32_e64 v26, v26, v31, s2
	s_delay_alu instid0(VALU_DEP_2) | instskip(NEXT) | instid1(VALU_DEP_3)
	v_add_co_u32 v27, vcc_lo, s18, v27
	v_add_co_ci_u32_e32 v28, vcc_lo, s19, v28, vcc_lo
	s_delay_alu instid0(VALU_DEP_3)
	v_mul_f64 v[31:32], v[25:26], -v[15:16]
	v_mul_f64 v[25:26], v[13:14], v[25:26]
	v_add_co_u32 v5, vcc_lo, 0x100, v5
	global_load_b128 v[27:30], v[27:28], off
	v_add_co_ci_u32_e32 v6, vcc_lo, 0, v6, vcc_lo
	v_add_co_u32 v7, vcc_lo, 0x1000, v7
	v_add_co_ci_u32_e32 v8, vcc_lo, 0, v8, vcc_lo
	s_delay_alu instid0(VALU_DEP_3) | instskip(SKIP_4) | instid1(VALU_DEP_2)
	v_cmp_le_i64_e32 vcc_lo, s[42:43], v[5:6]
	s_or_b32 s48, vcc_lo, s48
	v_fma_f64 v[31:32], v[13:14], v[23:24], v[31:32]
	v_fma_f64 v[23:24], v[15:16], v[23:24], v[25:26]
	s_waitcnt vmcnt(0)
	v_fma_f64 v[1:2], v[31:32], v[27:28], v[1:2]
	s_delay_alu instid0(VALU_DEP_2) | instskip(NEXT) | instid1(VALU_DEP_2)
	v_fma_f64 v[3:4], v[23:24], v[27:28], v[3:4]
	v_fma_f64 v[1:2], -v[23:24], v[29:30], v[1:2]
	s_delay_alu instid0(VALU_DEP_2)
	v_fma_f64 v[3:4], v[31:32], v[29:30], v[3:4]
	s_and_not1_b32 exec_lo, exec_lo, s48
	s_cbranch_execnz .LBB40_15
; %bb.16:                               ;   in Loop: Header=BB40_13 Depth=1
	s_or_b32 exec_lo, exec_lo, s48
.LBB40_17:                              ;   in Loop: Header=BB40_13 Depth=1
	s_delay_alu instid0(SALU_CYCLE_1)
	s_or_b32 exec_lo, exec_lo, s47
	ds_store_b128 v21, v[1:4]
	s_waitcnt lgkmcnt(0)
	s_waitcnt_vscnt null, 0x0
	s_barrier
	buffer_gl0_inv
	s_and_saveexec_b32 s11, s3
	s_cbranch_execz .LBB40_19
; %bb.18:                               ;   in Loop: Header=BB40_13 Depth=1
	ds_load_b128 v[1:4], v21 offset:2048
	ds_load_b128 v[5:8], v21
	s_waitcnt lgkmcnt(0)
	v_add_f64 v[1:2], v[1:2], v[5:6]
	v_add_f64 v[3:4], v[3:4], v[7:8]
	ds_store_b128 v21, v[1:4]
.LBB40_19:                              ;   in Loop: Header=BB40_13 Depth=1
	s_or_b32 exec_lo, exec_lo, s11
	s_waitcnt lgkmcnt(0)
	s_barrier
	buffer_gl0_inv
	s_and_saveexec_b32 s11, s4
	s_cbranch_execz .LBB40_21
; %bb.20:                               ;   in Loop: Header=BB40_13 Depth=1
	ds_load_b128 v[1:4], v21 offset:1024
	ds_load_b128 v[5:8], v21
	s_waitcnt lgkmcnt(0)
	v_add_f64 v[1:2], v[1:2], v[5:6]
	v_add_f64 v[3:4], v[3:4], v[7:8]
	ds_store_b128 v21, v[1:4]
.LBB40_21:                              ;   in Loop: Header=BB40_13 Depth=1
	s_or_b32 exec_lo, exec_lo, s11
	s_waitcnt lgkmcnt(0)
	;; [unrolled: 14-line block ×6, first 2 shown]
	s_barrier
	buffer_gl0_inv
	s_and_saveexec_b32 s11, s9
	s_cbranch_execz .LBB40_31
; %bb.30:                               ;   in Loop: Header=BB40_13 Depth=1
	ds_load_b128 v[1:4], v21
	ds_load_b128 v[5:8], v21 offset:32
	s_waitcnt lgkmcnt(0)
	v_add_f64 v[1:2], v[5:6], v[1:2]
	v_add_f64 v[3:4], v[7:8], v[3:4]
	ds_store_b128 v21, v[1:4]
.LBB40_31:                              ;   in Loop: Header=BB40_13 Depth=1
	s_or_b32 exec_lo, exec_lo, s11
	s_waitcnt lgkmcnt(0)
	s_barrier
	buffer_gl0_inv
	s_and_saveexec_b32 s11, s10
	s_cbranch_execz .LBB40_33
; %bb.32:                               ;   in Loop: Header=BB40_13 Depth=1
	ds_load_b128 v[1:4], v22
	ds_load_b128 v[5:8], v22 offset:16
	s_waitcnt lgkmcnt(0)
	v_add_f64 v[1:2], v[5:6], v[1:2]
	v_add_f64 v[3:4], v[7:8], v[3:4]
	ds_store_b128 v22, v[1:4]
.LBB40_33:                              ;   in Loop: Header=BB40_13 Depth=1
	s_or_b32 exec_lo, exec_lo, s11
	s_waitcnt lgkmcnt(0)
	s_barrier
	buffer_gl0_inv
	s_and_saveexec_b32 s11, s10
	s_cbranch_execz .LBB40_12
; %bb.34:                               ;   in Loop: Header=BB40_13 Depth=1
	ds_load_b128 v[1:4], v22
	s_and_saveexec_b32 s42, s33
	s_cbranch_execz .LBB40_11
; %bb.35:                               ;   in Loop: Header=BB40_13 Depth=1
	s_lshl_b64 s[48:49], s[40:41], 4
	s_delay_alu instid0(SALU_CYCLE_1)
	s_add_u32 s48, s24, s48
	s_addc_u32 s49, s25, s49
	global_load_b128 v[5:8], v22, s[48:49]
	s_waitcnt vmcnt(0) lgkmcnt(0)
	v_fma_f64 v[1:2], v[9:10], v[5:6], v[1:2]
	v_fma_f64 v[3:4], v[11:12], v[5:6], v[3:4]
	s_delay_alu instid0(VALU_DEP_2) | instskip(NEXT) | instid1(VALU_DEP_2)
	v_fma_f64 v[1:2], -v[11:12], v[7:8], v[1:2]
	v_fma_f64 v[3:4], v[9:10], v[7:8], v[3:4]
	s_branch .LBB40_11
.LBB40_36:
	s_mov_b32 s3, 0
.LBB40_37:
	s_delay_alu instid0(SALU_CYCLE_1)
	s_and_not1_b32 vcc_lo, exec_lo, s3
	s_cbranch_vccnz .LBB40_76
; %bb.38:
	s_load_b64 s[8:9], s[0:1], 0x18
	s_sub_u32 s10, s36, s26
	s_subb_u32 s11, s37, s27
	s_lshl_b64 s[4:5], s[36:37], 2
	v_mov_b32_e32 v1, 0
	v_mov_b32_e32 v2, 0
	v_cmp_eq_u32_e32 vcc_lo, 0, v0
	s_delay_alu instid0(VALU_DEP_2)
	v_dual_mov_b32 v4, v2 :: v_dual_mov_b32 v3, v1
	s_waitcnt lgkmcnt(0)
	s_add_u32 s6, s8, s4
	s_addc_u32 s7, s9, s5
	s_cmp_eq_u64 s[26:27], 0
	s_load_b32 s33, s[6:7], 0x0
	s_cselect_b32 s3, -1, 0
	s_cmp_lg_u64 s[26:27], 0
	s_cselect_b32 s35, -1, 0
	s_and_b32 s3, vcc_lo, s3
	s_delay_alu instid0(SALU_CYCLE_1)
	s_and_saveexec_b32 s4, s3
	s_cbranch_execz .LBB40_42
; %bb.39:
	s_lshl_b64 s[36:37], s[20:21], 4
	v_mov_b32_e32 v17, 0
	s_add_u32 s36, s24, s36
	s_addc_u32 s37, s25, s37
	s_waitcnt vmcnt(0)
	v_add_f64 v[1:2], v[9:10], -1.0
	s_mov_b32 s5, exec_lo
	global_load_b128 v[3:6], v17, s[36:37]
	v_mbcnt_lo_u32_b32 v18, s5, 0
	s_mov_b32 s36, exec_lo
	s_waitcnt vmcnt(0) expcnt(0) lgkmcnt(0)
	s_waitcnt_vscnt null, 0x0
	v_mul_f64 v[7:8], v[5:6], -v[11:12]
	v_mul_f64 v[5:6], v[1:2], v[5:6]
	v_cmpx_eq_u32_e32 0, v18
	s_cbranch_execz .LBB40_41
; %bb.40:
	s_lshl_b64 s[38:39], s[10:11], 2
	s_delay_alu instid0(SALU_CYCLE_1) | instskip(SKIP_2) | instid1(SALU_CYCLE_1)
	s_add_u32 s38, s8, s38
	s_addc_u32 s39, s9, s39
	s_bcnt1_i32_b32 s3, s5
	s_and_b32 s3, s3, 1
	s_delay_alu instid0(SALU_CYCLE_1)
	v_mov_b32_e32 v18, s3
	global_atomic_xor_b32 v17, v18, s[38:39]
.LBB40_41:
	s_or_b32 exec_lo, exec_lo, s36
	s_delay_alu instid0(VALU_DEP_3) | instskip(NEXT) | instid1(VALU_DEP_3)
	v_fma_f64 v[1:2], v[1:2], v[3:4], v[7:8]
	v_fma_f64 v[3:4], v[11:12], v[3:4], v[5:6]
.LBB40_42:
	s_or_b32 exec_lo, exec_lo, s4
	s_load_b64 s[4:5], s[30:31], 0x8
	s_mul_i32 s3, s27, 0xc00
	s_mul_hi_u32 s36, s26, 0xc00
	s_delay_alu instid0(SALU_CYCLE_1)
	s_add_i32 s36, s36, s3
	s_mul_i32 s3, s26, 0xc00
	s_sub_u32 s37, s28, s34
	s_subb_u32 s38, s29, 0
	s_add_u32 s37, s37, s3
	s_addc_u32 s36, s38, s36
	v_add_co_u32 v5, s3, s37, v0
	s_delay_alu instid0(VALU_DEP_1) | instskip(SKIP_4) | instid1(SALU_CYCLE_1)
	v_add_co_ci_u32_e64 v6, null, s36, 0, s3
	s_mov_b32 s38, exec_lo
	s_waitcnt lgkmcnt(0)
	s_sub_u32 s4, s4, s34
	s_subb_u32 s5, s5, 0
	v_cmpx_gt_i64_e64 s[4:5], v[5:6]
	s_cbranch_execz .LBB40_46
; %bb.43:
	v_lshlrev_b64 v[7:8], 4, v[5:6]
	s_add_u32 s40, s37, 0xc00
	s_addc_u32 s41, s36, 0
	v_lshlrev_b64 v[17:18], 3, v[5:6]
	v_cmp_lt_i64_e64 s36, s[40:41], s[4:5]
	s_delay_alu instid0(VALU_DEP_3) | instskip(NEXT) | instid1(VALU_DEP_1)
	v_add_co_u32 v7, s3, v7, s16
	v_add_co_ci_u32_e64 v8, s3, s17, v8, s3
	s_delay_alu instid0(VALU_DEP_3) | instskip(NEXT) | instid1(VALU_DEP_2)
	s_and_b32 s3, s36, exec_lo
	v_add_co_u32 v7, s3, v7, 8
	s_delay_alu instid0(VALU_DEP_1) | instskip(SKIP_1) | instid1(VALU_DEP_1)
	v_add_co_ci_u32_e64 v8, s3, 0, v8, s3
	v_add_co_u32 v17, s3, s14, v17
	v_add_co_ci_u32_e64 v18, s3, s15, v18, s3
	s_cselect_b32 s37, s41, s5
	s_cselect_b32 s36, s40, s4
	s_mov_b32 s5, 0
.LBB40_44:                              ; =>This Inner Loop Header: Depth=1
	global_load_b64 v[23:24], v[17:18], off
	global_load_b128 v[19:22], v[7:8], off offset:-8
	v_add_co_u32 v17, s4, 0x800, v17
	s_delay_alu instid0(VALU_DEP_1) | instskip(SKIP_2) | instid1(VALU_DEP_1)
	v_add_co_ci_u32_e64 v18, s4, 0, v18, s4
	s_waitcnt vmcnt(1)
	v_sub_co_u32 v23, s3, v23, s34
	v_subrev_co_ci_u32_e64 v24, s3, 0, v24, s3
	s_waitcnt vmcnt(0)
	v_xor_b32_e32 v27, 0x80000000, v22
	s_delay_alu instid0(VALU_DEP_2) | instskip(NEXT) | instid1(VALU_DEP_2)
	v_lshlrev_b64 v[23:24], 4, v[23:24]
	v_cndmask_b32_e64 v22, v22, v27, s2
	s_delay_alu instid0(VALU_DEP_2) | instskip(NEXT) | instid1(VALU_DEP_1)
	v_add_co_u32 v23, s3, s18, v23
	v_add_co_ci_u32_e64 v24, s3, s19, v24, s3
	s_delay_alu instid0(VALU_DEP_3)
	v_mul_f64 v[27:28], v[21:22], -v[15:16]
	v_mul_f64 v[21:22], v[13:14], v[21:22]
	v_add_co_u32 v5, s3, 0x100, v5
	global_load_b128 v[23:26], v[23:24], off
	v_add_co_ci_u32_e64 v6, s3, 0, v6, s3
	v_add_co_u32 v7, s3, 0x1000, v7
	s_delay_alu instid0(VALU_DEP_1) | instskip(NEXT) | instid1(VALU_DEP_3)
	v_add_co_ci_u32_e64 v8, s3, 0, v8, s3
	v_cmp_le_i64_e64 s3, s[36:37], v[5:6]
	s_delay_alu instid0(VALU_DEP_1) | instskip(SKIP_3) | instid1(VALU_DEP_2)
	s_or_b32 s5, s3, s5
	v_fma_f64 v[27:28], v[13:14], v[19:20], v[27:28]
	v_fma_f64 v[19:20], v[15:16], v[19:20], v[21:22]
	s_waitcnt vmcnt(0)
	v_fma_f64 v[1:2], v[27:28], v[23:24], v[1:2]
	s_delay_alu instid0(VALU_DEP_2) | instskip(NEXT) | instid1(VALU_DEP_2)
	v_fma_f64 v[3:4], v[19:20], v[23:24], v[3:4]
	v_fma_f64 v[1:2], -v[19:20], v[25:26], v[1:2]
	s_delay_alu instid0(VALU_DEP_2)
	v_fma_f64 v[3:4], v[27:28], v[25:26], v[3:4]
	s_and_not1_b32 exec_lo, exec_lo, s5
	s_cbranch_execnz .LBB40_44
; %bb.45:
	s_or_b32 exec_lo, exec_lo, s5
.LBB40_46:
	s_delay_alu instid0(SALU_CYCLE_1)
	s_or_b32 exec_lo, exec_lo, s38
	v_lshlrev_b32_e32 v5, 4, v0
	s_mov_b32 s4, exec_lo
	ds_store_b128 v5, v[1:4]
	s_waitcnt vmcnt(0) lgkmcnt(0)
	s_waitcnt_vscnt null, 0x0
	s_barrier
	buffer_gl0_inv
	v_cmpx_gt_u32_e32 0x80, v0
	s_cbranch_execz .LBB40_48
; %bb.47:
	ds_load_b128 v[1:4], v5 offset:2048
	ds_load_b128 v[17:20], v5
	s_waitcnt lgkmcnt(0)
	v_add_f64 v[1:2], v[1:2], v[17:18]
	v_add_f64 v[3:4], v[3:4], v[19:20]
	ds_store_b128 v5, v[1:4]
.LBB40_48:
	s_or_b32 exec_lo, exec_lo, s4
	s_delay_alu instid0(SALU_CYCLE_1)
	s_mov_b32 s4, exec_lo
	s_waitcnt lgkmcnt(0)
	s_barrier
	buffer_gl0_inv
	v_cmpx_gt_u32_e32 64, v0
	s_cbranch_execz .LBB40_50
; %bb.49:
	ds_load_b128 v[1:4], v5 offset:1024
	ds_load_b128 v[17:20], v5
	s_waitcnt lgkmcnt(0)
	v_add_f64 v[1:2], v[1:2], v[17:18]
	v_add_f64 v[3:4], v[3:4], v[19:20]
	ds_store_b128 v5, v[1:4]
.LBB40_50:
	s_or_b32 exec_lo, exec_lo, s4
	s_delay_alu instid0(SALU_CYCLE_1)
	s_mov_b32 s4, exec_lo
	s_waitcnt lgkmcnt(0)
	;; [unrolled: 16-line block ×6, first 2 shown]
	s_barrier
	buffer_gl0_inv
	v_cmpx_gt_u32_e32 2, v0
	s_cbranch_execz .LBB40_60
; %bb.59:
	ds_load_b128 v[1:4], v5
	ds_load_b128 v[17:20], v5 offset:32
	s_waitcnt lgkmcnt(0)
	v_add_f64 v[1:2], v[17:18], v[1:2]
	v_add_f64 v[3:4], v[19:20], v[3:4]
	ds_store_b128 v5, v[1:4]
.LBB40_60:
	s_or_b32 exec_lo, exec_lo, s4
	s_waitcnt lgkmcnt(0)
	s_barrier
	buffer_gl0_inv
	s_and_saveexec_b32 s3, vcc_lo
	s_cbranch_execz .LBB40_62
; %bb.61:
	v_mov_b32_e32 v17, 0
	ds_load_b128 v[1:4], v17
	ds_load_b128 v[5:8], v17 offset:16
	s_waitcnt lgkmcnt(0)
	v_add_f64 v[1:2], v[5:6], v[1:2]
	v_add_f64 v[3:4], v[7:8], v[3:4]
	ds_store_b128 v17, v[1:4]
.LBB40_62:
	s_or_b32 exec_lo, exec_lo, s3
	s_waitcnt lgkmcnt(0)
	s_barrier
	buffer_gl0_inv
	s_and_saveexec_b32 s3, vcc_lo
	s_cbranch_execz .LBB40_75
; %bb.63:
	s_and_not1_b32 vcc_lo, exec_lo, s35
	s_cbranch_vccnz .LBB40_69
; %bb.64:
	s_lshl_b64 s[4:5], s[10:11], 2
	v_mov_b32_e32 v1, 0
	s_add_u32 s4, s8, s4
	s_addc_u32 s5, s9, s5
	s_branch .LBB40_66
.LBB40_65:                              ;   in Loop: Header=BB40_66 Depth=1
	s_or_b32 exec_lo, exec_lo, s8
	s_waitcnt vmcnt(0)
	v_readfirstlane_b32 s8, v2
	s_delay_alu instid0(VALU_DEP_1)
	s_cmp_eq_u32 s8, s33
	s_cbranch_scc0 .LBB40_68
.LBB40_66:                              ; =>This Inner Loop Header: Depth=1
	v_mbcnt_lo_u32_b32 v2, exec_lo, 0
	s_delay_alu instid0(VALU_DEP_1)
	v_cmp_eq_u32_e32 vcc_lo, 0, v2
                                        ; implicit-def: $vgpr2
	s_and_saveexec_b32 s8, vcc_lo
	s_cbranch_execz .LBB40_65
; %bb.67:                               ;   in Loop: Header=BB40_66 Depth=1
	global_load_b32 v2, v1, s[4:5] glc
	s_branch .LBB40_65
.LBB40_68:
	v_mov_b32_e32 v1, 0
	global_load_b32 v2, v1, s[6:7]
	s_waitcnt vmcnt(0)
	v_xor_b32_e32 v2, 1, v2
	global_store_b32 v1, v2, s[6:7]
.LBB40_69:
	v_mov_b32_e32 v17, 0
	s_mov_b32 s8, exec_lo
	s_lshl_b64 s[4:5], s[20:21], 4
	v_mbcnt_lo_u32_b32 v5, s8, 0
	s_add_u32 s4, s24, s4
	ds_load_b128 v[1:4], v17
	s_addc_u32 s5, s25, s5
	s_mov_b32 s7, 0
	s_mov_b32 s6, exec_lo
	v_cmpx_eq_u32_e32 0, v5
	s_cbranch_execz .LBB40_72
; %bb.70:
	global_load_b64 v[7:8], v17, s[4:5]
	s_bcnt1_i32_b32 s8, s8
	s_delay_alu instid0(SALU_CYCLE_1) | instskip(SKIP_1) | instid1(VALU_DEP_1)
	v_cvt_f64_u32_e32 v[5:6], s8
	s_waitcnt lgkmcnt(0)
	v_mul_f64 v[1:2], v[1:2], v[5:6]
.LBB40_71:                              ; =>This Inner Loop Header: Depth=1
	s_waitcnt vmcnt(0)
	s_delay_alu instid0(VALU_DEP_1)
	v_add_f64 v[5:6], v[7:8], v[1:2]
	global_atomic_cmpswap_b64 v[5:6], v17, v[5:8], s[4:5] glc
	s_waitcnt vmcnt(0)
	v_cmp_eq_u64_e32 vcc_lo, v[5:6], v[7:8]
	v_dual_mov_b32 v8, v6 :: v_dual_mov_b32 v7, v5
	s_or_b32 s7, vcc_lo, s7
	s_delay_alu instid0(SALU_CYCLE_1)
	s_and_not1_b32 exec_lo, exec_lo, s7
	s_cbranch_execnz .LBB40_71
.LBB40_72:
	s_or_b32 exec_lo, exec_lo, s6
	s_delay_alu instid0(SALU_CYCLE_1) | instskip(SKIP_3) | instid1(VALU_DEP_1)
	s_mov_b32 s7, exec_lo
	s_mov_b32 s6, 0
	s_waitcnt lgkmcnt(0)
	v_mbcnt_lo_u32_b32 v1, s7, 0
	v_cmp_eq_u32_e32 vcc_lo, 0, v1
	s_and_b32 s8, exec_lo, vcc_lo
	s_delay_alu instid0(SALU_CYCLE_1)
	s_mov_b32 exec_lo, s8
	s_cbranch_execz .LBB40_75
; %bb.73:
	v_mov_b32_e32 v7, 0
	s_bcnt1_i32_b32 s7, s7
	s_delay_alu instid0(SALU_CYCLE_1)
	v_cvt_f64_u32_e32 v[1:2], s7
	global_load_b64 v[5:6], v7, s[4:5] offset:8
	v_mul_f64 v[1:2], v[3:4], v[1:2]
.LBB40_74:                              ; =>This Inner Loop Header: Depth=1
	s_waitcnt vmcnt(0)
	s_delay_alu instid0(VALU_DEP_1)
	v_add_f64 v[3:4], v[5:6], v[1:2]
	global_atomic_cmpswap_b64 v[3:4], v7, v[3:6], s[4:5] offset:8 glc
	s_waitcnt vmcnt(0)
	v_cmp_eq_u64_e32 vcc_lo, v[3:4], v[5:6]
	v_dual_mov_b32 v6, v4 :: v_dual_mov_b32 v5, v3
	s_or_b32 s6, vcc_lo, s6
	s_delay_alu instid0(SALU_CYCLE_1)
	s_and_not1_b32 exec_lo, exec_lo, s6
	s_cbranch_execnz .LBB40_74
.LBB40_75:
	s_or_b32 exec_lo, exec_lo, s3
.LBB40_76:
	s_mov_b32 s3, 0
.LBB40_77:
	s_delay_alu instid0(SALU_CYCLE_1)
	s_and_not1_b32 vcc_lo, exec_lo, s3
	s_cbranch_vccnz .LBB40_121
; %bb.78:
	s_load_b64 s[0:1], s[0:1], 0x8
	v_sub_co_u32 v1, s3, v0, s34
	s_delay_alu instid0(VALU_DEP_1) | instskip(SKIP_1) | instid1(VALU_DEP_2)
	v_sub_co_ci_u32_e64 v2, null, 0, 0, s3
	s_waitcnt lgkmcnt(0)
	v_add_co_u32 v1, vcc_lo, s28, v1
	s_delay_alu instid0(VALU_DEP_2) | instskip(NEXT) | instid1(VALU_DEP_2)
	v_add_co_ci_u32_e32 v2, vcc_lo, s29, v2, vcc_lo
	v_add_co_u32 v3, vcc_lo, 0x300, v1
	s_delay_alu instid0(VALU_DEP_2) | instskip(NEXT) | instid1(VALU_DEP_1)
	v_add_co_ci_u32_e32 v4, vcc_lo, 0, v2, vcc_lo
	v_cmp_le_i64_e32 vcc_lo, s[0:1], v[3:4]
	s_and_saveexec_b32 s0, vcc_lo
	s_delay_alu instid0(SALU_CYCLE_1)
	s_xor_b32 s1, exec_lo, s0
	s_cbranch_execz .LBB40_83
; %bb.79:
	s_lshl_b64 s[4:5], s[22:23], 3
	s_mov_b32 s3, exec_lo
	s_add_u32 s4, s12, s4
	s_addc_u32 s5, s13, s5
	s_load_b64 s[4:5], s[4:5], 0x0
	s_waitcnt lgkmcnt(0)
	s_sub_u32 s4, s4, s34
	s_subb_u32 s5, s5, 0
	s_delay_alu instid0(SALU_CYCLE_1)
	v_cmpx_gt_i64_e64 s[4:5], v[1:2]
	s_cbranch_execz .LBB40_82
; %bb.80:
	v_lshlrev_b64 v[3:4], 4, v[1:2]
	v_lshlrev_b64 v[5:6], 3, v[1:2]
	v_lshlrev_b32_e32 v7, 4, v0
	s_mov_b32 s6, 0
	s_delay_alu instid0(VALU_DEP_3) | instskip(NEXT) | instid1(VALU_DEP_4)
	v_add_co_u32 v3, vcc_lo, v3, s16
	v_add_co_ci_u32_e32 v4, vcc_lo, s17, v4, vcc_lo
	s_delay_alu instid0(VALU_DEP_2) | instskip(NEXT) | instid1(VALU_DEP_2)
	v_add_co_u32 v3, vcc_lo, v3, 8
	v_add_co_ci_u32_e32 v4, vcc_lo, 0, v4, vcc_lo
	v_add_co_u32 v5, vcc_lo, s14, v5
	v_add_co_ci_u32_e32 v6, vcc_lo, s15, v6, vcc_lo
.LBB40_81:                              ; =>This Inner Loop Header: Depth=1
	global_load_b64 v[21:22], v[5:6], off
	global_load_b128 v[17:20], v[3:4], off offset:-8
	s_waitcnt vmcnt(1)
	v_sub_co_u32 v21, vcc_lo, v21, s34
	v_subrev_co_ci_u32_e32 v22, vcc_lo, 0, v22, vcc_lo
	s_waitcnt vmcnt(0)
	v_xor_b32_e32 v8, 0x80000000, v20
	s_delay_alu instid0(VALU_DEP_2) | instskip(NEXT) | instid1(VALU_DEP_2)
	v_lshlrev_b64 v[21:22], 4, v[21:22]
	v_cndmask_b32_e64 v20, v20, v8, s2
	s_delay_alu instid0(VALU_DEP_2) | instskip(NEXT) | instid1(VALU_DEP_3)
	v_add_co_u32 v21, vcc_lo, s18, v21
	v_add_co_ci_u32_e32 v22, vcc_lo, s19, v22, vcc_lo
	s_delay_alu instid0(VALU_DEP_3)
	v_mul_f64 v[25:26], v[13:14], v[19:20]
	v_mul_f64 v[19:20], v[19:20], -v[15:16]
	v_add_co_u32 v1, vcc_lo, 0x100, v1
	global_load_b128 v[21:24], v[21:22], off
	v_add_co_ci_u32_e32 v2, vcc_lo, 0, v2, vcc_lo
	v_add_co_u32 v3, vcc_lo, 0x1000, v3
	v_add_co_ci_u32_e32 v4, vcc_lo, 0, v4, vcc_lo
	s_delay_alu instid0(VALU_DEP_3) | instskip(SKIP_2) | instid1(VALU_DEP_3)
	v_cmp_le_i64_e64 s0, s[4:5], v[1:2]
	v_add_co_u32 v5, vcc_lo, 0x800, v5
	v_add_co_ci_u32_e32 v6, vcc_lo, 0, v6, vcc_lo
	s_or_b32 s6, s0, s6
	v_fma_f64 v[25:26], v[15:16], v[17:18], v[25:26]
	v_fma_f64 v[17:18], v[13:14], v[17:18], v[19:20]
	s_waitcnt vmcnt(0)
	s_delay_alu instid0(VALU_DEP_2) | instskip(NEXT) | instid1(VALU_DEP_2)
	v_mul_f64 v[19:20], v[23:24], -v[25:26]
	v_mul_f64 v[23:24], v[17:18], v[23:24]
	s_delay_alu instid0(VALU_DEP_2) | instskip(NEXT) | instid1(VALU_DEP_2)
	v_fma_f64 v[17:18], v[17:18], v[21:22], v[19:20]
	v_fma_f64 v[19:20], v[25:26], v[21:22], v[23:24]
	ds_store_b128 v7, v[17:20]
	v_add_nc_u32_e32 v7, 0x1000, v7
	s_and_not1_b32 exec_lo, exec_lo, s6
	s_cbranch_execnz .LBB40_81
.LBB40_82:
	s_or_b32 exec_lo, exec_lo, s3
                                        ; implicit-def: $vgpr1_vgpr2
                                        ; implicit-def: $vgpr15_vgpr16
                                        ; implicit-def: $vgpr13_vgpr14
.LBB40_83:
	s_or_saveexec_b32 s0, s1
	v_lshlrev_b32_e32 v17, 4, v0
	s_xor_b32 exec_lo, exec_lo, s0
	s_cbranch_execz .LBB40_85
; %bb.84:
	v_lshlrev_b64 v[3:4], 3, v[1:2]
	v_lshlrev_b64 v[1:2], 4, v[1:2]
	s_delay_alu instid0(VALU_DEP_2) | instskip(NEXT) | instid1(VALU_DEP_3)
	v_add_co_u32 v3, vcc_lo, s14, v3
	v_add_co_ci_u32_e32 v4, vcc_lo, s15, v4, vcc_lo
	s_delay_alu instid0(VALU_DEP_2)
	v_add_co_u32 v5, vcc_lo, 0x1000, v3
	global_load_b64 v[26:27], v[3:4], off
	v_add_co_ci_u32_e32 v6, vcc_lo, 0, v4, vcc_lo
	s_clause 0x2
	global_load_b64 v[28:29], v[3:4], off offset:2048
	global_load_b64 v[30:31], v[5:6], off
	global_load_b64 v[32:33], v[5:6], off offset:2048
	v_add_co_u32 v5, vcc_lo, s16, v1
	v_add_co_ci_u32_e32 v6, vcc_lo, s17, v2, vcc_lo
	s_delay_alu instid0(VALU_DEP_2) | instskip(NEXT) | instid1(VALU_DEP_2)
	v_add_co_u32 v18, vcc_lo, v5, 0x2000
	v_add_co_ci_u32_e32 v19, vcc_lo, 0, v6, vcc_lo
	v_add_co_u32 v22, vcc_lo, 0x3000, v5
	global_load_b128 v[1:4], v[5:6], off
	v_add_co_ci_u32_e32 v23, vcc_lo, 0, v6, vcc_lo
	s_clause 0x2
	global_load_b128 v[5:8], v[18:19], off offset:-4096
	global_load_b128 v[18:21], v[18:19], off
	global_load_b128 v[22:25], v[22:23], off
	s_waitcnt vmcnt(7)
	v_sub_co_u32 v26, vcc_lo, v26, s34
	v_subrev_co_ci_u32_e32 v27, vcc_lo, 0, v27, vcc_lo
	s_waitcnt vmcnt(6)
	v_sub_co_u32 v28, vcc_lo, v28, s34
	v_subrev_co_ci_u32_e32 v29, vcc_lo, 0, v29, vcc_lo
	s_waitcnt vmcnt(5)
	v_sub_co_u32 v30, vcc_lo, v30, s34
	v_lshlrev_b64 v[26:27], 4, v[26:27]
	v_subrev_co_ci_u32_e32 v31, vcc_lo, 0, v31, vcc_lo
	s_waitcnt vmcnt(4)
	v_sub_co_u32 v32, vcc_lo, v32, s34
	v_lshlrev_b64 v[28:29], 4, v[28:29]
	v_subrev_co_ci_u32_e32 v33, vcc_lo, 0, v33, vcc_lo
	v_lshlrev_b64 v[30:31], 4, v[30:31]
	v_add_co_u32 v26, vcc_lo, s18, v26
	v_add_co_ci_u32_e32 v27, vcc_lo, s19, v27, vcc_lo
	s_delay_alu instid0(VALU_DEP_4)
	v_lshlrev_b64 v[32:33], 4, v[32:33]
	v_add_co_u32 v34, vcc_lo, s18, v28
	v_add_co_ci_u32_e32 v35, vcc_lo, s19, v29, vcc_lo
	v_add_co_u32 v36, vcc_lo, s18, v30
	v_add_co_ci_u32_e32 v37, vcc_lo, s19, v31, vcc_lo
	v_add_co_u32 v38, vcc_lo, s18, v32
	global_load_b128 v[26:29], v[26:27], off
	v_add_co_ci_u32_e32 v39, vcc_lo, s19, v33, vcc_lo
	s_clause 0x2
	global_load_b128 v[30:33], v[34:35], off
	global_load_b128 v[34:37], v[36:37], off
	;; [unrolled: 1-line block ×3, first 2 shown]
	s_waitcnt vmcnt(7)
	v_xor_b32_e32 v42, 0x80000000, v4
	s_waitcnt vmcnt(6)
	v_xor_b32_e32 v43, 0x80000000, v8
	;; [unrolled: 2-line block ×4, first 2 shown]
	v_cndmask_b32_e64 v4, v4, v42, s2
	v_cndmask_b32_e64 v8, v8, v43, s2
	;; [unrolled: 1-line block ×3, first 2 shown]
	s_delay_alu instid0(VALU_DEP_4) | instskip(NEXT) | instid1(VALU_DEP_4)
	v_cndmask_b32_e64 v25, v25, v45, s2
	v_mul_f64 v[42:43], v[3:4], -v[15:16]
	v_mul_f64 v[3:4], v[13:14], v[3:4]
	v_mul_f64 v[44:45], v[13:14], v[7:8]
	v_mul_f64 v[7:8], v[7:8], -v[15:16]
	v_mul_f64 v[46:47], v[13:14], v[20:21]
	v_mul_f64 v[20:21], v[20:21], -v[15:16]
	;; [unrolled: 2-line block ×3, first 2 shown]
	v_fma_f64 v[3:4], v[15:16], v[1:2], v[3:4]
	v_fma_f64 v[1:2], v[13:14], v[1:2], v[42:43]
	;; [unrolled: 1-line block ×8, first 2 shown]
	s_waitcnt vmcnt(3)
	v_mul_f64 v[7:8], v[28:29], -v[3:4]
	v_mul_f64 v[13:14], v[1:2], v[28:29]
	s_waitcnt vmcnt(2)
	v_mul_f64 v[15:16], v[32:33], -v[42:43]
	v_mul_f64 v[24:25], v[5:6], v[32:33]
	;; [unrolled: 3-line block ×4, first 2 shown]
	v_fma_f64 v[1:2], v[1:2], v[26:27], v[7:8]
	v_fma_f64 v[3:4], v[3:4], v[26:27], v[13:14]
	;; [unrolled: 1-line block ×8, first 2 shown]
	ds_store_b128 v17, v[1:4]
	ds_store_b128 v17, v[5:8] offset:4096
	ds_store_b128 v17, v[13:16] offset:8192
	;; [unrolled: 1-line block ×3, first 2 shown]
.LBB40_85:
	s_or_b32 exec_lo, exec_lo, s0
	v_cmp_lt_i64_e64 s0, s[26:27], 2
	s_waitcnt vmcnt(0) lgkmcnt(0)
	s_waitcnt_vscnt null, 0x0
	s_barrier
	buffer_gl0_inv
	s_and_b32 vcc_lo, exec_lo, s0
	s_mov_b32 s0, -1
	s_cbranch_vccz .LBB40_96
; %bb.86:
	v_add_co_u32 v13, s0, s20, v0
	s_delay_alu instid0(VALU_DEP_1) | instskip(SKIP_1) | instid1(VALU_DEP_1)
	v_add_co_ci_u32_e64 v14, null, s21, 0, s0
	s_mov_b32 s1, exec_lo
	v_cmpx_gt_i64_e64 s[22:23], v[13:14]
	s_cbranch_execz .LBB40_95
; %bb.87:
	v_cmp_neq_f64_e32 vcc_lo, 0, v[9:10]
	v_cmp_neq_f64_e64 s0, 0, v[11:12]
	s_lshl_b32 s4, s28, 4
	s_mov_b32 s2, 0
	s_sub_i32 s4, 0, s4
	s_delay_alu instid0(VALU_DEP_1)
	s_or_b32 s3, vcc_lo, s0
	s_branch .LBB40_89
.LBB40_88:                              ;   in Loop: Header=BB40_89 Depth=1
	s_or_b32 exec_lo, exec_lo, s0
	v_add_co_u32 v13, vcc_lo, 0x100, v13
	v_add_co_ci_u32_e32 v14, vcc_lo, 0, v14, vcc_lo
	v_add_co_u32 v5, s0, s24, v5
	s_delay_alu instid0(VALU_DEP_1) | instskip(NEXT) | instid1(VALU_DEP_3)
	v_add_co_ci_u32_e64 v6, s0, s25, v6, s0
	v_cmp_le_i64_e32 vcc_lo, s[22:23], v[13:14]
	global_store_b128 v[5:6], v[1:4], off
	s_or_b32 s2, vcc_lo, s2
	s_delay_alu instid0(SALU_CYCLE_1)
	s_and_not1_b32 exec_lo, exec_lo, s2
	s_cbranch_execz .LBB40_95
.LBB40_89:                              ; =>This Loop Header: Depth=1
                                        ;     Child Loop BB40_91 Depth 2
	v_lshlrev_b64 v[1:2], 3, v[13:14]
	v_mov_b32_e32 v3, 0
	v_mov_b32_e32 v4, 0
	s_mov_b32 s0, exec_lo
	s_delay_alu instid0(VALU_DEP_3) | instskip(NEXT) | instid1(VALU_DEP_4)
	v_add_co_u32 v1, vcc_lo, s12, v1
	v_add_co_ci_u32_e32 v2, vcc_lo, s13, v2, vcc_lo
	global_load_b128 v[5:8], v[1:2], off
	v_dual_mov_b32 v1, v3 :: v_dual_mov_b32 v2, v4
	s_waitcnt vmcnt(0)
	v_cmpx_lt_i64_e64 v[5:6], v[7:8]
	s_cbranch_execz .LBB40_93
; %bb.90:                               ;   in Loop: Header=BB40_89 Depth=1
	v_mov_b32_e32 v3, 0
	v_sub_co_u32 v7, vcc_lo, v7, s28
	v_mov_b32_e32 v4, 0
	v_subrev_co_ci_u32_e32 v8, vcc_lo, s29, v8, vcc_lo
	v_sub_co_u32 v15, vcc_lo, v5, s28
	v_subrev_co_ci_u32_e32 v16, vcc_lo, s29, v6, vcc_lo
	v_lshl_add_u32 v5, v5, 4, s4
	v_dual_mov_b32 v1, v3 :: v_dual_mov_b32 v2, v4
	s_mov_b32 s5, 0
.LBB40_91:                              ;   Parent Loop BB40_89 Depth=1
                                        ; =>  This Inner Loop Header: Depth=2
	ds_load_b128 v[18:21], v5
	v_add_co_u32 v15, vcc_lo, v15, 1
	v_add_co_ci_u32_e32 v16, vcc_lo, 0, v16, vcc_lo
	v_add_nc_u32_e32 v5, 16, v5
	s_delay_alu instid0(VALU_DEP_2)
	v_cmp_ge_i64_e32 vcc_lo, v[15:16], v[7:8]
	s_or_b32 s5, vcc_lo, s5
	s_waitcnt lgkmcnt(0)
	v_add_f64 v[1:2], v[1:2], v[18:19]
	v_add_f64 v[3:4], v[3:4], v[20:21]
	s_and_not1_b32 exec_lo, exec_lo, s5
	s_cbranch_execnz .LBB40_91
; %bb.92:                               ;   in Loop: Header=BB40_89 Depth=1
	s_or_b32 exec_lo, exec_lo, s5
.LBB40_93:                              ;   in Loop: Header=BB40_89 Depth=1
	s_delay_alu instid0(SALU_CYCLE_1)
	s_or_b32 exec_lo, exec_lo, s0
	v_lshlrev_b64 v[5:6], 4, v[13:14]
	s_and_saveexec_b32 s0, s3
	s_cbranch_execz .LBB40_88
; %bb.94:                               ;   in Loop: Header=BB40_89 Depth=1
	s_delay_alu instid0(VALU_DEP_1) | instskip(NEXT) | instid1(VALU_DEP_2)
	v_add_co_u32 v7, vcc_lo, s24, v5
	v_add_co_ci_u32_e32 v8, vcc_lo, s25, v6, vcc_lo
	global_load_b128 v[18:21], v[7:8], off
	s_waitcnt vmcnt(0)
	v_fma_f64 v[1:2], v[9:10], v[18:19], v[1:2]
	v_fma_f64 v[3:4], v[11:12], v[18:19], v[3:4]
	s_delay_alu instid0(VALU_DEP_2) | instskip(NEXT) | instid1(VALU_DEP_2)
	v_fma_f64 v[1:2], -v[11:12], v[20:21], v[1:2]
	v_fma_f64 v[3:4], v[9:10], v[20:21], v[3:4]
	s_branch .LBB40_88
.LBB40_95:
	s_or_b32 exec_lo, exec_lo, s1
	s_mov_b32 s0, 0
.LBB40_96:
	s_delay_alu instid0(SALU_CYCLE_1)
	s_and_not1_b32 vcc_lo, exec_lo, s0
	s_cbranch_vccnz .LBB40_121
; %bb.97:
	s_clz_i32_u32 s0, s26
	v_mov_b32_e32 v1, 0
	s_min_u32 s0, s0, 32
	s_mov_b32 s1, exec_lo
	s_sub_i32 s0, 31, s0
	s_delay_alu instid0(SALU_CYCLE_1) | instskip(NEXT) | instid1(VALU_DEP_1)
	v_lshrrev_b32_e32 v13, s0, v0
	v_add_co_u32 v5, s0, s20, v13
	s_delay_alu instid0(VALU_DEP_1) | instskip(SKIP_1) | instid1(SALU_CYCLE_1)
	v_add_co_ci_u32_e64 v6, null, s21, 0, s0
	s_add_i32 s0, s26, -1
	v_dual_mov_b32 v2, 0 :: v_dual_and_b32 v7, s0, v0
	v_and_b32_e64 v8, s0, 0
	s_delay_alu instid0(VALU_DEP_3) | instskip(NEXT) | instid1(VALU_DEP_3)
	v_cmp_le_i64_e64 s0, s[22:23], v[5:6]
	v_dual_mov_b32 v4, v2 :: v_dual_mov_b32 v3, v1
	v_cmpx_gt_i64_e64 s[22:23], v[5:6]
	s_cbranch_execz .LBB40_103
; %bb.98:
	v_lshlrev_b32_e32 v0, 3, v13
	v_sub_co_u32 v4, vcc_lo, v7, s28
	v_subrev_co_ci_u32_e32 v16, vcc_lo, s29, v8, vcc_lo
	global_load_b128 v[0:3], v0, s[30:31]
	s_mov_b32 s2, exec_lo
	s_waitcnt vmcnt(0)
	v_sub_co_u32 v13, vcc_lo, v2, s28
	v_subrev_co_ci_u32_e32 v14, vcc_lo, s29, v3, vcc_lo
	v_add_co_u32 v15, vcc_lo, v0, v4
	v_mov_b32_e32 v3, 0
	v_mov_b32_e32 v4, 0
	v_add_co_ci_u32_e32 v16, vcc_lo, v1, v16, vcc_lo
	s_delay_alu instid0(VALU_DEP_2) | instskip(NEXT) | instid1(VALU_DEP_2)
	v_dual_mov_b32 v1, v3 :: v_dual_mov_b32 v2, v4
	v_cmpx_lt_i64_e64 v[15:16], v[13:14]
	s_cbranch_execz .LBB40_102
; %bb.99:
	v_dual_mov_b32 v3, 0 :: v_dual_lshlrev_b32 v0, 4, v15
	v_mov_b32_e32 v4, 0
	s_delay_alu instid0(VALU_DEP_2) | instskip(SKIP_2) | instid1(VALU_DEP_2)
	v_mov_b32_e32 v1, v3
	s_lshl_b32 s4, s26, 4
	s_mov_b32 s3, 0
	v_mov_b32_e32 v2, v4
.LBB40_100:                             ; =>This Inner Loop Header: Depth=1
	ds_load_b128 v[18:21], v0
	v_add_co_u32 v15, vcc_lo, v15, s26
	v_add_co_ci_u32_e32 v16, vcc_lo, s27, v16, vcc_lo
	v_add_nc_u32_e32 v0, s4, v0
	s_delay_alu instid0(VALU_DEP_2)
	v_cmp_ge_i64_e32 vcc_lo, v[15:16], v[13:14]
	s_or_b32 s3, vcc_lo, s3
	s_waitcnt lgkmcnt(0)
	v_add_f64 v[1:2], v[1:2], v[18:19]
	v_add_f64 v[3:4], v[3:4], v[20:21]
	s_and_not1_b32 exec_lo, exec_lo, s3
	s_cbranch_execnz .LBB40_100
; %bb.101:
	s_or_b32 exec_lo, exec_lo, s3
.LBB40_102:
	s_delay_alu instid0(SALU_CYCLE_1)
	s_or_b32 exec_lo, exec_lo, s2
.LBB40_103:
	s_delay_alu instid0(SALU_CYCLE_1)
	s_or_b32 exec_lo, exec_lo, s1
	v_cmp_gt_i64_e64 s1, 0x81, s[26:27]
	s_waitcnt_vscnt null, 0x0
	s_barrier
	buffer_gl0_inv
	ds_store_b128 v17, v[1:4]
	s_waitcnt lgkmcnt(0)
	s_and_b32 vcc_lo, exec_lo, s1
	s_barrier
	buffer_gl0_inv
	s_cbranch_vccnz .LBB40_105
; %bb.104:
	ds_load_b128 v[13:16], v17 offset:2048
	s_waitcnt lgkmcnt(0)
	s_barrier
	buffer_gl0_inv
	v_add_f64 v[1:2], v[1:2], v[13:14]
	v_add_f64 v[3:4], v[3:4], v[15:16]
	ds_store_b128 v17, v[1:4]
.LBB40_105:
	v_cmp_gt_i64_e64 s1, 0x41, s[26:27]
	s_waitcnt lgkmcnt(0)
	s_barrier
	buffer_gl0_inv
	s_and_b32 vcc_lo, exec_lo, s1
	s_cbranch_vccnz .LBB40_107
; %bb.106:
	ds_load_b128 v[13:16], v17 offset:1024
	s_waitcnt lgkmcnt(0)
	s_barrier
	buffer_gl0_inv
	v_add_f64 v[1:2], v[1:2], v[13:14]
	v_add_f64 v[3:4], v[3:4], v[15:16]
	ds_store_b128 v17, v[1:4]
.LBB40_107:
	v_cmp_lt_i64_e64 s1, s[26:27], 33
	s_waitcnt lgkmcnt(0)
	s_barrier
	buffer_gl0_inv
	s_and_b32 vcc_lo, exec_lo, s1
	s_cbranch_vccnz .LBB40_109
; %bb.108:
	ds_load_b128 v[13:16], v17 offset:512
	s_waitcnt lgkmcnt(0)
	s_barrier
	buffer_gl0_inv
	v_add_f64 v[1:2], v[1:2], v[13:14]
	v_add_f64 v[3:4], v[3:4], v[15:16]
	ds_store_b128 v17, v[1:4]
.LBB40_109:
	v_cmp_lt_i64_e64 s1, s[26:27], 17
	;; [unrolled: 15-line block ×4, first 2 shown]
	s_waitcnt lgkmcnt(0)
	s_barrier
	buffer_gl0_inv
	s_and_b32 vcc_lo, exec_lo, s1
	s_cbranch_vccnz .LBB40_115
; %bb.114:
	ds_load_b128 v[13:16], v17 offset:64
	s_waitcnt lgkmcnt(0)
	s_barrier
	buffer_gl0_inv
	v_add_f64 v[1:2], v[1:2], v[13:14]
	v_add_f64 v[3:4], v[3:4], v[15:16]
	ds_store_b128 v17, v[1:4]
.LBB40_115:
	s_cmp_eq_u64 s[26:27], 2
	s_waitcnt lgkmcnt(0)
	s_barrier
	buffer_gl0_inv
	s_cbranch_scc1 .LBB40_117
; %bb.116:
	ds_load_b128 v[13:16], v17 offset:32
	s_waitcnt lgkmcnt(0)
	s_barrier
	buffer_gl0_inv
	v_add_f64 v[1:2], v[1:2], v[13:14]
	v_add_f64 v[3:4], v[3:4], v[15:16]
	ds_store_b128 v17, v[1:4]
.LBB40_117:
	s_waitcnt lgkmcnt(0)
	s_barrier
	buffer_gl0_inv
	ds_load_b128 v[13:16], v17 offset:16
	v_cmp_eq_u64_e32 vcc_lo, 0, v[7:8]
	s_xor_b32 s0, s0, -1
	s_waitcnt lgkmcnt(0)
	s_barrier
	buffer_gl0_inv
	s_and_b32 s0, vcc_lo, s0
	v_add_f64 v[0:1], v[1:2], v[13:14]
	v_add_f64 v[2:3], v[3:4], v[15:16]
	ds_store_b128 v17, v[0:3]
	s_and_b32 exec_lo, exec_lo, s0
	s_cbranch_execz .LBB40_121
; %bb.118:
	v_cmp_neq_f64_e32 vcc_lo, 0, v[9:10]
	v_cmp_neq_f64_e64 s0, 0, v[11:12]
	v_lshlrev_b64 v[4:5], 4, v[5:6]
	s_delay_alu instid0(VALU_DEP_2) | instskip(NEXT) | instid1(SALU_CYCLE_1)
	s_or_b32 s1, vcc_lo, s0
	s_and_saveexec_b32 s0, s1
	s_cbranch_execz .LBB40_120
; %bb.119:
	s_delay_alu instid0(VALU_DEP_1) | instskip(NEXT) | instid1(VALU_DEP_2)
	v_add_co_u32 v6, vcc_lo, s24, v4
	v_add_co_ci_u32_e32 v7, vcc_lo, s25, v5, vcc_lo
	global_load_b128 v[13:16], v[6:7], off
	s_waitcnt vmcnt(0)
	v_fma_f64 v[0:1], v[9:10], v[13:14], v[0:1]
	v_fma_f64 v[2:3], v[11:12], v[13:14], v[2:3]
	s_delay_alu instid0(VALU_DEP_2) | instskip(NEXT) | instid1(VALU_DEP_2)
	v_fma_f64 v[0:1], -v[11:12], v[15:16], v[0:1]
	v_fma_f64 v[2:3], v[9:10], v[15:16], v[2:3]
.LBB40_120:
	s_or_b32 exec_lo, exec_lo, s0
	s_delay_alu instid0(VALU_DEP_1)
	v_add_co_u32 v4, vcc_lo, s24, v4
	v_add_co_ci_u32_e32 v5, vcc_lo, s25, v5, vcc_lo
	global_store_b128 v[4:5], v[0:3], off
.LBB40_121:
	s_endpgm
	.section	.rodata,"a",@progbits
	.p2align	6, 0x0
	.amdhsa_kernel _ZN9rocsparseL22csrmvn_adaptive_kernelIll21rocsparse_complex_numIdES2_S2_S2_EEvbT_PKS3_PjPKT0_NS_24const_host_device_scalarIT4_EES5_S9_PKT1_PKT2_SC_PT3_21rocsparse_index_base_b
		.amdhsa_group_segment_fixed_size 16384
		.amdhsa_private_segment_fixed_size 24
		.amdhsa_kernarg_size 120
		.amdhsa_user_sgpr_count 15
		.amdhsa_user_sgpr_dispatch_ptr 0
		.amdhsa_user_sgpr_queue_ptr 0
		.amdhsa_user_sgpr_kernarg_segment_ptr 1
		.amdhsa_user_sgpr_dispatch_id 0
		.amdhsa_user_sgpr_private_segment_size 0
		.amdhsa_wavefront_size32 1
		.amdhsa_uses_dynamic_stack 0
		.amdhsa_enable_private_segment 1
		.amdhsa_system_sgpr_workgroup_id_x 1
		.amdhsa_system_sgpr_workgroup_id_y 0
		.amdhsa_system_sgpr_workgroup_id_z 0
		.amdhsa_system_sgpr_workgroup_info 0
		.amdhsa_system_vgpr_workitem_id 0
		.amdhsa_next_free_vgpr 50
		.amdhsa_next_free_sgpr 50
		.amdhsa_reserve_vcc 1
		.amdhsa_float_round_mode_32 0
		.amdhsa_float_round_mode_16_64 0
		.amdhsa_float_denorm_mode_32 3
		.amdhsa_float_denorm_mode_16_64 3
		.amdhsa_dx10_clamp 1
		.amdhsa_ieee_mode 1
		.amdhsa_fp16_overflow 0
		.amdhsa_workgroup_processor_mode 1
		.amdhsa_memory_ordered 1
		.amdhsa_forward_progress 0
		.amdhsa_shared_vgpr_count 0
		.amdhsa_exception_fp_ieee_invalid_op 0
		.amdhsa_exception_fp_denorm_src 0
		.amdhsa_exception_fp_ieee_div_zero 0
		.amdhsa_exception_fp_ieee_overflow 0
		.amdhsa_exception_fp_ieee_underflow 0
		.amdhsa_exception_fp_ieee_inexact 0
		.amdhsa_exception_int_div_zero 0
	.end_amdhsa_kernel
	.section	.text._ZN9rocsparseL22csrmvn_adaptive_kernelIll21rocsparse_complex_numIdES2_S2_S2_EEvbT_PKS3_PjPKT0_NS_24const_host_device_scalarIT4_EES5_S9_PKT1_PKT2_SC_PT3_21rocsparse_index_base_b,"axG",@progbits,_ZN9rocsparseL22csrmvn_adaptive_kernelIll21rocsparse_complex_numIdES2_S2_S2_EEvbT_PKS3_PjPKT0_NS_24const_host_device_scalarIT4_EES5_S9_PKT1_PKT2_SC_PT3_21rocsparse_index_base_b,comdat
.Lfunc_end40:
	.size	_ZN9rocsparseL22csrmvn_adaptive_kernelIll21rocsparse_complex_numIdES2_S2_S2_EEvbT_PKS3_PjPKT0_NS_24const_host_device_scalarIT4_EES5_S9_PKT1_PKT2_SC_PT3_21rocsparse_index_base_b, .Lfunc_end40-_ZN9rocsparseL22csrmvn_adaptive_kernelIll21rocsparse_complex_numIdES2_S2_S2_EEvbT_PKS3_PjPKT0_NS_24const_host_device_scalarIT4_EES5_S9_PKT1_PKT2_SC_PT3_21rocsparse_index_base_b
                                        ; -- End function
	.section	.AMDGPU.csdata,"",@progbits
; Kernel info:
; codeLenInByte = 6480
; NumSgprs: 52
; NumVgprs: 50
; ScratchSize: 24
; MemoryBound: 0
; FloatMode: 240
; IeeeMode: 1
; LDSByteSize: 16384 bytes/workgroup (compile time only)
; SGPRBlocks: 6
; VGPRBlocks: 6
; NumSGPRsForWavesPerEU: 52
; NumVGPRsForWavesPerEU: 50
; Occupancy: 16
; WaveLimiterHint : 1
; COMPUTE_PGM_RSRC2:SCRATCH_EN: 1
; COMPUTE_PGM_RSRC2:USER_SGPR: 15
; COMPUTE_PGM_RSRC2:TRAP_HANDLER: 0
; COMPUTE_PGM_RSRC2:TGID_X_EN: 1
; COMPUTE_PGM_RSRC2:TGID_Y_EN: 0
; COMPUTE_PGM_RSRC2:TGID_Z_EN: 0
; COMPUTE_PGM_RSRC2:TIDIG_COMP_CNT: 0
	.section	.text._ZN9rocsparseL22partial_scale_y_kernelIl21rocsparse_complex_numIdES2_EEvT_S3_S3_NS_24const_host_device_scalarIT1_EEPT0_b,"axG",@progbits,_ZN9rocsparseL22partial_scale_y_kernelIl21rocsparse_complex_numIdES2_EEvT_S3_S3_NS_24const_host_device_scalarIT1_EEPT0_b,comdat
	.globl	_ZN9rocsparseL22partial_scale_y_kernelIl21rocsparse_complex_numIdES2_EEvT_S3_S3_NS_24const_host_device_scalarIT1_EEPT0_b ; -- Begin function _ZN9rocsparseL22partial_scale_y_kernelIl21rocsparse_complex_numIdES2_EEvT_S3_S3_NS_24const_host_device_scalarIT1_EEPT0_b
	.p2align	8
	.type	_ZN9rocsparseL22partial_scale_y_kernelIl21rocsparse_complex_numIdES2_EEvT_S3_S3_NS_24const_host_device_scalarIT1_EEPT0_b,@function
_ZN9rocsparseL22partial_scale_y_kernelIl21rocsparse_complex_numIdES2_EEvT_S3_S3_NS_24const_host_device_scalarIT1_EEPT0_b: ; @_ZN9rocsparseL22partial_scale_y_kernelIl21rocsparse_complex_numIdES2_EEvT_S3_S3_NS_24const_host_device_scalarIT1_EEPT0_b
; %bb.0:
	s_load_b64 s[0:1], s[0:1], 0x4
	s_clause 0x1
	s_load_b32 s12, s[2:3], 0x30
	s_load_b256 s[4:11], s[2:3], 0x0
	v_and_b32_e32 v4, 0x3ff, v0
	v_bfe_u32 v2, v0, 10, 10
	v_bfe_u32 v0, v0, 20, 10
	s_waitcnt lgkmcnt(0)
	s_lshr_b32 s0, s0, 16
	s_delay_alu instid0(SALU_CYCLE_1) | instskip(NEXT) | instid1(SALU_CYCLE_1)
	s_mul_i32 s0, s0, s1
	v_mul_lo_u32 v1, s0, v4
	s_and_b32 s0, 1, s12
	s_delay_alu instid0(SALU_CYCLE_1) | instskip(SKIP_1) | instid1(VALU_DEP_1)
	s_cmp_eq_u32 s0, 1
	s_cselect_b32 vcc_lo, -1, 0
	v_mad_u32_u24 v1, v2, s1, v1
	s_mov_b64 s[0:1], src_shared_base
	s_delay_alu instid0(VALU_DEP_1) | instskip(NEXT) | instid1(VALU_DEP_1)
	v_add_lshl_u32 v5, v1, v0, 3
	v_cndmask_b32_e32 v0, s10, v5, vcc_lo
	s_and_b32 vcc_lo, vcc_lo, exec_lo
	s_cselect_b32 s0, s1, s11
	s_delay_alu instid0(SALU_CYCLE_1)
	v_dual_mov_b32 v2, s10 :: v_dual_mov_b32 v1, s0
	v_mov_b32_e32 v3, s11
	s_load_b64 s[0:1], s[2:3], 0x20
	ds_store_b64 v5, v[2:3]
	flat_load_b64 v[0:1], v[0:1]
	s_waitcnt lgkmcnt(0)
	v_dual_mov_b32 v3, s1 :: v_dual_mov_b32 v2, s0
	s_cbranch_vccnz .LBB41_2
; %bb.1:
	v_dual_mov_b32 v2, s10 :: v_dual_mov_b32 v3, s11
	flat_load_b64 v[2:3], v[2:3] offset:8
.LBB41_2:
	s_waitcnt vmcnt(0)
	v_cmp_neq_f64_e32 vcc_lo, 1.0, v[0:1]
	s_waitcnt lgkmcnt(0)
	v_cmp_neq_f64_e64 s0, 0, v[2:3]
	s_delay_alu instid0(VALU_DEP_1) | instskip(NEXT) | instid1(SALU_CYCLE_1)
	s_or_b32 s0, vcc_lo, s0
	s_and_saveexec_b32 s1, s0
	s_cbranch_execz .LBB41_15
; %bb.3:
	v_lshl_or_b32 v4, s15, 8, v4
	v_mov_b32_e32 v5, 0
	s_add_u32 s0, s6, s4
	s_addc_u32 s1, s7, s5
	s_sub_u32 s0, s0, s8
	s_subb_u32 s1, s1, s9
	s_delay_alu instid0(SALU_CYCLE_1)
	v_cmp_gt_i64_e32 vcc_lo, s[0:1], v[4:5]
	s_and_b32 exec_lo, exec_lo, vcc_lo
	s_cbranch_execz .LBB41_15
; %bb.4:
	v_cmp_neq_f64_e32 vcc_lo, 0, v[0:1]
	v_cmp_neq_f64_e64 s0, 0, v[2:3]
	s_load_b64 s[2:3], s[2:3], 0x28
	v_cmp_le_i64_e64 s1, s[6:7], v[4:5]
	s_delay_alu instid0(VALU_DEP_2) | instskip(NEXT) | instid1(VALU_DEP_1)
	s_or_b32 s0, vcc_lo, s0
	s_and_saveexec_b32 s4, s1
	s_delay_alu instid0(SALU_CYCLE_1)
	s_xor_b32 s1, exec_lo, s4
	s_cbranch_execz .LBB41_10
; %bb.5:
	v_sub_co_u32 v4, s4, v4, s6
	s_delay_alu instid0(VALU_DEP_1) | instskip(SKIP_3) | instid1(VALU_DEP_1)
	v_sub_co_ci_u32_e64 v5, null, 0, s7, s4
	s_lshl_b64 s[4:5], s[8:9], 4
	s_waitcnt lgkmcnt(0)
	s_add_u32 s4, s4, s2
	v_lshlrev_b64 v[4:5], 4, v[4:5]
	s_addc_u32 s5, s5, s3
	s_delay_alu instid0(VALU_DEP_1) | instskip(NEXT) | instid1(VALU_DEP_2)
	v_add_co_u32 v4, vcc_lo, s4, v4
	v_add_co_ci_u32_e32 v5, vcc_lo, s5, v5, vcc_lo
	s_and_saveexec_b32 s4, s0
	s_delay_alu instid0(SALU_CYCLE_1)
	s_xor_b32 s4, exec_lo, s4
	s_cbranch_execz .LBB41_7
; %bb.6:
	global_load_b128 v[6:9], v[4:5], off
	s_waitcnt vmcnt(0)
	v_mul_f64 v[10:11], v[2:3], -v[8:9]
	v_mul_f64 v[2:3], v[2:3], v[6:7]
	s_delay_alu instid0(VALU_DEP_2) | instskip(NEXT) | instid1(VALU_DEP_2)
	v_fma_f64 v[6:7], v[6:7], v[0:1], v[10:11]
	v_fma_f64 v[8:9], v[8:9], v[0:1], v[2:3]
	global_store_b128 v[4:5], v[6:9], off
                                        ; implicit-def: $vgpr4_vgpr5
.LBB41_7:
	s_and_not1_saveexec_b32 s4, s4
	s_cbranch_execz .LBB41_9
; %bb.8:
	v_mov_b32_e32 v0, 0
	s_delay_alu instid0(VALU_DEP_1)
	v_mov_b32_e32 v1, v0
	v_mov_b32_e32 v2, v0
	;; [unrolled: 1-line block ×3, first 2 shown]
	global_store_b128 v[4:5], v[0:3], off
.LBB41_9:
	s_or_b32 exec_lo, exec_lo, s4
                                        ; implicit-def: $vgpr4_vgpr5
                                        ; implicit-def: $vgpr2_vgpr3
                                        ; implicit-def: $vgpr0_vgpr1
.LBB41_10:
	s_and_not1_saveexec_b32 s1, s1
	s_cbranch_execz .LBB41_15
; %bb.11:
	v_lshlrev_b64 v[4:5], 4, v[4:5]
	s_waitcnt lgkmcnt(0)
	s_delay_alu instid0(VALU_DEP_1) | instskip(NEXT) | instid1(VALU_DEP_2)
	v_add_co_u32 v4, vcc_lo, s2, v4
	v_add_co_ci_u32_e32 v5, vcc_lo, s3, v5, vcc_lo
	s_and_saveexec_b32 s1, s0
	s_delay_alu instid0(SALU_CYCLE_1)
	s_xor_b32 s0, exec_lo, s1
	s_cbranch_execz .LBB41_13
; %bb.12:
	global_load_b128 v[6:9], v[4:5], off
	s_waitcnt vmcnt(0)
	v_mul_f64 v[10:11], v[2:3], -v[8:9]
	v_mul_f64 v[2:3], v[2:3], v[6:7]
	s_delay_alu instid0(VALU_DEP_2) | instskip(NEXT) | instid1(VALU_DEP_2)
	v_fma_f64 v[6:7], v[6:7], v[0:1], v[10:11]
	v_fma_f64 v[8:9], v[8:9], v[0:1], v[2:3]
	global_store_b128 v[4:5], v[6:9], off
                                        ; implicit-def: $vgpr4_vgpr5
.LBB41_13:
	s_and_not1_saveexec_b32 s0, s0
	s_cbranch_execz .LBB41_15
; %bb.14:
	v_mov_b32_e32 v0, 0
	s_delay_alu instid0(VALU_DEP_1)
	v_mov_b32_e32 v1, v0
	v_mov_b32_e32 v2, v0
	;; [unrolled: 1-line block ×3, first 2 shown]
	global_store_b128 v[4:5], v[0:3], off
.LBB41_15:
	s_nop 0
	s_sendmsg sendmsg(MSG_DEALLOC_VGPRS)
	s_endpgm
	.section	.rodata,"a",@progbits
	.p2align	6, 0x0
	.amdhsa_kernel _ZN9rocsparseL22partial_scale_y_kernelIl21rocsparse_complex_numIdES2_EEvT_S3_S3_NS_24const_host_device_scalarIT1_EEPT0_b
		.amdhsa_group_segment_fixed_size 2048
		.amdhsa_private_segment_fixed_size 0
		.amdhsa_kernarg_size 52
		.amdhsa_user_sgpr_count 15
		.amdhsa_user_sgpr_dispatch_ptr 1
		.amdhsa_user_sgpr_queue_ptr 0
		.amdhsa_user_sgpr_kernarg_segment_ptr 1
		.amdhsa_user_sgpr_dispatch_id 0
		.amdhsa_user_sgpr_private_segment_size 0
		.amdhsa_wavefront_size32 1
		.amdhsa_uses_dynamic_stack 0
		.amdhsa_enable_private_segment 0
		.amdhsa_system_sgpr_workgroup_id_x 1
		.amdhsa_system_sgpr_workgroup_id_y 0
		.amdhsa_system_sgpr_workgroup_id_z 0
		.amdhsa_system_sgpr_workgroup_info 0
		.amdhsa_system_vgpr_workitem_id 2
		.amdhsa_next_free_vgpr 12
		.amdhsa_next_free_sgpr 16
		.amdhsa_reserve_vcc 1
		.amdhsa_float_round_mode_32 0
		.amdhsa_float_round_mode_16_64 0
		.amdhsa_float_denorm_mode_32 3
		.amdhsa_float_denorm_mode_16_64 3
		.amdhsa_dx10_clamp 1
		.amdhsa_ieee_mode 1
		.amdhsa_fp16_overflow 0
		.amdhsa_workgroup_processor_mode 1
		.amdhsa_memory_ordered 1
		.amdhsa_forward_progress 0
		.amdhsa_shared_vgpr_count 0
		.amdhsa_exception_fp_ieee_invalid_op 0
		.amdhsa_exception_fp_denorm_src 0
		.amdhsa_exception_fp_ieee_div_zero 0
		.amdhsa_exception_fp_ieee_overflow 0
		.amdhsa_exception_fp_ieee_underflow 0
		.amdhsa_exception_fp_ieee_inexact 0
		.amdhsa_exception_int_div_zero 0
	.end_amdhsa_kernel
	.section	.text._ZN9rocsparseL22partial_scale_y_kernelIl21rocsparse_complex_numIdES2_EEvT_S3_S3_NS_24const_host_device_scalarIT1_EEPT0_b,"axG",@progbits,_ZN9rocsparseL22partial_scale_y_kernelIl21rocsparse_complex_numIdES2_EEvT_S3_S3_NS_24const_host_device_scalarIT1_EEPT0_b,comdat
.Lfunc_end41:
	.size	_ZN9rocsparseL22partial_scale_y_kernelIl21rocsparse_complex_numIdES2_EEvT_S3_S3_NS_24const_host_device_scalarIT1_EEPT0_b, .Lfunc_end41-_ZN9rocsparseL22partial_scale_y_kernelIl21rocsparse_complex_numIdES2_EEvT_S3_S3_NS_24const_host_device_scalarIT1_EEPT0_b
                                        ; -- End function
	.section	.AMDGPU.csdata,"",@progbits
; Kernel info:
; codeLenInByte = 660
; NumSgprs: 18
; NumVgprs: 12
; ScratchSize: 0
; MemoryBound: 0
; FloatMode: 240
; IeeeMode: 1
; LDSByteSize: 2048 bytes/workgroup (compile time only)
; SGPRBlocks: 2
; VGPRBlocks: 1
; NumSGPRsForWavesPerEU: 18
; NumVGPRsForWavesPerEU: 12
; Occupancy: 16
; WaveLimiterHint : 0
; COMPUTE_PGM_RSRC2:SCRATCH_EN: 0
; COMPUTE_PGM_RSRC2:USER_SGPR: 15
; COMPUTE_PGM_RSRC2:TRAP_HANDLER: 0
; COMPUTE_PGM_RSRC2:TGID_X_EN: 1
; COMPUTE_PGM_RSRC2:TGID_Y_EN: 0
; COMPUTE_PGM_RSRC2:TGID_Z_EN: 0
; COMPUTE_PGM_RSRC2:TIDIG_COMP_CNT: 2
	.section	.text._ZN9rocsparseL27csrmvn_symm_adaptive_kernelIll21rocsparse_complex_numIdES2_S2_S2_EEvbT_S3_PKS3_NS_24const_host_device_scalarIT4_EES5_PKT0_PKT1_PKT2_S8_PT3_21rocsparse_index_base_b,"axG",@progbits,_ZN9rocsparseL27csrmvn_symm_adaptive_kernelIll21rocsparse_complex_numIdES2_S2_S2_EEvbT_S3_PKS3_NS_24const_host_device_scalarIT4_EES5_PKT0_PKT1_PKT2_S8_PT3_21rocsparse_index_base_b,comdat
	.globl	_ZN9rocsparseL27csrmvn_symm_adaptive_kernelIll21rocsparse_complex_numIdES2_S2_S2_EEvbT_S3_PKS3_NS_24const_host_device_scalarIT4_EES5_PKT0_PKT1_PKT2_S8_PT3_21rocsparse_index_base_b ; -- Begin function _ZN9rocsparseL27csrmvn_symm_adaptive_kernelIll21rocsparse_complex_numIdES2_S2_S2_EEvbT_S3_PKS3_NS_24const_host_device_scalarIT4_EES5_PKT0_PKT1_PKT2_S8_PT3_21rocsparse_index_base_b
	.p2align	8
	.type	_ZN9rocsparseL27csrmvn_symm_adaptive_kernelIll21rocsparse_complex_numIdES2_S2_S2_EEvbT_S3_PKS3_NS_24const_host_device_scalarIT4_EES5_PKT0_PKT1_PKT2_S8_PT3_21rocsparse_index_base_b,@function
_ZN9rocsparseL27csrmvn_symm_adaptive_kernelIll21rocsparse_complex_numIdES2_S2_S2_EEvbT_S3_PKS3_NS_24const_host_device_scalarIT4_EES5_PKT0_PKT1_PKT2_S8_PT3_21rocsparse_index_base_b: ; @_ZN9rocsparseL27csrmvn_symm_adaptive_kernelIll21rocsparse_complex_numIdES2_S2_S2_EEvbT_S3_PKS3_NS_24const_host_device_scalarIT4_EES5_PKT0_PKT1_PKT2_S8_PT3_21rocsparse_index_base_b
; %bb.0:
	s_clause 0x2
	s_load_b64 s[26:27], s[0:1], 0x68
	s_load_b128 s[8:11], s[0:1], 0x20
	s_load_b128 s[4:7], s[0:1], 0x50
	s_mov_b64 s[2:3], src_private_base
	v_mov_b32_e32 v1, 0
	s_mov_b32 s12, s15
	s_waitcnt lgkmcnt(0)
	s_bitcmp1_b32 s27, 0
	v_dual_mov_b32 v3, s8 :: v_dual_mov_b32 v6, s5
	s_cselect_b32 s2, -1, 0
	v_mov_b32_e32 v4, s9
	s_and_b32 vcc_lo, s2, exec_lo
	s_cselect_b32 s13, s3, s9
	v_cndmask_b32_e64 v1, s8, v1, s2
	v_dual_mov_b32 v5, s4 :: v_dual_mov_b32 v2, s13
	s_clause 0x1
	scratch_store_b64 off, v[3:4], off
	scratch_store_b64 off, v[5:6], off offset:8
	v_dual_mov_b32 v12, s11 :: v_dual_mov_b32 v11, s10
	flat_load_b64 v[9:10], v[1:2]
	s_xor_b32 s10, s2, -1
	s_cbranch_vccnz .LBB42_2
; %bb.1:
	v_dual_mov_b32 v1, s8 :: v_dual_mov_b32 v2, s9
	flat_load_b64 v[11:12], v[1:2] offset:8
.LBB42_2:
	s_and_b32 s8, s2, exec_lo
	s_cselect_b32 s3, s3, s5
	s_delay_alu instid0(SALU_CYCLE_1) | instskip(SKIP_2) | instid1(VALU_DEP_2)
	v_dual_mov_b32 v1, 8 :: v_dual_mov_b32 v2, s3
	v_dual_mov_b32 v3, s6 :: v_dual_mov_b32 v4, s7
	s_and_not1_b32 vcc_lo, exec_lo, s10
	v_cndmask_b32_e64 v1, s4, v1, s2
	flat_load_b64 v[1:2], v[1:2]
	s_cbranch_vccnz .LBB42_4
; %bb.3:
	v_dual_mov_b32 v3, s4 :: v_dual_mov_b32 v4, s5
	flat_load_b64 v[3:4], v[3:4] offset:8
.LBB42_4:
	s_waitcnt vmcnt(1) lgkmcnt(1)
	v_cmp_eq_f64_e32 vcc_lo, 0, v[9:10]
	v_cmp_eq_f64_e64 s2, 0, v[11:12]
	s_delay_alu instid0(VALU_DEP_1)
	s_and_b32 s4, vcc_lo, s2
	s_mov_b32 s2, -1
	s_and_saveexec_b32 s3, s4
	s_cbranch_execz .LBB42_6
; %bb.5:
	s_waitcnt vmcnt(0) lgkmcnt(0)
	v_cmp_neq_f64_e32 vcc_lo, 1.0, v[1:2]
	v_cmp_neq_f64_e64 s2, 0, v[3:4]
	s_delay_alu instid0(VALU_DEP_1) | instskip(NEXT) | instid1(SALU_CYCLE_1)
	s_or_b32 s2, vcc_lo, s2
	s_or_not1_b32 s2, s2, exec_lo
.LBB42_6:
	s_or_b32 exec_lo, exec_lo, s3
	s_and_saveexec_b32 s3, s2
	s_cbranch_execz .LBB42_216
; %bb.7:
	s_clause 0x1
	s_load_b32 s2, s[0:1], 0x0
	s_load_b64 s[8:9], s[0:1], 0x18
	s_mov_b32 s4, 0
	s_delay_alu instid0(SALU_CYCLE_1)
	s_mov_b32 s5, s4
	s_mov_b32 s6, s4
	;; [unrolled: 1-line block ×3, first 2 shown]
	s_waitcnt vmcnt(0) lgkmcnt(0)
	v_dual_mov_b32 v1, s4 :: v_dual_lshlrev_b32 v26, 4, v0
	v_dual_mov_b32 v2, s5 :: v_dual_mov_b32 v3, s6
	v_mov_b32_e32 v4, s7
	ds_store_b128 v26, v[1:4]
	ds_store_b128 v26, v[1:4] offset:4096
	ds_store_b128 v26, v[1:4] offset:8192
	;; [unrolled: 1-line block ×3, first 2 shown]
	s_waitcnt lgkmcnt(0)
	s_waitcnt_vscnt null, 0x0
	s_barrier
	s_bitcmp1_b32 s2, 0
	buffer_gl0_inv
	s_cselect_b32 s2, -1, 0
	s_ashr_i32 s13, s12, 31
	s_delay_alu instid0(SALU_CYCLE_1) | instskip(NEXT) | instid1(SALU_CYCLE_1)
	s_lshl_b64 s[4:5], s[12:13], 3
	s_add_u32 s4, s8, s4
	s_addc_u32 s5, s9, s5
	s_load_b128 s[20:23], s[4:5], 0x0
	s_clause 0x1
	s_load_b64 s[10:11], s[0:1], 0x60
	s_load_b256 s[12:19], s[0:1], 0x30
	s_waitcnt lgkmcnt(0)
	s_sub_u32 s24, s22, s20
	s_subb_u32 s25, s23, s21
	s_delay_alu instid0(SALU_CYCLE_1) | instskip(NEXT) | instid1(VALU_DEP_1)
	v_cmp_gt_i64_e64 s3, s[24:25], 2
	s_and_b32 vcc_lo, exec_lo, s3
	s_mov_b32 s3, -1
	s_cbranch_vccnz .LBB42_53
; %bb.8:
	v_cmp_gt_i64_e64 s3, s[22:23], s[20:21]
	v_sub_co_u32 v15, s4, v0, s26
	s_delay_alu instid0(VALU_DEP_1) | instskip(NEXT) | instid1(VALU_DEP_3)
	v_sub_co_ci_u32_e64 v16, null, 0, 0, s4
	s_and_b32 vcc_lo, exec_lo, s3
	s_cbranch_vccnz .LBB42_10
; %bb.9:
	s_lshl_b64 s[4:5], s[20:21], 3
	s_delay_alu instid0(SALU_CYCLE_1)
	s_add_u32 s4, s12, s4
	s_addc_u32 s5, s13, s5
	s_load_b64 s[28:29], s[4:5], 0x0
	s_cbranch_execz .LBB42_11
	s_branch .LBB42_40
.LBB42_10:
                                        ; implicit-def: $sgpr28_sgpr29
.LBB42_11:
	s_lshl_b64 s[4:5], s[20:21], 3
	v_cmp_gt_u32_e64 s3, 0x100, v0
	s_add_u32 s4, s12, s4
	s_addc_u32 s5, s13, s5
	v_cmp_gt_u32_e64 s6, 4, v0
	s_waitcnt lgkmcnt(0)
	s_load_b64 s[28:29], s[4:5], 0x0
	v_cmp_gt_u32_e64 s4, 64, v0
	v_cmp_gt_u32_e64 s5, 16, v0
	v_cmp_eq_u32_e64 s7, 0, v0
	v_mov_b32_e32 v17, 0
	s_add_u32 s27, s12, 8
	s_addc_u32 s33, s13, 0
	s_add_u32 s38, s16, 8
	s_addc_u32 s39, s17, 0
	s_mov_b64 s[30:31], s[20:21]
	s_waitcnt lgkmcnt(0)
	s_mov_b64 s[34:35], s[28:29]
	s_branch .LBB42_13
.LBB42_12:                              ;   in Loop: Header=BB42_13 Depth=1
	s_or_b32 exec_lo, exec_lo, s36
	s_add_u32 s30, s30, 1
	s_addc_u32 s31, s31, 0
	s_delay_alu instid0(SALU_CYCLE_1) | instskip(NEXT) | instid1(VALU_DEP_1)
	v_cmp_ge_i64_e64 s8, s[30:31], s[22:23]
	s_and_b32 vcc_lo, exec_lo, s8
	s_cbranch_vccnz .LBB42_40
.LBB42_13:                              ; =>This Loop Header: Depth=1
                                        ;     Child Loop BB42_15 Depth 2
                                        ;     Child Loop BB42_29 Depth 2
	;; [unrolled: 1-line block ×5, first 2 shown]
	s_lshl_b64 s[8:9], s[30:31], 3
	s_mov_b64 s[36:37], s[34:35]
	s_add_u32 s8, s27, s8
	s_addc_u32 s9, s33, s9
	v_mov_b32_e32 v3, 0
	s_load_b64 s[34:35], s[8:9], 0x0
	v_mov_b32_e32 v4, 0
	v_add_co_u32 v5, vcc_lo, s36, v15
	v_add_co_ci_u32_e32 v6, vcc_lo, s37, v16, vcc_lo
	s_delay_alu instid0(VALU_DEP_3) | instskip(SKIP_4) | instid1(SALU_CYCLE_1)
	v_dual_mov_b32 v1, v3 :: v_dual_mov_b32 v2, v4
	s_mov_b32 s9, exec_lo
	s_waitcnt lgkmcnt(0)
	s_sub_u32 s36, s34, s26
	s_subb_u32 s37, s35, 0
	v_cmpx_gt_i64_e64 s[36:37], v[5:6]
	s_cbranch_execz .LBB42_17
; %bb.14:                               ;   in Loop: Header=BB42_13 Depth=1
	v_lshlrev_b64 v[1:2], 3, v[5:6]
	v_lshlrev_b64 v[13:14], 4, v[5:6]
	v_mov_b32_e32 v3, 0
	v_mov_b32_e32 v4, 0
	s_mov_b32 s40, 0
	s_delay_alu instid0(VALU_DEP_4)
	v_add_co_u32 v7, vcc_lo, s14, v1
	v_add_co_ci_u32_e32 v8, vcc_lo, s15, v2, vcc_lo
	v_add_co_u32 v13, vcc_lo, s38, v13
	v_add_co_ci_u32_e32 v14, vcc_lo, s39, v14, vcc_lo
	v_dual_mov_b32 v1, v3 :: v_dual_mov_b32 v2, v4
	s_set_inst_prefetch_distance 0x1
	.p2align	6
.LBB42_15:                              ;   Parent Loop BB42_13 Depth=1
                                        ; =>  This Inner Loop Header: Depth=2
	global_load_b64 v[18:19], v[7:8], off
	s_waitcnt vmcnt(0)
	v_sub_co_u32 v18, vcc_lo, v18, s26
	v_subrev_co_ci_u32_e32 v19, vcc_lo, 0, v19, vcc_lo
	s_delay_alu instid0(VALU_DEP_1) | instskip(SKIP_2) | instid1(VALU_DEP_1)
	v_lshlrev_b64 v[22:23], 4, v[18:19]
	global_load_b128 v[18:21], v[13:14], off offset:-8
	v_add_co_u32 v13, s8, 0x1000, v13
	v_add_co_ci_u32_e64 v14, s8, 0, v14, s8
	v_add_co_u32 v22, vcc_lo, s18, v22
	v_add_co_ci_u32_e32 v23, vcc_lo, s19, v23, vcc_lo
	v_add_co_u32 v5, vcc_lo, 0x100, v5
	v_add_co_ci_u32_e32 v6, vcc_lo, 0, v6, vcc_lo
	global_load_b128 v[22:25], v[22:23], off
	v_add_co_u32 v7, vcc_lo, 0x800, v7
	v_add_co_ci_u32_e32 v8, vcc_lo, 0, v8, vcc_lo
	v_cmp_le_i64_e32 vcc_lo, s[36:37], v[5:6]
	s_or_b32 s40, vcc_lo, s40
	s_waitcnt vmcnt(1)
	v_xor_b32_e32 v27, 0x80000000, v21
	s_delay_alu instid0(VALU_DEP_1) | instskip(SKIP_2) | instid1(VALU_DEP_2)
	v_cndmask_b32_e64 v21, v21, v27, s2
	s_waitcnt vmcnt(0)
	v_fma_f64 v[1:2], v[18:19], v[22:23], v[1:2]
	v_fma_f64 v[3:4], v[20:21], v[22:23], v[3:4]
	s_delay_alu instid0(VALU_DEP_2) | instskip(NEXT) | instid1(VALU_DEP_2)
	v_fma_f64 v[1:2], -v[20:21], v[24:25], v[1:2]
	v_fma_f64 v[3:4], v[18:19], v[24:25], v[3:4]
	s_and_not1_b32 exec_lo, exec_lo, s40
	s_cbranch_execnz .LBB42_15
; %bb.16:                               ;   in Loop: Header=BB42_13 Depth=1
	s_set_inst_prefetch_distance 0x2
	s_or_b32 exec_lo, exec_lo, s40
.LBB42_17:                              ;   in Loop: Header=BB42_13 Depth=1
	s_delay_alu instid0(SALU_CYCLE_1)
	s_or_b32 exec_lo, exec_lo, s9
	ds_store_b128 v26, v[1:4]
	s_waitcnt lgkmcnt(0)
	s_barrier
	buffer_gl0_inv
	s_and_saveexec_b32 s8, s3
	s_cbranch_execz .LBB42_19
; %bb.18:                               ;   in Loop: Header=BB42_13 Depth=1
	ds_load_b128 v[1:4], v26 offset:4096
	ds_load_b128 v[5:8], v26 offset:8192
	ds_load_b128 v[18:21], v26 offset:12288
	ds_load_b128 v[22:25], v26
	s_waitcnt lgkmcnt(2)
	v_add_f64 v[1:2], v[5:6], v[1:2]
	v_add_f64 v[3:4], v[7:8], v[3:4]
	s_waitcnt lgkmcnt(1)
	s_delay_alu instid0(VALU_DEP_2) | instskip(NEXT) | instid1(VALU_DEP_2)
	v_add_f64 v[1:2], v[1:2], v[18:19]
	v_add_f64 v[3:4], v[3:4], v[20:21]
	s_waitcnt lgkmcnt(0)
	s_delay_alu instid0(VALU_DEP_2) | instskip(NEXT) | instid1(VALU_DEP_2)
	v_add_f64 v[1:2], v[1:2], v[22:23]
	v_add_f64 v[3:4], v[3:4], v[24:25]
	ds_store_b128 v26, v[1:4]
.LBB42_19:                              ;   in Loop: Header=BB42_13 Depth=1
	s_or_b32 exec_lo, exec_lo, s8
	s_waitcnt lgkmcnt(0)
	s_barrier
	buffer_gl0_inv
	s_and_saveexec_b32 s8, s4
	s_cbranch_execz .LBB42_21
; %bb.20:                               ;   in Loop: Header=BB42_13 Depth=1
	ds_load_b128 v[1:4], v26 offset:1024
	ds_load_b128 v[5:8], v26 offset:2048
	ds_load_b128 v[18:21], v26 offset:3072
	ds_load_b128 v[22:25], v26
	s_waitcnt lgkmcnt(2)
	v_add_f64 v[1:2], v[5:6], v[1:2]
	v_add_f64 v[3:4], v[7:8], v[3:4]
	s_waitcnt lgkmcnt(1)
	s_delay_alu instid0(VALU_DEP_2) | instskip(NEXT) | instid1(VALU_DEP_2)
	v_add_f64 v[1:2], v[1:2], v[18:19]
	v_add_f64 v[3:4], v[3:4], v[20:21]
	s_waitcnt lgkmcnt(0)
	s_delay_alu instid0(VALU_DEP_2) | instskip(NEXT) | instid1(VALU_DEP_2)
	v_add_f64 v[1:2], v[1:2], v[22:23]
	v_add_f64 v[3:4], v[3:4], v[24:25]
	ds_store_b128 v26, v[1:4]
.LBB42_21:                              ;   in Loop: Header=BB42_13 Depth=1
	s_or_b32 exec_lo, exec_lo, s8
	;; [unrolled: 24-line block ×5, first 2 shown]
	s_waitcnt lgkmcnt(0)
	s_barrier
	buffer_gl0_inv
	s_and_saveexec_b32 s36, s7
	s_cbranch_execz .LBB42_12
; %bb.28:                               ;   in Loop: Header=BB42_13 Depth=1
	ds_load_b128 v[1:4], v17
	v_mov_b32_e32 v13, 0
	v_bfrev_b32_e32 v14, 1
	s_mov_b32 s8, exec_lo
	s_waitcnt lgkmcnt(0)
	v_mul_f64 v[5:6], v[3:4], -v[11:12]
	s_delay_alu instid0(VALU_DEP_1)
	v_fma_f64 v[5:6], v[9:10], v[1:2], v[5:6]
.LBB42_29:                              ;   Parent Loop BB42_13 Depth=1
                                        ; =>  This Inner Loop Header: Depth=2
	s_ctz_i32_b32 s9, s8
	s_delay_alu instid0(VALU_DEP_1) | instid1(SALU_CYCLE_1)
	v_readlane_b32 s41, v6, s9
	s_delay_alu instid0(VALU_DEP_2) | instskip(SKIP_1) | instid1(SALU_CYCLE_1)
	v_readlane_b32 s40, v5, s9
	s_lshl_b32 s9, 1, s9
	s_and_not1_b32 s8, s8, s9
	s_delay_alu instid0(VALU_DEP_1)
	v_add_f64 v[13:14], v[13:14], s[40:41]
	s_cmp_lg_u32 s8, 0
	s_cbranch_scc1 .LBB42_29
; %bb.30:                               ;   in Loop: Header=BB42_13 Depth=1
	v_mbcnt_lo_u32_b32 v5, exec_lo, 0
	s_lshl_b64 s[8:9], s[30:31], 4
	s_mov_b32 s37, exec_lo
	s_add_u32 s8, s10, s8
	s_addc_u32 s9, s11, s9
	v_cmpx_eq_u32_e32 0, v5
	s_xor_b32 s37, exec_lo, s37
	s_cbranch_execz .LBB42_34
; %bb.31:                               ;   in Loop: Header=BB42_13 Depth=1
	global_load_b64 v[7:8], v17, s[8:9]
	s_mov_b32 s40, 0
.LBB42_32:                              ;   Parent Loop BB42_13 Depth=1
                                        ; =>  This Inner Loop Header: Depth=2
	s_waitcnt vmcnt(0)
	v_add_f64 v[5:6], v[7:8], v[13:14]
	global_atomic_cmpswap_b64 v[5:6], v17, v[5:8], s[8:9] glc
	s_waitcnt vmcnt(0)
	v_cmp_eq_u64_e32 vcc_lo, v[5:6], v[7:8]
	v_dual_mov_b32 v8, v6 :: v_dual_mov_b32 v7, v5
	s_or_b32 s40, vcc_lo, s40
	s_delay_alu instid0(SALU_CYCLE_1)
	s_and_not1_b32 exec_lo, exec_lo, s40
	s_cbranch_execnz .LBB42_32
; %bb.33:                               ;   in Loop: Header=BB42_13 Depth=1
	s_or_b32 exec_lo, exec_lo, s40
.LBB42_34:                              ;   in Loop: Header=BB42_13 Depth=1
	s_delay_alu instid0(SALU_CYCLE_1) | instskip(SKIP_4) | instid1(VALU_DEP_3)
	s_or_b32 exec_lo, exec_lo, s37
	v_mul_f64 v[3:4], v[9:10], v[3:4]
	v_mov_b32_e32 v5, 0
	v_bfrev_b32_e32 v6, 1
	s_mov_b32 s37, exec_lo
	v_fma_f64 v[1:2], v[11:12], v[1:2], v[3:4]
.LBB42_35:                              ;   Parent Loop BB42_13 Depth=1
                                        ; =>  This Inner Loop Header: Depth=2
	s_ctz_i32_b32 s42, s37
	s_delay_alu instid0(VALU_DEP_1) | instid1(SALU_CYCLE_1)
	v_readlane_b32 s41, v2, s42
	s_delay_alu instid0(VALU_DEP_2) | instskip(NEXT) | instid1(VALU_DEP_1)
	v_readlane_b32 s40, v1, s42
	v_add_f64 v[5:6], v[5:6], s[40:41]
	s_lshl_b32 s40, 1, s42
	s_delay_alu instid0(SALU_CYCLE_1) | instskip(NEXT) | instid1(SALU_CYCLE_1)
	s_and_not1_b32 s37, s37, s40
	s_cmp_lg_u32 s37, 0
	s_cbranch_scc1 .LBB42_35
; %bb.36:                               ;   in Loop: Header=BB42_13 Depth=1
	v_mbcnt_lo_u32_b32 v1, exec_lo, 0
	s_mov_b32 s37, exec_lo
	s_delay_alu instid0(VALU_DEP_1)
	v_cmpx_eq_u32_e32 0, v1
	s_xor_b32 s37, exec_lo, s37
	s_cbranch_execz .LBB42_12
; %bb.37:                               ;   in Loop: Header=BB42_13 Depth=1
	global_load_b64 v[3:4], v17, s[8:9] offset:8
	s_mov_b32 s37, 0
.LBB42_38:                              ;   Parent Loop BB42_13 Depth=1
                                        ; =>  This Inner Loop Header: Depth=2
	s_waitcnt vmcnt(0)
	v_add_f64 v[1:2], v[3:4], v[5:6]
	global_atomic_cmpswap_b64 v[1:2], v17, v[1:4], s[8:9] offset:8 glc
	s_waitcnt vmcnt(0)
	v_cmp_eq_u64_e32 vcc_lo, v[1:2], v[3:4]
	v_dual_mov_b32 v4, v2 :: v_dual_mov_b32 v3, v1
	s_or_b32 s37, vcc_lo, s37
	s_delay_alu instid0(SALU_CYCLE_1)
	s_and_not1_b32 exec_lo, exec_lo, s37
	s_cbranch_execnz .LBB42_38
; %bb.39:                               ;   in Loop: Header=BB42_13 Depth=1
	s_or_b32 exec_lo, exec_lo, s37
	s_branch .LBB42_12
.LBB42_40:
	s_lshl_b64 s[4:5], s[22:23], 3
	s_waitcnt lgkmcnt(0)
	v_add_co_u32 v13, vcc_lo, s28, v15
	s_add_u32 s4, s12, s4
	s_addc_u32 s5, s13, s5
	v_add_co_ci_u32_e32 v14, vcc_lo, s29, v16, vcc_lo
	s_load_b64 s[4:5], s[4:5], 0x0
	s_mov_b32 s8, exec_lo
	s_waitcnt lgkmcnt(0)
	s_sub_u32 s4, s4, s26
	s_subb_u32 s5, s5, 0
	s_delay_alu instid0(SALU_CYCLE_1)
	v_cmpx_gt_i64_e64 s[4:5], v[13:14]
	s_cbranch_execz .LBB42_52
; %bb.41:
	s_add_u32 s6, s22, -1
	s_addc_u32 s7, s23, -1
	s_add_u32 s28, s22, -2
	v_cmp_gt_i64_e64 s3, s[6:7], s[20:21]
	s_addc_u32 s29, s23, -1
	s_mov_b32 s27, 0
	s_cmp_lg_u64 s[28:29], s[20:21]
	s_cselect_b32 s9, -1, 0
	s_delay_alu instid0(VALU_DEP_1) | instid1(SALU_CYCLE_1)
	s_and_b32 s9, s3, s9
	s_branch .LBB42_43
.LBB42_42:                              ;   in Loop: Header=BB42_43 Depth=1
	s_or_b32 exec_lo, exec_lo, s3
	v_add_co_u32 v13, vcc_lo, 0x100, v13
	v_add_co_ci_u32_e32 v14, vcc_lo, 0, v14, vcc_lo
	s_delay_alu instid0(VALU_DEP_1) | instskip(SKIP_1) | instid1(SALU_CYCLE_1)
	v_cmp_le_i64_e32 vcc_lo, s[4:5], v[13:14]
	s_or_b32 s27, vcc_lo, s27
	s_and_not1_b32 exec_lo, exec_lo, s27
	s_cbranch_execz .LBB42_52
.LBB42_43:                              ; =>This Loop Header: Depth=1
                                        ;     Child Loop BB42_45 Depth 2
                                        ;     Child Loop BB42_49 Depth 2
	;; [unrolled: 1-line block ×3, first 2 shown]
	v_dual_mov_b32 v1, s20 :: v_dual_mov_b32 v2, s21
	v_dual_mov_b32 v3, s6 :: v_dual_mov_b32 v4, s7
	s_and_not1_b32 vcc_lo, exec_lo, s9
	s_cbranch_vccnz .LBB42_47
; %bb.44:                               ;   in Loop: Header=BB42_43 Depth=1
	v_dual_mov_b32 v1, s20 :: v_dual_mov_b32 v2, s21
	v_dual_mov_b32 v3, s6 :: v_dual_mov_b32 v4, s7
	s_mov_b32 s28, 0
	s_set_inst_prefetch_distance 0x1
	.p2align	6
.LBB42_45:                              ;   Parent Loop BB42_43 Depth=1
                                        ; =>  This Inner Loop Header: Depth=2
	s_delay_alu instid0(VALU_DEP_1) | instskip(NEXT) | instid1(VALU_DEP_2)
	v_add_co_u32 v5, vcc_lo, v3, v1
	v_add_co_ci_u32_e32 v6, vcc_lo, v4, v2, vcc_lo
	s_delay_alu instid0(VALU_DEP_1) | instskip(NEXT) | instid1(VALU_DEP_1)
	v_lshrrev_b32_e32 v7, 31, v6
	v_add_co_u32 v5, vcc_lo, v5, v7
	v_add_co_ci_u32_e32 v6, vcc_lo, 0, v6, vcc_lo
	s_delay_alu instid0(VALU_DEP_1) | instskip(NEXT) | instid1(VALU_DEP_1)
	v_ashrrev_i64 v[5:6], 1, v[5:6]
	v_lshlrev_b64 v[7:8], 3, v[5:6]
	s_delay_alu instid0(VALU_DEP_1) | instskip(NEXT) | instid1(VALU_DEP_2)
	v_add_co_u32 v7, vcc_lo, s12, v7
	v_add_co_ci_u32_e32 v8, vcc_lo, s13, v8, vcc_lo
	global_load_b64 v[7:8], v[7:8], off
	s_waitcnt vmcnt(0)
	v_sub_co_u32 v7, vcc_lo, v7, s26
	v_subrev_co_ci_u32_e32 v8, vcc_lo, 0, v8, vcc_lo
	s_delay_alu instid0(VALU_DEP_1) | instskip(SKIP_2) | instid1(VALU_DEP_2)
	v_cmp_gt_i64_e32 vcc_lo, v[7:8], v[13:14]
	v_dual_cndmask_b32 v4, v4, v6 :: v_dual_cndmask_b32 v3, v3, v5
	v_dual_cndmask_b32 v2, v6, v2 :: v_dual_cndmask_b32 v1, v5, v1
	v_add_co_u32 v5, vcc_lo, v3, -1
	s_delay_alu instid0(VALU_DEP_3) | instskip(NEXT) | instid1(VALU_DEP_3)
	v_add_co_ci_u32_e32 v6, vcc_lo, -1, v4, vcc_lo
	v_cmp_ge_i64_e32 vcc_lo, v[1:2], v[3:4]
	s_delay_alu instid0(VALU_DEP_2) | instskip(NEXT) | instid1(VALU_DEP_1)
	v_cmp_eq_u64_e64 s3, v[1:2], v[5:6]
	s_or_b32 s3, vcc_lo, s3
	s_delay_alu instid0(SALU_CYCLE_1) | instskip(NEXT) | instid1(SALU_CYCLE_1)
	s_and_b32 s3, exec_lo, s3
	s_or_b32 s28, s3, s28
	s_delay_alu instid0(SALU_CYCLE_1)
	s_and_not1_b32 exec_lo, exec_lo, s28
	s_cbranch_execnz .LBB42_45
; %bb.46:                               ;   in Loop: Header=BB42_43 Depth=1
	s_set_inst_prefetch_distance 0x2
	s_or_b32 exec_lo, exec_lo, s28
.LBB42_47:                              ;   in Loop: Header=BB42_43 Depth=1
	s_delay_alu instid0(VALU_DEP_1) | instskip(SKIP_2) | instid1(VALU_DEP_2)
	v_lshlrev_b64 v[5:6], 3, v[3:4]
	v_lshlrev_b64 v[7:8], 3, v[13:14]
	s_mov_b32 s3, exec_lo
	v_add_co_u32 v5, vcc_lo, s12, v5
	s_delay_alu instid0(VALU_DEP_3) | instskip(NEXT) | instid1(VALU_DEP_3)
	v_add_co_ci_u32_e32 v6, vcc_lo, s13, v6, vcc_lo
	v_add_co_u32 v7, vcc_lo, s14, v7
	s_delay_alu instid0(VALU_DEP_4)
	v_add_co_ci_u32_e32 v8, vcc_lo, s15, v8, vcc_lo
	global_load_b64 v[5:6], v[5:6], off
	global_load_b64 v[7:8], v[7:8], off
	s_waitcnt vmcnt(1)
	v_sub_co_u32 v5, vcc_lo, v5, s26
	v_subrev_co_ci_u32_e32 v6, vcc_lo, 0, v6, vcc_lo
	s_delay_alu instid0(VALU_DEP_1) | instskip(SKIP_4) | instid1(VALU_DEP_1)
	v_cmp_gt_i64_e32 vcc_lo, v[5:6], v[13:14]
	v_dual_cndmask_b32 v2, v4, v2 :: v_dual_cndmask_b32 v1, v3, v1
	s_waitcnt vmcnt(0)
	v_sub_co_u32 v5, vcc_lo, v7, s26
	v_subrev_co_ci_u32_e32 v6, vcc_lo, 0, v8, vcc_lo
	v_cmpx_ne_u64_e64 v[5:6], v[1:2]
	s_cbranch_execz .LBB42_42
; %bb.48:                               ;   in Loop: Header=BB42_43 Depth=1
	v_lshlrev_b64 v[3:4], 4, v[13:14]
	v_lshlrev_b64 v[1:2], 4, v[1:2]
	;; [unrolled: 1-line block ×3, first 2 shown]
	s_mov_b32 s28, 0
	s_delay_alu instid0(VALU_DEP_3) | instskip(NEXT) | instid1(VALU_DEP_4)
	v_add_co_u32 v3, vcc_lo, s16, v3
	v_add_co_ci_u32_e32 v4, vcc_lo, s17, v4, vcc_lo
	s_delay_alu instid0(VALU_DEP_4)
	v_add_co_u32 v1, vcc_lo, s18, v1
	v_add_co_ci_u32_e32 v2, vcc_lo, s19, v2, vcc_lo
	global_load_b128 v[19:22], v[3:4], off
	v_add_co_u32 v15, vcc_lo, s10, v5
	global_load_b128 v[1:4], v[1:2], off
	v_add_co_ci_u32_e32 v16, vcc_lo, s11, v6, vcc_lo
	global_load_b64 v[7:8], v[15:16], off
	s_waitcnt vmcnt(2)
	v_xor_b32_e32 v5, 0x80000000, v22
	s_delay_alu instid0(VALU_DEP_1) | instskip(NEXT) | instid1(VALU_DEP_1)
	v_cndmask_b32_e64 v22, v22, v5, s2
	v_mul_f64 v[5:6], v[9:10], v[21:22]
	v_mul_f64 v[21:22], v[21:22], -v[11:12]
	s_delay_alu instid0(VALU_DEP_2) | instskip(NEXT) | instid1(VALU_DEP_2)
	v_fma_f64 v[17:18], v[11:12], v[19:20], v[5:6]
	v_fma_f64 v[19:20], v[9:10], v[19:20], v[21:22]
	s_waitcnt vmcnt(1)
	s_delay_alu instid0(VALU_DEP_2) | instskip(NEXT) | instid1(VALU_DEP_1)
	v_mul_f64 v[5:6], v[3:4], -v[17:18]
	v_fma_f64 v[21:22], v[19:20], v[1:2], v[5:6]
.LBB42_49:                              ;   Parent Loop BB42_43 Depth=1
                                        ; =>  This Inner Loop Header: Depth=2
	s_waitcnt vmcnt(0)
	s_delay_alu instid0(VALU_DEP_1)
	v_add_f64 v[5:6], v[7:8], v[21:22]
	global_atomic_cmpswap_b64 v[5:6], v[15:16], v[5:8], off glc
	s_waitcnt vmcnt(0)
	v_cmp_eq_u64_e32 vcc_lo, v[5:6], v[7:8]
	v_dual_mov_b32 v8, v6 :: v_dual_mov_b32 v7, v5
	s_or_b32 s28, vcc_lo, s28
	s_delay_alu instid0(SALU_CYCLE_1)
	s_and_not1_b32 exec_lo, exec_lo, s28
	s_cbranch_execnz .LBB42_49
; %bb.50:                               ;   in Loop: Header=BB42_43 Depth=1
	s_or_b32 exec_lo, exec_lo, s28
	global_load_b64 v[5:6], v[15:16], off offset:8
	v_mul_f64 v[3:4], v[3:4], v[19:20]
	s_mov_b32 s28, 0
	s_delay_alu instid0(VALU_DEP_1)
	v_fma_f64 v[1:2], v[17:18], v[1:2], v[3:4]
.LBB42_51:                              ;   Parent Loop BB42_43 Depth=1
                                        ; =>  This Inner Loop Header: Depth=2
	s_waitcnt vmcnt(0)
	s_delay_alu instid0(VALU_DEP_1)
	v_add_f64 v[3:4], v[5:6], v[1:2]
	global_atomic_cmpswap_b64 v[3:4], v[15:16], v[3:6], off offset:8 glc
	s_waitcnt vmcnt(0)
	v_cmp_eq_u64_e32 vcc_lo, v[3:4], v[5:6]
	v_dual_mov_b32 v6, v4 :: v_dual_mov_b32 v5, v3
	s_or_b32 s28, vcc_lo, s28
	s_delay_alu instid0(SALU_CYCLE_1)
	s_and_not1_b32 exec_lo, exec_lo, s28
	s_cbranch_execnz .LBB42_51
	s_branch .LBB42_42
.LBB42_52:
	s_or_b32 exec_lo, exec_lo, s8
	s_mov_b32 s3, 0
.LBB42_53:
	s_delay_alu instid0(SALU_CYCLE_1)
	s_and_b32 vcc_lo, exec_lo, s3
	s_cbranch_vccz .LBB42_216
; %bb.54:
	s_load_b32 s3, s[0:1], 0x7c
	s_mov_b32 s29, 0
	s_mov_b64 s[34:35], 0
	s_waitcnt lgkmcnt(0)
	s_and_b32 s28, s3, 0xffff
	s_delay_alu instid0(SALU_CYCLE_1) | instskip(NEXT) | instid1(VALU_DEP_1)
	v_cmp_lt_u64_e64 s3, s[28:29], s[24:25]
	s_and_b32 vcc_lo, exec_lo, s3
	s_cbranch_vccnz .LBB42_56
; %bb.55:
	v_cvt_f32_u32_e32 v1, s24
	s_sub_i32 s4, 0, s24
	s_delay_alu instid0(VALU_DEP_1) | instskip(SKIP_2) | instid1(VALU_DEP_1)
	v_rcp_iflag_f32_e32 v1, v1
	s_waitcnt_depctr 0xfff
	v_mul_f32_e32 v1, 0x4f7ffffe, v1
	v_cvt_u32_f32_e32 v1, v1
	s_delay_alu instid0(VALU_DEP_1) | instskip(NEXT) | instid1(VALU_DEP_1)
	v_readfirstlane_b32 s3, v1
	s_mul_i32 s4, s4, s3
	s_delay_alu instid0(SALU_CYCLE_1) | instskip(NEXT) | instid1(SALU_CYCLE_1)
	s_mul_hi_u32 s4, s3, s4
	s_add_i32 s3, s3, s4
	s_delay_alu instid0(SALU_CYCLE_1) | instskip(NEXT) | instid1(SALU_CYCLE_1)
	s_mul_hi_u32 s3, s28, s3
	s_mul_i32 s4, s3, s24
	s_add_i32 s5, s3, 1
	s_sub_i32 s4, s28, s4
	s_delay_alu instid0(SALU_CYCLE_1)
	s_sub_i32 s6, s4, s24
	s_cmp_ge_u32 s4, s24
	s_cselect_b32 s3, s5, s3
	s_cselect_b32 s4, s6, s4
	s_add_i32 s5, s3, 1
	s_cmp_ge_u32 s4, s24
	s_cselect_b32 s34, s5, s3
.LBB42_56:
	s_lshl_b64 s[4:5], s[20:21], 3
	s_delay_alu instid0(SALU_CYCLE_1) | instskip(SKIP_4) | instid1(VALU_DEP_1)
	s_add_u32 s30, s12, s4
	s_addc_u32 s31, s13, s5
	s_load_b64 s[8:9], s[30:31], 0x0
	s_load_b128 s[4:7], s[0:1], 0x8
	v_sub_co_u32 v1, s0, v0, s26
	v_sub_co_ci_u32_e64 v2, null, 0, 0, s0
	s_waitcnt lgkmcnt(0)
	s_delay_alu instid0(VALU_DEP_2) | instskip(NEXT) | instid1(VALU_DEP_2)
	v_add_co_u32 v14, vcc_lo, s8, v1
	v_add_co_ci_u32_e32 v15, vcc_lo, s9, v2, vcc_lo
	v_mov_b32_e32 v1, 0
	s_delay_alu instid0(VALU_DEP_3) | instskip(NEXT) | instid1(VALU_DEP_3)
	v_add_co_u32 v16, vcc_lo, 0x300, v14
	v_add_co_ci_u32_e32 v17, vcc_lo, 0, v15, vcc_lo
	s_delay_alu instid0(VALU_DEP_1) | instskip(SKIP_1) | instid1(SALU_CYCLE_1)
	v_cmp_le_i64_e32 vcc_lo, s[4:5], v[16:17]
	s_and_saveexec_b32 s0, vcc_lo
	s_xor_b32 s3, exec_lo, s0
	s_cbranch_execnz .LBB42_59
; %bb.57:
	s_and_not1_saveexec_b32 s1, s3
	s_cbranch_execnz .LBB42_63
.LBB42_58:
	s_or_b32 exec_lo, exec_lo, s1
	s_delay_alu instid0(SALU_CYCLE_1)
	s_mov_b32 s1, exec_lo
	v_cmpx_gt_i64_e64 s[6:7], v[0:1]
	s_cbranch_execnz .LBB42_64
	s_branch .LBB42_66
.LBB42_59:
	s_lshl_b64 s[0:1], s[22:23], 3
	s_mov_b32 s27, exec_lo
	s_add_u32 s0, s12, s0
	s_addc_u32 s1, s13, s1
	s_load_b64 s[0:1], s[0:1], 0x0
	s_waitcnt lgkmcnt(0)
	s_sub_u32 s4, s0, s8
	s_subb_u32 s5, s1, s9
	s_delay_alu instid0(SALU_CYCLE_1)
	v_cmpx_gt_i64_e64 s[4:5], v[0:1]
	s_cbranch_execz .LBB42_62
; %bb.60:
	v_lshlrev_b64 v[2:3], 4, v[14:15]
	v_dual_mov_b32 v6, v26 :: v_dual_mov_b32 v5, v1
	v_mov_b32_e32 v4, v0
	s_delay_alu instid0(VALU_DEP_3) | instskip(NEXT) | instid1(VALU_DEP_1)
	v_add_co_u32 v2, s0, v2, s16
	v_add_co_ci_u32_e64 v3, s0, s17, v3, s0
	s_delay_alu instid0(VALU_DEP_2) | instskip(NEXT) | instid1(VALU_DEP_1)
	v_add_co_u32 v2, s0, v2, 8
	v_add_co_ci_u32_e64 v3, s0, 0, v3, s0
	s_set_inst_prefetch_distance 0x1
	.p2align	6
.LBB42_61:                              ; =>This Inner Loop Header: Depth=1
	global_load_b128 v[18:21], v[2:3], off offset:-8
	v_add_co_u32 v4, s0, 0x100, v4
	s_delay_alu instid0(VALU_DEP_1) | instskip(SKIP_1) | instid1(VALU_DEP_1)
	v_add_co_ci_u32_e64 v5, s0, 0, v5, s0
	v_add_co_u32 v2, s0, 0x1000, v2
	v_add_co_ci_u32_e64 v3, s0, 0, v3, s0
	s_delay_alu instid0(VALU_DEP_3) | instskip(NEXT) | instid1(VALU_DEP_1)
	v_cmp_le_i64_e64 s1, s[4:5], v[4:5]
	s_or_b32 s29, s1, s29
	s_waitcnt vmcnt(0)
	v_xor_b32_e32 v7, 0x80000000, v21
	s_delay_alu instid0(VALU_DEP_1) | instskip(NEXT) | instid1(VALU_DEP_1)
	v_cndmask_b32_e64 v21, v21, v7, s2
	v_mul_f64 v[7:8], v[20:21], -v[11:12]
	v_mul_f64 v[22:23], v[9:10], v[20:21]
	s_delay_alu instid0(VALU_DEP_2) | instskip(NEXT) | instid1(VALU_DEP_2)
	v_fma_f64 v[20:21], v[9:10], v[18:19], v[7:8]
	v_fma_f64 v[22:23], v[11:12], v[18:19], v[22:23]
	ds_store_b128 v6, v[20:23]
	v_add_nc_u32_e32 v6, 0x1000, v6
	s_and_not1_b32 exec_lo, exec_lo, s29
	s_cbranch_execnz .LBB42_61
.LBB42_62:
	s_set_inst_prefetch_distance 0x2
	s_or_b32 exec_lo, exec_lo, s27
                                        ; implicit-def: $vgpr11_vgpr12
                                        ; implicit-def: $vgpr9_vgpr10
	s_and_not1_saveexec_b32 s1, s3
	s_cbranch_execz .LBB42_58
.LBB42_63:
	v_lshlrev_b64 v[2:3], 4, v[14:15]
	s_delay_alu instid0(VALU_DEP_1) | instskip(NEXT) | instid1(VALU_DEP_1)
	v_add_co_u32 v6, s0, s16, v2
	v_add_co_ci_u32_e64 v7, s0, s17, v3, s0
	s_delay_alu instid0(VALU_DEP_2) | instskip(NEXT) | instid1(VALU_DEP_1)
	v_add_co_u32 v22, s0, v6, 0x2000
	v_add_co_ci_u32_e64 v23, s0, 0, v7, s0
	global_load_b128 v[2:5], v[6:7], off
	v_add_co_u32 v6, s0, 0x3000, v6
	s_delay_alu instid0(VALU_DEP_1)
	v_add_co_ci_u32_e64 v7, s0, 0, v7, s0
	s_clause 0x2
	global_load_b128 v[18:21], v[22:23], off offset:-4096
	global_load_b128 v[22:25], v[22:23], off
	global_load_b128 v[27:30], v[6:7], off
	s_waitcnt vmcnt(3)
	v_xor_b32_e32 v6, 0x80000000, v5
	s_waitcnt vmcnt(2)
	v_xor_b32_e32 v7, 0x80000000, v21
	;; [unrolled: 2-line block ×4, first 2 shown]
	v_cndmask_b32_e64 v5, v5, v6, s2
	v_cndmask_b32_e64 v21, v21, v7, s2
	;; [unrolled: 1-line block ×3, first 2 shown]
	s_delay_alu instid0(VALU_DEP_4) | instskip(NEXT) | instid1(VALU_DEP_4)
	v_cndmask_b32_e64 v30, v30, v13, s2
	v_mul_f64 v[6:7], v[4:5], -v[11:12]
	v_mul_f64 v[31:32], v[9:10], v[4:5]
	v_mul_f64 v[33:34], v[20:21], -v[11:12]
	v_mul_f64 v[20:21], v[9:10], v[20:21]
	;; [unrolled: 2-line block ×4, first 2 shown]
	v_fma_f64 v[4:5], v[9:10], v[2:3], v[6:7]
	v_fma_f64 v[6:7], v[11:12], v[2:3], v[31:32]
	v_fma_f64 v[29:30], v[9:10], v[18:19], v[33:34]
	v_fma_f64 v[31:32], v[11:12], v[18:19], v[20:21]
	v_fma_f64 v[18:19], v[9:10], v[22:23], v[35:36]
	v_fma_f64 v[20:21], v[11:12], v[22:23], v[24:25]
	v_fma_f64 v[8:9], v[9:10], v[27:28], v[37:38]
	v_fma_f64 v[10:11], v[11:12], v[27:28], v[39:40]
	ds_store_b128 v26, v[4:7]
	ds_store_b128 v26, v[29:32] offset:4096
	ds_store_b128 v26, v[18:21] offset:8192
	;; [unrolled: 1-line block ×3, first 2 shown]
	s_or_b32 exec_lo, exec_lo, s1
	s_delay_alu instid0(SALU_CYCLE_1)
	s_mov_b32 s1, exec_lo
	v_cmpx_gt_i64_e64 s[6:7], v[0:1]
	s_cbranch_execz .LBB42_66
.LBB42_64:
	s_mov_b32 s2, 0
	v_lshl_add_u32 v8, v0, 4, 0x4000
	s_mov_b32 s3, s2
	s_mov_b32 s4, s2
	;; [unrolled: 1-line block ×3, first 2 shown]
	v_dual_mov_b32 v2, s2 :: v_dual_mov_b32 v3, s3
	v_dual_mov_b32 v4, s4 :: v_dual_mov_b32 v5, s5
	;; [unrolled: 1-line block ×3, first 2 shown]
.LBB42_65:                              ; =>This Inner Loop Header: Depth=1
	s_delay_alu instid0(VALU_DEP_1) | instskip(NEXT) | instid1(VALU_DEP_1)
	v_add_co_u32 v6, s0, 0x100, v6
	v_add_co_ci_u32_e64 v7, s0, 0, v7, s0
	ds_store_2addr_b64 v8, v[2:3], v[4:5] offset1:1
	v_add_nc_u32_e32 v8, 0x1000, v8
	v_cmp_le_i64_e64 s0, s[6:7], v[6:7]
	s_delay_alu instid0(VALU_DEP_1) | instskip(NEXT) | instid1(SALU_CYCLE_1)
	s_or_b32 s2, s0, s2
	s_and_not1_b32 exec_lo, exec_lo, s2
	s_cbranch_execnz .LBB42_65
.LBB42_66:
	s_or_b32 exec_lo, exec_lo, s1
	v_cmp_ge_i64_e64 s0, s[22:23], s[6:7]
	s_sub_u32 s1, s22, s6
	s_subb_u32 s2, s23, s7
	s_waitcnt lgkmcnt(0)
	s_barrier
	buffer_gl0_inv
	s_and_b32 s0, s0, exec_lo
	s_cselect_b32 s3, s2, 0
	s_cselect_b32 s2, s1, 0
	s_and_saveexec_b32 s0, vcc_lo
	s_delay_alu instid0(SALU_CYCLE_1)
	s_xor_b32 s27, exec_lo, s0
	s_cbranch_execz .LBB42_91
; %bb.67:
	s_lshl_b64 s[0:1], s[22:23], 3
	s_mov_b32 s29, exec_lo
	s_add_u32 s0, s12, s0
	s_addc_u32 s1, s13, s1
	s_load_b64 s[0:1], s[0:1], 0x0
	s_waitcnt lgkmcnt(0)
	s_sub_u32 s4, s0, s8
	s_subb_u32 s5, s1, s9
	s_delay_alu instid0(SALU_CYCLE_1)
	v_cmpx_gt_i64_e64 s[4:5], v[0:1]
	s_cbranch_execz .LBB42_90
; %bb.68:
	s_add_u32 s16, s22, -1
	s_addc_u32 s17, s23, -1
	s_add_u32 s36, s22, -2
	v_cmp_gt_i64_e64 s33, s[16:17], s[20:21]
	s_addc_u32 s37, s23, -1
	s_mov_b64 s[38:39], 0
	s_cmp_lg_u64 s[36:37], s[20:21]
	s_cselect_b32 s35, -1, 0
	s_delay_alu instid0(VALU_DEP_1) | instid1(SALU_CYCLE_1)
	s_and_b32 s33, s33, s35
	s_sub_u32 s36, s0, s26
	s_subb_u32 s37, s1, 0
	s_mov_b32 s1, 0
	s_branch .LBB42_71
.LBB42_69:                              ;   in Loop: Header=BB42_71 Depth=1
	s_or_b32 exec_lo, exec_lo, s0
.LBB42_70:                              ;   in Loop: Header=BB42_71 Depth=1
	s_delay_alu instid0(SALU_CYCLE_1) | instskip(SKIP_3) | instid1(VALU_DEP_1)
	s_or_b32 exec_lo, exec_lo, s35
	v_lshlrev_b64 v[6:7], 4, v[16:17]
	s_add_u32 s38, s38, 0x100
	s_addc_u32 s39, s39, 0
	v_add_co_u32 v6, vcc_lo, s18, v6
	s_delay_alu instid0(VALU_DEP_2) | instskip(SKIP_4) | instid1(VALU_DEP_2)
	v_add_co_ci_u32_e32 v7, vcc_lo, s19, v7, vcc_lo
	global_load_b128 v[6:9], v[6:7], off
	s_waitcnt vmcnt(0)
	v_mul_f64 v[10:11], v[8:9], v[18:19]
	v_mul_f64 v[8:9], v[8:9], v[2:3]
	v_fma_f64 v[2:3], v[2:3], v[6:7], v[10:11]
	s_delay_alu instid0(VALU_DEP_2) | instskip(SKIP_1) | instid1(VALU_DEP_1)
	v_fma_f64 v[4:5], v[4:5], v[6:7], v[8:9]
	v_add_co_u32 v6, s0, s38, v0
	v_add_co_ci_u32_e64 v7, null, s39, 0, s0
	s_delay_alu instid0(VALU_DEP_1)
	v_cmp_le_i64_e32 vcc_lo, s[4:5], v[6:7]
	v_lshlrev_b32_e32 v6, 4, v24
	s_or_b32 s1, vcc_lo, s1
	ds_store_b128 v6, v[2:5]
	s_and_not1_b32 exec_lo, exec_lo, s1
	s_cbranch_execz .LBB42_90
.LBB42_71:                              ; =>This Loop Header: Depth=1
                                        ;     Child Loop BB42_73 Depth 2
                                        ;     Child Loop BB42_80 Depth 2
	;; [unrolled: 1-line block ×5, first 2 shown]
	v_add_co_u32 v2, vcc_lo, s38, v14
	v_add_co_ci_u32_e32 v3, vcc_lo, s39, v15, vcc_lo
	v_dual_mov_b32 v4, s20 :: v_dual_mov_b32 v5, s21
	v_dual_mov_b32 v6, s16 :: v_dual_mov_b32 v7, s17
	s_and_not1_b32 vcc_lo, exec_lo, s33
	s_cbranch_vccnz .LBB42_75
; %bb.72:                               ;   in Loop: Header=BB42_71 Depth=1
	v_dual_mov_b32 v4, s20 :: v_dual_mov_b32 v5, s21
	v_dual_mov_b32 v6, s16 :: v_dual_mov_b32 v7, s17
	s_mov_b32 s35, 0
	s_set_inst_prefetch_distance 0x1
	.p2align	6
.LBB42_73:                              ;   Parent Loop BB42_71 Depth=1
                                        ; =>  This Inner Loop Header: Depth=2
	s_delay_alu instid0(VALU_DEP_1) | instskip(NEXT) | instid1(VALU_DEP_2)
	v_add_co_u32 v8, vcc_lo, v6, v4
	v_add_co_ci_u32_e32 v9, vcc_lo, v7, v5, vcc_lo
	s_delay_alu instid0(VALU_DEP_1) | instskip(NEXT) | instid1(VALU_DEP_1)
	v_lshrrev_b32_e32 v10, 31, v9
	v_add_co_u32 v8, vcc_lo, v8, v10
	v_add_co_ci_u32_e32 v9, vcc_lo, 0, v9, vcc_lo
	s_delay_alu instid0(VALU_DEP_1) | instskip(NEXT) | instid1(VALU_DEP_1)
	v_ashrrev_i64 v[8:9], 1, v[8:9]
	v_lshlrev_b64 v[10:11], 3, v[8:9]
	s_delay_alu instid0(VALU_DEP_1) | instskip(NEXT) | instid1(VALU_DEP_2)
	v_add_co_u32 v10, vcc_lo, s12, v10
	v_add_co_ci_u32_e32 v11, vcc_lo, s13, v11, vcc_lo
	global_load_b64 v[10:11], v[10:11], off
	s_waitcnt vmcnt(0)
	v_sub_co_u32 v10, vcc_lo, v10, s26
	v_subrev_co_ci_u32_e32 v11, vcc_lo, 0, v11, vcc_lo
	s_delay_alu instid0(VALU_DEP_1) | instskip(SKIP_2) | instid1(VALU_DEP_2)
	v_cmp_gt_i64_e32 vcc_lo, v[10:11], v[2:3]
	v_dual_cndmask_b32 v7, v7, v9 :: v_dual_cndmask_b32 v6, v6, v8
	v_dual_cndmask_b32 v5, v9, v5 :: v_dual_cndmask_b32 v4, v8, v4
	v_add_co_u32 v8, vcc_lo, v6, -1
	s_delay_alu instid0(VALU_DEP_3) | instskip(NEXT) | instid1(VALU_DEP_3)
	v_add_co_ci_u32_e32 v9, vcc_lo, -1, v7, vcc_lo
	v_cmp_ge_i64_e32 vcc_lo, v[4:5], v[6:7]
	s_delay_alu instid0(VALU_DEP_2) | instskip(NEXT) | instid1(VALU_DEP_1)
	v_cmp_eq_u64_e64 s0, v[4:5], v[8:9]
	s_or_b32 s0, vcc_lo, s0
	s_delay_alu instid0(SALU_CYCLE_1) | instskip(NEXT) | instid1(SALU_CYCLE_1)
	s_and_b32 s0, exec_lo, s0
	s_or_b32 s35, s0, s35
	s_delay_alu instid0(SALU_CYCLE_1)
	s_and_not1_b32 exec_lo, exec_lo, s35
	s_cbranch_execnz .LBB42_73
; %bb.74:                               ;   in Loop: Header=BB42_71 Depth=1
	s_set_inst_prefetch_distance 0x2
	s_or_b32 exec_lo, exec_lo, s35
.LBB42_75:                              ;   in Loop: Header=BB42_71 Depth=1
	s_delay_alu instid0(VALU_DEP_1) | instskip(SKIP_2) | instid1(VALU_DEP_3)
	v_lshlrev_b64 v[8:9], 3, v[6:7]
	v_lshlrev_b64 v[10:11], 3, v[2:3]
	v_add_co_u32 v24, null, s38, v0
                                        ; implicit-def: $vgpr18_vgpr19
	v_add_co_u32 v8, vcc_lo, s12, v8
	s_delay_alu instid0(VALU_DEP_4) | instskip(NEXT) | instid1(VALU_DEP_4)
	v_add_co_ci_u32_e32 v9, vcc_lo, s13, v9, vcc_lo
	v_add_co_u32 v10, vcc_lo, s14, v10
	v_add_co_ci_u32_e32 v11, vcc_lo, s15, v11, vcc_lo
	global_load_b64 v[8:9], v[8:9], off
	global_load_b64 v[10:11], v[10:11], off
	s_waitcnt vmcnt(1)
	v_sub_co_u32 v8, vcc_lo, v8, s26
	v_subrev_co_ci_u32_e32 v9, vcc_lo, 0, v9, vcc_lo
	s_waitcnt vmcnt(0)
	v_sub_co_u32 v16, s0, v10, s26
	s_delay_alu instid0(VALU_DEP_1) | instskip(NEXT) | instid1(VALU_DEP_3)
	v_subrev_co_ci_u32_e64 v17, s0, 0, v11, s0
	v_cmp_gt_i64_e32 vcc_lo, v[8:9], v[2:3]
	v_cmp_le_i64_e64 s0, s[36:37], v[2:3]
	v_lshlrev_b32_e32 v10, 4, v24
                                        ; implicit-def: $vgpr2_vgpr3
	v_dual_cndmask_b32 v7, v7, v5 :: v_dual_cndmask_b32 v6, v6, v4
	s_delay_alu instid0(VALU_DEP_1) | instskip(NEXT) | instid1(VALU_DEP_4)
	v_cmp_eq_u64_e32 vcc_lo, v[16:17], v[6:7]
	s_or_b32 s0, vcc_lo, s0
	s_delay_alu instid0(SALU_CYCLE_1) | instskip(NEXT) | instid1(SALU_CYCLE_1)
	s_and_saveexec_b32 s35, s0
	s_xor_b32 s0, exec_lo, s35
	s_cbranch_execz .LBB42_77
; %bb.76:                               ;   in Loop: Header=BB42_71 Depth=1
	ds_load_b128 v[2:5], v10
                                        ; implicit-def: $vgpr6_vgpr7
                                        ; implicit-def: $vgpr10
	s_waitcnt lgkmcnt(0)
	v_xor_b32_e32 v19, 0x80000000, v5
	v_mov_b32_e32 v18, v4
.LBB42_77:                              ;   in Loop: Header=BB42_71 Depth=1
	s_and_not1_saveexec_b32 s35, s0
	s_cbranch_execz .LBB42_70
; %bb.78:                               ;   in Loop: Header=BB42_71 Depth=1
	v_cmp_gt_i64_e32 vcc_lo, s[2:3], v[16:17]
	v_cmp_le_i64_e64 s0, s[22:23], v[16:17]
	v_lshlrev_b64 v[6:7], 4, v[6:7]
                                        ; implicit-def: $vgpr2_vgpr3
                                        ; implicit-def: $vgpr18_vgpr19
	s_delay_alu instid0(VALU_DEP_2) | instskip(NEXT) | instid1(SALU_CYCLE_1)
	s_or_b32 s0, vcc_lo, s0
	s_and_saveexec_b32 s40, s0
	s_delay_alu instid0(SALU_CYCLE_1)
	s_xor_b32 s0, exec_lo, s40
	s_cbranch_execz .LBB42_84
; %bb.79:                               ;   in Loop: Header=BB42_71 Depth=1
	s_delay_alu instid0(VALU_DEP_1) | instskip(SKIP_4) | instid1(VALU_DEP_1)
	v_add_co_u32 v2, vcc_lo, s18, v6
	v_add_co_ci_u32_e32 v3, vcc_lo, s19, v7, vcc_lo
	s_mov_b32 s40, 0
	global_load_b128 v[6:9], v[2:3], off
	v_lshlrev_b64 v[2:3], 4, v[16:17]
	v_add_co_u32 v20, vcc_lo, s10, v2
	s_delay_alu instid0(VALU_DEP_2)
	v_add_co_ci_u32_e32 v21, vcc_lo, s11, v3, vcc_lo
	ds_load_b128 v[2:5], v10
	global_load_b64 v[12:13], v[20:21], off
	s_waitcnt lgkmcnt(0)
	v_xor_b32_e32 v19, 0x80000000, v5
	v_mov_b32_e32 v18, v4
	s_waitcnt vmcnt(1)
	v_mul_f64 v[10:11], v[8:9], -v[4:5]
	s_delay_alu instid0(VALU_DEP_1)
	v_fma_f64 v[22:23], v[2:3], v[6:7], v[10:11]
.LBB42_80:                              ;   Parent Loop BB42_71 Depth=1
                                        ; =>  This Inner Loop Header: Depth=2
	s_waitcnt vmcnt(0)
	s_delay_alu instid0(VALU_DEP_1)
	v_add_f64 v[10:11], v[12:13], v[22:23]
	global_atomic_cmpswap_b64 v[10:11], v[20:21], v[10:13], off glc
	s_waitcnt vmcnt(0)
	v_cmp_eq_u64_e32 vcc_lo, v[10:11], v[12:13]
	v_dual_mov_b32 v13, v11 :: v_dual_mov_b32 v12, v10
	s_or_b32 s40, vcc_lo, s40
	s_delay_alu instid0(SALU_CYCLE_1)
	s_and_not1_b32 exec_lo, exec_lo, s40
	s_cbranch_execnz .LBB42_80
; %bb.81:                               ;   in Loop: Header=BB42_71 Depth=1
	s_or_b32 exec_lo, exec_lo, s40
	global_load_b64 v[10:11], v[20:21], off offset:8
	v_mul_f64 v[8:9], v[8:9], v[2:3]
	s_mov_b32 s40, 0
	s_delay_alu instid0(VALU_DEP_1)
	v_fma_f64 v[6:7], v[4:5], v[6:7], v[8:9]
.LBB42_82:                              ;   Parent Loop BB42_71 Depth=1
                                        ; =>  This Inner Loop Header: Depth=2
	s_waitcnt vmcnt(0)
	s_delay_alu instid0(VALU_DEP_1)
	v_add_f64 v[8:9], v[10:11], v[6:7]
	global_atomic_cmpswap_b64 v[8:9], v[20:21], v[8:11], off offset:8 glc
	s_waitcnt vmcnt(0)
	v_cmp_eq_u64_e32 vcc_lo, v[8:9], v[10:11]
	v_dual_mov_b32 v11, v9 :: v_dual_mov_b32 v10, v8
	s_or_b32 s40, vcc_lo, s40
	s_delay_alu instid0(SALU_CYCLE_1)
	s_and_not1_b32 exec_lo, exec_lo, s40
	s_cbranch_execnz .LBB42_82
; %bb.83:                               ;   in Loop: Header=BB42_71 Depth=1
	s_or_b32 exec_lo, exec_lo, s40
                                        ; implicit-def: $vgpr6_vgpr7
                                        ; implicit-def: $vgpr10
.LBB42_84:                              ;   in Loop: Header=BB42_71 Depth=1
	s_and_not1_saveexec_b32 s0, s0
	s_cbranch_execz .LBB42_69
; %bb.85:                               ;   in Loop: Header=BB42_71 Depth=1
	v_add_co_u32 v2, vcc_lo, s18, v6
	v_add_co_ci_u32_e32 v3, vcc_lo, s19, v7, vcc_lo
	v_subrev_nc_u32_e32 v12, s2, v16
	s_mov_b32 s40, 0
	global_load_b128 v[6:9], v[2:3], off
	ds_load_b128 v[2:5], v10
	v_lshl_add_u32 v20, v12, 4, 0x4000
	ds_load_b64 v[12:13], v20
	s_waitcnt lgkmcnt(1)
	v_xor_b32_e32 v19, 0x80000000, v5
	v_mov_b32_e32 v18, v4
	s_waitcnt vmcnt(0)
	v_mul_f64 v[10:11], v[8:9], -v[4:5]
	s_delay_alu instid0(VALU_DEP_1)
	v_fma_f64 v[10:11], v[2:3], v[6:7], v[10:11]
.LBB42_86:                              ;   Parent Loop BB42_71 Depth=1
                                        ; =>  This Inner Loop Header: Depth=2
	s_waitcnt lgkmcnt(0)
	s_delay_alu instid0(VALU_DEP_1)
	v_add_f64 v[21:22], v[12:13], v[10:11]
	ds_cmpstore_rtn_b64 v[21:22], v20, v[21:22], v[12:13]
	s_waitcnt lgkmcnt(0)
	v_cmp_eq_u64_e32 vcc_lo, v[21:22], v[12:13]
	v_dual_mov_b32 v12, v21 :: v_dual_mov_b32 v13, v22
	s_or_b32 s40, vcc_lo, s40
	s_delay_alu instid0(SALU_CYCLE_1)
	s_and_not1_b32 exec_lo, exec_lo, s40
	s_cbranch_execnz .LBB42_86
; %bb.87:                               ;   in Loop: Header=BB42_71 Depth=1
	s_or_b32 exec_lo, exec_lo, s40
	v_mul_f64 v[8:9], v[8:9], v[2:3]
	s_mov_b32 s40, 0
	s_delay_alu instid0(VALU_DEP_1)
	v_fma_f64 v[6:7], v[4:5], v[6:7], v[8:9]
	ds_load_b64 v[8:9], v20 offset:8
.LBB42_88:                              ;   Parent Loop BB42_71 Depth=1
                                        ; =>  This Inner Loop Header: Depth=2
	s_waitcnt lgkmcnt(0)
	v_add_f64 v[10:11], v[8:9], v[6:7]
	ds_cmpstore_rtn_b64 v[10:11], v20, v[10:11], v[8:9] offset:8
	s_waitcnt lgkmcnt(0)
	v_cmp_eq_u64_e32 vcc_lo, v[10:11], v[8:9]
	v_dual_mov_b32 v8, v10 :: v_dual_mov_b32 v9, v11
	s_or_b32 s40, vcc_lo, s40
	s_delay_alu instid0(SALU_CYCLE_1)
	s_and_not1_b32 exec_lo, exec_lo, s40
	s_cbranch_execnz .LBB42_88
; %bb.89:                               ;   in Loop: Header=BB42_71 Depth=1
	s_or_b32 exec_lo, exec_lo, s40
	s_branch .LBB42_69
.LBB42_90:
	s_or_b32 exec_lo, exec_lo, s29
                                        ; implicit-def: $vgpr16_vgpr17
                                        ; implicit-def: $vgpr14
.LBB42_91:
	s_and_not1_saveexec_b32 s1, s27
	s_cbranch_execz .LBB42_165
; %bb.92:
	s_add_u32 s4, s22, -1
	s_addc_u32 s5, s23, -1
	s_add_u32 s16, s22, -2
	v_cmp_le_i64_e64 s0, s[4:5], s[20:21]
	s_addc_u32 s17, s23, -1
	v_dual_mov_b32 v2, s20 :: v_dual_mov_b32 v3, s21
	s_cmp_eq_u64 s[16:17], s[20:21]
	v_dual_mov_b32 v4, s4 :: v_dual_mov_b32 v5, s5
	s_cselect_b32 s16, -1, 0
	s_delay_alu instid0(SALU_CYCLE_1) | instskip(NEXT) | instid1(SALU_CYCLE_1)
	s_or_b32 s16, s0, s16
	s_and_b32 vcc_lo, exec_lo, s16
	s_cbranch_vccnz .LBB42_96
; %bb.93:
	v_dual_mov_b32 v2, s20 :: v_dual_mov_b32 v3, s21
	v_dual_mov_b32 v4, s4 :: v_dual_mov_b32 v5, s5
	s_mov_b32 s17, 0
	s_set_inst_prefetch_distance 0x1
	.p2align	6
.LBB42_94:                              ; =>This Inner Loop Header: Depth=1
	s_delay_alu instid0(VALU_DEP_1) | instskip(NEXT) | instid1(VALU_DEP_2)
	v_add_co_u32 v6, vcc_lo, v4, v2
	v_add_co_ci_u32_e32 v7, vcc_lo, v5, v3, vcc_lo
	s_delay_alu instid0(VALU_DEP_1) | instskip(NEXT) | instid1(VALU_DEP_1)
	v_lshrrev_b32_e32 v8, 31, v7
	v_add_co_u32 v6, vcc_lo, v6, v8
	v_add_co_ci_u32_e32 v7, vcc_lo, 0, v7, vcc_lo
	s_delay_alu instid0(VALU_DEP_1) | instskip(NEXT) | instid1(VALU_DEP_1)
	v_ashrrev_i64 v[6:7], 1, v[6:7]
	v_lshlrev_b64 v[8:9], 3, v[6:7]
	s_delay_alu instid0(VALU_DEP_1) | instskip(NEXT) | instid1(VALU_DEP_2)
	v_add_co_u32 v8, vcc_lo, s12, v8
	v_add_co_ci_u32_e32 v9, vcc_lo, s13, v9, vcc_lo
	global_load_b64 v[8:9], v[8:9], off
	s_waitcnt vmcnt(0)
	v_sub_co_u32 v8, vcc_lo, v8, s26
	v_subrev_co_ci_u32_e32 v9, vcc_lo, 0, v9, vcc_lo
	s_delay_alu instid0(VALU_DEP_1) | instskip(SKIP_2) | instid1(VALU_DEP_2)
	v_cmp_gt_i64_e32 vcc_lo, v[8:9], v[14:15]
	v_dual_cndmask_b32 v5, v5, v7 :: v_dual_cndmask_b32 v4, v4, v6
	v_dual_cndmask_b32 v3, v7, v3 :: v_dual_cndmask_b32 v2, v6, v2
	v_add_co_u32 v6, vcc_lo, v4, -1
	s_delay_alu instid0(VALU_DEP_3) | instskip(NEXT) | instid1(VALU_DEP_3)
	v_add_co_ci_u32_e32 v7, vcc_lo, -1, v5, vcc_lo
	v_cmp_ge_i64_e32 vcc_lo, v[2:3], v[4:5]
	s_delay_alu instid0(VALU_DEP_2) | instskip(NEXT) | instid1(VALU_DEP_1)
	v_cmp_eq_u64_e64 s0, v[2:3], v[6:7]
	s_or_b32 s0, vcc_lo, s0
	s_delay_alu instid0(SALU_CYCLE_1) | instskip(NEXT) | instid1(SALU_CYCLE_1)
	s_and_b32 s0, exec_lo, s0
	s_or_b32 s17, s0, s17
	s_delay_alu instid0(SALU_CYCLE_1)
	s_and_not1_b32 exec_lo, exec_lo, s17
	s_cbranch_execnz .LBB42_94
; %bb.95:
	s_set_inst_prefetch_distance 0x2
	s_or_b32 exec_lo, exec_lo, s17
.LBB42_96:
	v_lshlrev_b64 v[6:7], 3, v[4:5]
	v_lshlrev_b64 v[8:9], 3, v[14:15]
	s_xor_b32 s16, s16, -1
	s_mov_b32 s17, exec_lo
	s_delay_alu instid0(VALU_DEP_2) | instskip(NEXT) | instid1(VALU_DEP_3)
	v_add_co_u32 v6, vcc_lo, s12, v6
	v_add_co_ci_u32_e32 v7, vcc_lo, s13, v7, vcc_lo
	s_delay_alu instid0(VALU_DEP_3)
	v_add_co_u32 v18, vcc_lo, s14, v8
	v_add_co_ci_u32_e32 v19, vcc_lo, s15, v9, vcc_lo
	global_load_b64 v[6:7], v[6:7], off
	s_lshl_b64 s[14:15], s[22:23], 3
	global_load_b64 v[8:9], v[18:19], off
	s_add_u32 s14, s12, s14
	s_addc_u32 s15, s13, s15
	s_waitcnt vmcnt(1)
	v_sub_co_u32 v6, vcc_lo, v6, s26
	v_subrev_co_ci_u32_e32 v7, vcc_lo, 0, v7, vcc_lo
	s_delay_alu instid0(VALU_DEP_1) | instskip(SKIP_4) | instid1(VALU_DEP_1)
	v_cmp_gt_i64_e32 vcc_lo, v[6:7], v[14:15]
	v_dual_cndmask_b32 v3, v5, v3 :: v_dual_cndmask_b32 v2, v4, v2
	s_waitcnt vmcnt(0)
	v_sub_co_u32 v20, vcc_lo, v8, s26
	v_subrev_co_ci_u32_e32 v21, vcc_lo, 0, v9, vcc_lo
	v_cmpx_ne_u64_e64 v[20:21], v[2:3]
	s_cbranch_execz .LBB42_110
; %bb.97:
	s_load_b64 s[36:37], s[14:15], 0x0
	s_waitcnt lgkmcnt(0)
	s_sub_u32 s36, s36, s26
	s_subb_u32 s37, s37, 0
	s_delay_alu instid0(SALU_CYCLE_1)
	v_cmp_gt_i64_e32 vcc_lo, s[36:37], v[14:15]
	s_and_b32 exec_lo, exec_lo, vcc_lo
	s_cbranch_execz .LBB42_110
; %bb.98:
	v_cmp_gt_i64_e32 vcc_lo, s[2:3], v[20:21]
	v_cmp_le_i64_e64 s0, s[22:23], v[20:21]
	v_lshlrev_b64 v[2:3], 4, v[2:3]
	s_delay_alu instid0(VALU_DEP_2) | instskip(NEXT) | instid1(SALU_CYCLE_1)
	s_or_b32 s0, vcc_lo, s0
	s_and_saveexec_b32 s27, s0
	s_delay_alu instid0(SALU_CYCLE_1)
	s_xor_b32 s0, exec_lo, s27
	s_cbranch_execz .LBB42_104
; %bb.99:
	s_delay_alu instid0(VALU_DEP_1)
	v_add_co_u32 v2, vcc_lo, s18, v2
	v_add_co_ci_u32_e32 v3, vcc_lo, s19, v3, vcc_lo
	v_lshlrev_b64 v[6:7], 4, v[20:21]
	s_mov_b32 s27, 0
	global_load_b128 v[2:5], v[2:3], off
	v_add_co_u32 v22, vcc_lo, s10, v6
	v_add_co_ci_u32_e32 v23, vcc_lo, s11, v7, vcc_lo
	ds_load_b128 v[6:9], v26
	global_load_b64 v[12:13], v[22:23], off
	s_waitcnt vmcnt(1) lgkmcnt(0)
	v_mul_f64 v[10:11], v[4:5], -v[8:9]
	s_delay_alu instid0(VALU_DEP_1)
	v_fma_f64 v[24:25], v[6:7], v[2:3], v[10:11]
.LBB42_100:                             ; =>This Inner Loop Header: Depth=1
	s_waitcnt vmcnt(0)
	s_delay_alu instid0(VALU_DEP_1)
	v_add_f64 v[10:11], v[12:13], v[24:25]
	global_atomic_cmpswap_b64 v[10:11], v[22:23], v[10:13], off glc
	s_waitcnt vmcnt(0)
	v_cmp_eq_u64_e32 vcc_lo, v[10:11], v[12:13]
	v_dual_mov_b32 v13, v11 :: v_dual_mov_b32 v12, v10
	s_or_b32 s27, vcc_lo, s27
	s_delay_alu instid0(SALU_CYCLE_1)
	s_and_not1_b32 exec_lo, exec_lo, s27
	s_cbranch_execnz .LBB42_100
; %bb.101:
	s_or_b32 exec_lo, exec_lo, s27
	global_load_b64 v[10:11], v[22:23], off offset:8
	v_mul_f64 v[4:5], v[4:5], v[6:7]
	s_mov_b32 s27, 0
	s_delay_alu instid0(VALU_DEP_1)
	v_fma_f64 v[2:3], v[8:9], v[2:3], v[4:5]
.LBB42_102:                             ; =>This Inner Loop Header: Depth=1
	s_waitcnt vmcnt(0)
	s_delay_alu instid0(VALU_DEP_1)
	v_add_f64 v[8:9], v[10:11], v[2:3]
	global_atomic_cmpswap_b64 v[4:5], v[22:23], v[8:11], off offset:8 glc
	s_waitcnt vmcnt(0)
	v_cmp_eq_u64_e32 vcc_lo, v[4:5], v[10:11]
	v_dual_mov_b32 v11, v5 :: v_dual_mov_b32 v10, v4
	s_or_b32 s27, vcc_lo, s27
	s_delay_alu instid0(SALU_CYCLE_1)
	s_and_not1_b32 exec_lo, exec_lo, s27
	s_cbranch_execnz .LBB42_102
; %bb.103:
	s_or_b32 exec_lo, exec_lo, s27
                                        ; implicit-def: $vgpr2_vgpr3
.LBB42_104:
	s_and_not1_saveexec_b32 s0, s0
	s_cbranch_execz .LBB42_110
; %bb.105:
	v_add_co_u32 v2, vcc_lo, s18, v2
	v_add_co_ci_u32_e32 v3, vcc_lo, s19, v3, vcc_lo
	ds_load_b128 v[6:9], v26
	v_subrev_nc_u32_e32 v12, s2, v20
	s_mov_b32 s0, 0
	global_load_b128 v[2:5], v[2:3], off
	v_lshl_add_u32 v22, v12, 4, 0x4000
	ds_load_b64 v[12:13], v22
	s_waitcnt vmcnt(0) lgkmcnt(1)
	v_mul_f64 v[10:11], v[4:5], -v[8:9]
	s_delay_alu instid0(VALU_DEP_1)
	v_fma_f64 v[10:11], v[6:7], v[2:3], v[10:11]
.LBB42_106:                             ; =>This Inner Loop Header: Depth=1
	s_waitcnt lgkmcnt(0)
	s_delay_alu instid0(VALU_DEP_1)
	v_add_f64 v[23:24], v[12:13], v[10:11]
	ds_cmpstore_rtn_b64 v[23:24], v22, v[23:24], v[12:13]
	s_waitcnt lgkmcnt(0)
	v_cmp_eq_u64_e32 vcc_lo, v[23:24], v[12:13]
	v_dual_mov_b32 v12, v23 :: v_dual_mov_b32 v13, v24
	s_or_b32 s0, vcc_lo, s0
	s_delay_alu instid0(SALU_CYCLE_1)
	s_and_not1_b32 exec_lo, exec_lo, s0
	s_cbranch_execnz .LBB42_106
; %bb.107:
	s_or_b32 exec_lo, exec_lo, s0
	v_mul_f64 v[4:5], v[4:5], v[6:7]
	s_mov_b32 s0, 0
	s_delay_alu instid0(VALU_DEP_1)
	v_fma_f64 v[2:3], v[8:9], v[2:3], v[4:5]
	ds_load_b64 v[4:5], v22 offset:8
.LBB42_108:                             ; =>This Inner Loop Header: Depth=1
	s_waitcnt lgkmcnt(0)
	v_add_f64 v[6:7], v[4:5], v[2:3]
	ds_cmpstore_rtn_b64 v[6:7], v22, v[6:7], v[4:5] offset:8
	s_waitcnt lgkmcnt(0)
	v_cmp_eq_u64_e32 vcc_lo, v[6:7], v[4:5]
	v_dual_mov_b32 v4, v6 :: v_dual_mov_b32 v5, v7
	s_or_b32 s0, vcc_lo, s0
	s_delay_alu instid0(SALU_CYCLE_1)
	s_and_not1_b32 exec_lo, exec_lo, s0
	s_cbranch_execnz .LBB42_108
; %bb.109:
	s_or_b32 exec_lo, exec_lo, s0
.LBB42_110:
	s_delay_alu instid0(SALU_CYCLE_1)
	s_or_b32 exec_lo, exec_lo, s17
	v_lshlrev_b64 v[2:3], 4, v[20:21]
	ds_load_b128 v[6:9], v26
	v_cndmask_b32_e64 v27, 0, 1, s16
	v_add_co_u32 v2, vcc_lo, s18, v2
	v_add_co_ci_u32_e32 v3, vcc_lo, s19, v3, vcc_lo
	global_load_b128 v[2:5], v[2:3], off
	s_waitcnt vmcnt(0) lgkmcnt(0)
	v_mul_f64 v[10:11], v[4:5], -v[8:9]
	v_mul_f64 v[4:5], v[4:5], v[6:7]
	s_delay_alu instid0(VALU_DEP_2) | instskip(NEXT) | instid1(VALU_DEP_2)
	v_fma_f64 v[10:11], v[6:7], v[2:3], v[10:11]
	v_fma_f64 v[12:13], v[8:9], v[2:3], v[4:5]
	v_add_co_u32 v2, vcc_lo, 0x100, v14
	v_add_co_ci_u32_e32 v3, vcc_lo, 0, v15, vcc_lo
	v_dual_mov_b32 v4, s20 :: v_dual_mov_b32 v5, s21
	v_dual_mov_b32 v7, s5 :: v_dual_mov_b32 v6, s4
	s_and_not1_b32 vcc_lo, exec_lo, s16
	ds_store_b128 v26, v[10:13]
	s_cbranch_vccnz .LBB42_114
; %bb.111:
	v_dual_mov_b32 v4, s20 :: v_dual_mov_b32 v5, s21
	v_dual_mov_b32 v7, s5 :: v_dual_mov_b32 v6, s4
	s_mov_b32 s16, 0
	s_set_inst_prefetch_distance 0x1
	.p2align	6
.LBB42_112:                             ; =>This Inner Loop Header: Depth=1
	s_delay_alu instid0(VALU_DEP_1) | instskip(NEXT) | instid1(VALU_DEP_2)
	v_add_co_u32 v8, vcc_lo, v6, v4
	v_add_co_ci_u32_e32 v9, vcc_lo, v7, v5, vcc_lo
	s_delay_alu instid0(VALU_DEP_1) | instskip(NEXT) | instid1(VALU_DEP_1)
	v_lshrrev_b32_e32 v10, 31, v9
	v_add_co_u32 v8, vcc_lo, v8, v10
	v_add_co_ci_u32_e32 v9, vcc_lo, 0, v9, vcc_lo
	s_delay_alu instid0(VALU_DEP_1) | instskip(NEXT) | instid1(VALU_DEP_1)
	v_ashrrev_i64 v[8:9], 1, v[8:9]
	v_lshlrev_b64 v[10:11], 3, v[8:9]
	s_delay_alu instid0(VALU_DEP_1) | instskip(NEXT) | instid1(VALU_DEP_2)
	v_add_co_u32 v10, vcc_lo, s12, v10
	v_add_co_ci_u32_e32 v11, vcc_lo, s13, v11, vcc_lo
	global_load_b64 v[10:11], v[10:11], off
	s_waitcnt vmcnt(0)
	v_sub_co_u32 v10, vcc_lo, v10, s26
	v_subrev_co_ci_u32_e32 v11, vcc_lo, 0, v11, vcc_lo
	s_delay_alu instid0(VALU_DEP_1) | instskip(SKIP_2) | instid1(VALU_DEP_2)
	v_cmp_gt_i64_e32 vcc_lo, v[10:11], v[2:3]
	v_dual_cndmask_b32 v7, v7, v9 :: v_dual_cndmask_b32 v6, v6, v8
	v_dual_cndmask_b32 v5, v9, v5 :: v_dual_cndmask_b32 v4, v8, v4
	v_add_co_u32 v8, vcc_lo, v6, -1
	s_delay_alu instid0(VALU_DEP_3) | instskip(NEXT) | instid1(VALU_DEP_3)
	v_add_co_ci_u32_e32 v9, vcc_lo, -1, v7, vcc_lo
	v_cmp_ge_i64_e32 vcc_lo, v[4:5], v[6:7]
	s_delay_alu instid0(VALU_DEP_2) | instskip(NEXT) | instid1(VALU_DEP_1)
	v_cmp_eq_u64_e64 s0, v[4:5], v[8:9]
	s_or_b32 s0, vcc_lo, s0
	s_delay_alu instid0(SALU_CYCLE_1) | instskip(NEXT) | instid1(SALU_CYCLE_1)
	s_and_b32 s0, exec_lo, s0
	s_or_b32 s16, s0, s16
	s_delay_alu instid0(SALU_CYCLE_1)
	s_and_not1_b32 exec_lo, exec_lo, s16
	s_cbranch_execnz .LBB42_112
; %bb.113:
	s_set_inst_prefetch_distance 0x2
	s_or_b32 exec_lo, exec_lo, s16
.LBB42_114:
	v_lshlrev_b64 v[8:9], 3, v[6:7]
	s_mov_b32 s16, exec_lo
	s_delay_alu instid0(VALU_DEP_1) | instskip(NEXT) | instid1(VALU_DEP_2)
	v_add_co_u32 v8, vcc_lo, s12, v8
	v_add_co_ci_u32_e32 v9, vcc_lo, s13, v9, vcc_lo
	global_load_b64 v[8:9], v[8:9], off
	global_load_b64 v[10:11], v[18:19], off offset:2048
	s_waitcnt vmcnt(1)
	v_sub_co_u32 v8, vcc_lo, v8, s26
	v_subrev_co_ci_u32_e32 v9, vcc_lo, 0, v9, vcc_lo
	s_delay_alu instid0(VALU_DEP_1) | instskip(SKIP_4) | instid1(VALU_DEP_1)
	v_cmp_gt_i64_e32 vcc_lo, v[8:9], v[2:3]
	v_dual_cndmask_b32 v5, v7, v5 :: v_dual_cndmask_b32 v4, v6, v4
	s_waitcnt vmcnt(0)
	v_sub_co_u32 v20, vcc_lo, v10, s26
	v_subrev_co_ci_u32_e32 v21, vcc_lo, 0, v11, vcc_lo
	v_cmpx_ne_u64_e64 v[20:21], v[4:5]
	s_cbranch_execz .LBB42_128
; %bb.115:
	s_load_b64 s[36:37], s[14:15], 0x0
	s_waitcnt lgkmcnt(0)
	s_sub_u32 s36, s36, s26
	s_subb_u32 s37, s37, 0
	s_delay_alu instid0(SALU_CYCLE_1)
	v_cmp_gt_i64_e32 vcc_lo, s[36:37], v[2:3]
	s_and_b32 exec_lo, exec_lo, vcc_lo
	s_cbranch_execz .LBB42_128
; %bb.116:
	v_cmp_gt_i64_e32 vcc_lo, s[2:3], v[20:21]
	v_cmp_le_i64_e64 s0, s[22:23], v[20:21]
	v_lshlrev_b64 v[2:3], 4, v[4:5]
	s_delay_alu instid0(VALU_DEP_2) | instskip(NEXT) | instid1(SALU_CYCLE_1)
	s_or_b32 s0, vcc_lo, s0
	s_and_saveexec_b32 s17, s0
	s_delay_alu instid0(SALU_CYCLE_1)
	s_xor_b32 s0, exec_lo, s17
	s_cbranch_execz .LBB42_122
; %bb.117:
	s_delay_alu instid0(VALU_DEP_1)
	v_add_co_u32 v2, vcc_lo, s18, v2
	v_add_co_ci_u32_e32 v3, vcc_lo, s19, v3, vcc_lo
	v_lshlrev_b64 v[6:7], 4, v[20:21]
	s_mov_b32 s17, 0
	global_load_b128 v[2:5], v[2:3], off
	v_add_co_u32 v22, vcc_lo, s10, v6
	v_add_co_ci_u32_e32 v23, vcc_lo, s11, v7, vcc_lo
	ds_load_b128 v[6:9], v26 offset:4096
	global_load_b64 v[12:13], v[22:23], off
	s_waitcnt vmcnt(1) lgkmcnt(0)
	v_mul_f64 v[10:11], v[4:5], -v[8:9]
	s_delay_alu instid0(VALU_DEP_1)
	v_fma_f64 v[24:25], v[6:7], v[2:3], v[10:11]
.LBB42_118:                             ; =>This Inner Loop Header: Depth=1
	s_waitcnt vmcnt(0)
	s_delay_alu instid0(VALU_DEP_1)
	v_add_f64 v[10:11], v[12:13], v[24:25]
	global_atomic_cmpswap_b64 v[10:11], v[22:23], v[10:13], off glc
	s_waitcnt vmcnt(0)
	v_cmp_eq_u64_e32 vcc_lo, v[10:11], v[12:13]
	v_dual_mov_b32 v13, v11 :: v_dual_mov_b32 v12, v10
	s_or_b32 s17, vcc_lo, s17
	s_delay_alu instid0(SALU_CYCLE_1)
	s_and_not1_b32 exec_lo, exec_lo, s17
	s_cbranch_execnz .LBB42_118
; %bb.119:
	s_or_b32 exec_lo, exec_lo, s17
	global_load_b64 v[10:11], v[22:23], off offset:8
	v_mul_f64 v[4:5], v[4:5], v[6:7]
	s_mov_b32 s17, 0
	s_delay_alu instid0(VALU_DEP_1)
	v_fma_f64 v[2:3], v[8:9], v[2:3], v[4:5]
.LBB42_120:                             ; =>This Inner Loop Header: Depth=1
	s_waitcnt vmcnt(0)
	s_delay_alu instid0(VALU_DEP_1)
	v_add_f64 v[8:9], v[10:11], v[2:3]
	global_atomic_cmpswap_b64 v[4:5], v[22:23], v[8:11], off offset:8 glc
	s_waitcnt vmcnt(0)
	v_cmp_eq_u64_e32 vcc_lo, v[4:5], v[10:11]
	v_dual_mov_b32 v11, v5 :: v_dual_mov_b32 v10, v4
	s_or_b32 s17, vcc_lo, s17
	s_delay_alu instid0(SALU_CYCLE_1)
	s_and_not1_b32 exec_lo, exec_lo, s17
	s_cbranch_execnz .LBB42_120
; %bb.121:
	s_or_b32 exec_lo, exec_lo, s17
                                        ; implicit-def: $vgpr2_vgpr3
.LBB42_122:
	s_and_not1_saveexec_b32 s0, s0
	s_cbranch_execz .LBB42_128
; %bb.123:
	v_add_co_u32 v2, vcc_lo, s18, v2
	v_add_co_ci_u32_e32 v3, vcc_lo, s19, v3, vcc_lo
	ds_load_b128 v[6:9], v26 offset:4096
	v_subrev_nc_u32_e32 v12, s2, v20
	s_mov_b32 s0, 0
	global_load_b128 v[2:5], v[2:3], off
	v_lshl_add_u32 v22, v12, 4, 0x4000
	ds_load_b64 v[12:13], v22
	s_waitcnt vmcnt(0) lgkmcnt(1)
	v_mul_f64 v[10:11], v[4:5], -v[8:9]
	s_delay_alu instid0(VALU_DEP_1)
	v_fma_f64 v[10:11], v[6:7], v[2:3], v[10:11]
.LBB42_124:                             ; =>This Inner Loop Header: Depth=1
	s_waitcnt lgkmcnt(0)
	s_delay_alu instid0(VALU_DEP_1)
	v_add_f64 v[23:24], v[12:13], v[10:11]
	ds_cmpstore_rtn_b64 v[23:24], v22, v[23:24], v[12:13]
	s_waitcnt lgkmcnt(0)
	v_cmp_eq_u64_e32 vcc_lo, v[23:24], v[12:13]
	v_dual_mov_b32 v12, v23 :: v_dual_mov_b32 v13, v24
	s_or_b32 s0, vcc_lo, s0
	s_delay_alu instid0(SALU_CYCLE_1)
	s_and_not1_b32 exec_lo, exec_lo, s0
	s_cbranch_execnz .LBB42_124
; %bb.125:
	s_or_b32 exec_lo, exec_lo, s0
	v_mul_f64 v[4:5], v[4:5], v[6:7]
	s_mov_b32 s0, 0
	s_delay_alu instid0(VALU_DEP_1)
	v_fma_f64 v[2:3], v[8:9], v[2:3], v[4:5]
	ds_load_b64 v[4:5], v22 offset:8
.LBB42_126:                             ; =>This Inner Loop Header: Depth=1
	s_waitcnt lgkmcnt(0)
	v_add_f64 v[6:7], v[4:5], v[2:3]
	ds_cmpstore_rtn_b64 v[6:7], v22, v[6:7], v[4:5] offset:8
	s_waitcnt lgkmcnt(0)
	v_cmp_eq_u64_e32 vcc_lo, v[6:7], v[4:5]
	v_dual_mov_b32 v4, v6 :: v_dual_mov_b32 v5, v7
	s_or_b32 s0, vcc_lo, s0
	s_delay_alu instid0(SALU_CYCLE_1)
	s_and_not1_b32 exec_lo, exec_lo, s0
	s_cbranch_execnz .LBB42_126
; %bb.127:
	s_or_b32 exec_lo, exec_lo, s0
.LBB42_128:
	s_delay_alu instid0(SALU_CYCLE_1)
	s_or_b32 exec_lo, exec_lo, s16
	v_lshlrev_b64 v[2:3], 4, v[20:21]
	ds_load_b128 v[6:9], v26 offset:4096
	v_add_co_u32 v2, vcc_lo, s18, v2
	v_add_co_ci_u32_e32 v3, vcc_lo, s19, v3, vcc_lo
	v_cmp_ne_u32_e32 vcc_lo, 1, v27
	global_load_b128 v[2:5], v[2:3], off
	s_and_b32 vcc_lo, exec_lo, vcc_lo
	s_waitcnt vmcnt(0) lgkmcnt(0)
	v_mul_f64 v[10:11], v[4:5], -v[8:9]
	v_mul_f64 v[4:5], v[4:5], v[6:7]
	s_delay_alu instid0(VALU_DEP_2) | instskip(NEXT) | instid1(VALU_DEP_2)
	v_fma_f64 v[10:11], v[6:7], v[2:3], v[10:11]
	v_fma_f64 v[12:13], v[8:9], v[2:3], v[4:5]
	v_add_co_u32 v2, s0, 0x200, v14
	s_delay_alu instid0(VALU_DEP_1)
	v_add_co_ci_u32_e64 v3, s0, 0, v15, s0
	v_dual_mov_b32 v4, s20 :: v_dual_mov_b32 v5, s21
	v_dual_mov_b32 v7, s5 :: v_dual_mov_b32 v6, s4
	ds_store_b128 v26, v[10:13] offset:4096
	s_cbranch_vccnz .LBB42_132
; %bb.129:
	v_dual_mov_b32 v4, s20 :: v_dual_mov_b32 v5, s21
	v_dual_mov_b32 v7, s5 :: v_dual_mov_b32 v6, s4
	s_mov_b32 s16, 0
	s_set_inst_prefetch_distance 0x1
	.p2align	6
.LBB42_130:                             ; =>This Inner Loop Header: Depth=1
	s_delay_alu instid0(VALU_DEP_1) | instskip(NEXT) | instid1(VALU_DEP_2)
	v_add_co_u32 v8, vcc_lo, v6, v4
	v_add_co_ci_u32_e32 v9, vcc_lo, v7, v5, vcc_lo
	s_delay_alu instid0(VALU_DEP_1) | instskip(NEXT) | instid1(VALU_DEP_1)
	v_lshrrev_b32_e32 v10, 31, v9
	v_add_co_u32 v8, vcc_lo, v8, v10
	v_add_co_ci_u32_e32 v9, vcc_lo, 0, v9, vcc_lo
	s_delay_alu instid0(VALU_DEP_1) | instskip(NEXT) | instid1(VALU_DEP_1)
	v_ashrrev_i64 v[8:9], 1, v[8:9]
	v_lshlrev_b64 v[10:11], 3, v[8:9]
	s_delay_alu instid0(VALU_DEP_1) | instskip(NEXT) | instid1(VALU_DEP_2)
	v_add_co_u32 v10, vcc_lo, s12, v10
	v_add_co_ci_u32_e32 v11, vcc_lo, s13, v11, vcc_lo
	global_load_b64 v[10:11], v[10:11], off
	s_waitcnt vmcnt(0)
	v_sub_co_u32 v10, vcc_lo, v10, s26
	v_subrev_co_ci_u32_e32 v11, vcc_lo, 0, v11, vcc_lo
	s_delay_alu instid0(VALU_DEP_1) | instskip(SKIP_2) | instid1(VALU_DEP_2)
	v_cmp_gt_i64_e32 vcc_lo, v[10:11], v[2:3]
	v_dual_cndmask_b32 v7, v7, v9 :: v_dual_cndmask_b32 v6, v6, v8
	v_dual_cndmask_b32 v5, v9, v5 :: v_dual_cndmask_b32 v4, v8, v4
	v_add_co_u32 v8, vcc_lo, v6, -1
	s_delay_alu instid0(VALU_DEP_3) | instskip(NEXT) | instid1(VALU_DEP_3)
	v_add_co_ci_u32_e32 v9, vcc_lo, -1, v7, vcc_lo
	v_cmp_ge_i64_e32 vcc_lo, v[4:5], v[6:7]
	s_delay_alu instid0(VALU_DEP_2) | instskip(NEXT) | instid1(VALU_DEP_1)
	v_cmp_eq_u64_e64 s0, v[4:5], v[8:9]
	s_or_b32 s0, vcc_lo, s0
	s_delay_alu instid0(SALU_CYCLE_1) | instskip(NEXT) | instid1(SALU_CYCLE_1)
	s_and_b32 s0, exec_lo, s0
	s_or_b32 s16, s0, s16
	s_delay_alu instid0(SALU_CYCLE_1)
	s_and_not1_b32 exec_lo, exec_lo, s16
	s_cbranch_execnz .LBB42_130
; %bb.131:
	s_set_inst_prefetch_distance 0x2
	s_or_b32 exec_lo, exec_lo, s16
.LBB42_132:
	v_lshlrev_b64 v[8:9], 3, v[6:7]
	s_mov_b32 s16, exec_lo
	s_delay_alu instid0(VALU_DEP_1) | instskip(NEXT) | instid1(VALU_DEP_2)
	v_add_co_u32 v8, vcc_lo, s12, v8
	v_add_co_ci_u32_e32 v9, vcc_lo, s13, v9, vcc_lo
	v_add_co_u32 v14, vcc_lo, 0x1000, v18
	v_add_co_ci_u32_e32 v15, vcc_lo, 0, v19, vcc_lo
	global_load_b64 v[8:9], v[8:9], off
	global_load_b64 v[10:11], v[14:15], off
	s_waitcnt vmcnt(1)
	v_sub_co_u32 v8, vcc_lo, v8, s26
	v_subrev_co_ci_u32_e32 v9, vcc_lo, 0, v9, vcc_lo
	s_delay_alu instid0(VALU_DEP_1) | instskip(SKIP_4) | instid1(VALU_DEP_1)
	v_cmp_gt_i64_e32 vcc_lo, v[8:9], v[2:3]
	v_dual_cndmask_b32 v5, v7, v5 :: v_dual_cndmask_b32 v4, v6, v4
	s_waitcnt vmcnt(0)
	v_sub_co_u32 v18, vcc_lo, v10, s26
	v_subrev_co_ci_u32_e32 v19, vcc_lo, 0, v11, vcc_lo
	v_cmpx_ne_u64_e64 v[18:19], v[4:5]
	s_cbranch_execz .LBB42_146
; %bb.133:
	s_load_b64 s[36:37], s[14:15], 0x0
	s_waitcnt lgkmcnt(0)
	s_sub_u32 s36, s36, s26
	s_subb_u32 s37, s37, 0
	s_delay_alu instid0(SALU_CYCLE_1)
	v_cmp_gt_i64_e32 vcc_lo, s[36:37], v[2:3]
	s_and_b32 exec_lo, exec_lo, vcc_lo
	s_cbranch_execz .LBB42_146
; %bb.134:
	v_cmp_gt_i64_e32 vcc_lo, s[2:3], v[18:19]
	v_cmp_le_i64_e64 s0, s[22:23], v[18:19]
	v_lshlrev_b64 v[2:3], 4, v[4:5]
	s_delay_alu instid0(VALU_DEP_2) | instskip(NEXT) | instid1(SALU_CYCLE_1)
	s_or_b32 s0, vcc_lo, s0
	s_and_saveexec_b32 s17, s0
	s_delay_alu instid0(SALU_CYCLE_1)
	s_xor_b32 s0, exec_lo, s17
	s_cbranch_execz .LBB42_140
; %bb.135:
	s_delay_alu instid0(VALU_DEP_1)
	v_add_co_u32 v2, vcc_lo, s18, v2
	v_add_co_ci_u32_e32 v3, vcc_lo, s19, v3, vcc_lo
	v_lshlrev_b64 v[6:7], 4, v[18:19]
	s_mov_b32 s17, 0
	global_load_b128 v[2:5], v[2:3], off
	v_add_co_u32 v20, vcc_lo, s10, v6
	v_add_co_ci_u32_e32 v21, vcc_lo, s11, v7, vcc_lo
	ds_load_b128 v[6:9], v26 offset:8192
	global_load_b64 v[12:13], v[20:21], off
	s_waitcnt vmcnt(1) lgkmcnt(0)
	v_mul_f64 v[10:11], v[4:5], -v[8:9]
	s_delay_alu instid0(VALU_DEP_1)
	v_fma_f64 v[22:23], v[6:7], v[2:3], v[10:11]
.LBB42_136:                             ; =>This Inner Loop Header: Depth=1
	s_waitcnt vmcnt(0)
	s_delay_alu instid0(VALU_DEP_1)
	v_add_f64 v[10:11], v[12:13], v[22:23]
	global_atomic_cmpswap_b64 v[10:11], v[20:21], v[10:13], off glc
	s_waitcnt vmcnt(0)
	v_cmp_eq_u64_e32 vcc_lo, v[10:11], v[12:13]
	v_dual_mov_b32 v13, v11 :: v_dual_mov_b32 v12, v10
	s_or_b32 s17, vcc_lo, s17
	s_delay_alu instid0(SALU_CYCLE_1)
	s_and_not1_b32 exec_lo, exec_lo, s17
	s_cbranch_execnz .LBB42_136
; %bb.137:
	s_or_b32 exec_lo, exec_lo, s17
	global_load_b64 v[10:11], v[20:21], off offset:8
	v_mul_f64 v[4:5], v[4:5], v[6:7]
	s_mov_b32 s17, 0
	s_delay_alu instid0(VALU_DEP_1)
	v_fma_f64 v[2:3], v[8:9], v[2:3], v[4:5]
.LBB42_138:                             ; =>This Inner Loop Header: Depth=1
	s_waitcnt vmcnt(0)
	s_delay_alu instid0(VALU_DEP_1)
	v_add_f64 v[8:9], v[10:11], v[2:3]
	global_atomic_cmpswap_b64 v[4:5], v[20:21], v[8:11], off offset:8 glc
	s_waitcnt vmcnt(0)
	v_cmp_eq_u64_e32 vcc_lo, v[4:5], v[10:11]
	v_dual_mov_b32 v11, v5 :: v_dual_mov_b32 v10, v4
	s_or_b32 s17, vcc_lo, s17
	s_delay_alu instid0(SALU_CYCLE_1)
	s_and_not1_b32 exec_lo, exec_lo, s17
	s_cbranch_execnz .LBB42_138
; %bb.139:
	s_or_b32 exec_lo, exec_lo, s17
                                        ; implicit-def: $vgpr2_vgpr3
.LBB42_140:
	s_and_not1_saveexec_b32 s0, s0
	s_cbranch_execz .LBB42_146
; %bb.141:
	v_add_co_u32 v2, vcc_lo, s18, v2
	v_add_co_ci_u32_e32 v3, vcc_lo, s19, v3, vcc_lo
	ds_load_b128 v[6:9], v26 offset:8192
	v_subrev_nc_u32_e32 v12, s2, v18
	s_mov_b32 s0, 0
	global_load_b128 v[2:5], v[2:3], off
	v_lshl_add_u32 v20, v12, 4, 0x4000
	ds_load_b64 v[12:13], v20
	s_waitcnt vmcnt(0) lgkmcnt(1)
	v_mul_f64 v[10:11], v[4:5], -v[8:9]
	s_delay_alu instid0(VALU_DEP_1)
	v_fma_f64 v[10:11], v[6:7], v[2:3], v[10:11]
.LBB42_142:                             ; =>This Inner Loop Header: Depth=1
	s_waitcnt lgkmcnt(0)
	s_delay_alu instid0(VALU_DEP_1)
	v_add_f64 v[21:22], v[12:13], v[10:11]
	ds_cmpstore_rtn_b64 v[21:22], v20, v[21:22], v[12:13]
	s_waitcnt lgkmcnt(0)
	v_cmp_eq_u64_e32 vcc_lo, v[21:22], v[12:13]
	v_dual_mov_b32 v12, v21 :: v_dual_mov_b32 v13, v22
	s_or_b32 s0, vcc_lo, s0
	s_delay_alu instid0(SALU_CYCLE_1)
	s_and_not1_b32 exec_lo, exec_lo, s0
	s_cbranch_execnz .LBB42_142
; %bb.143:
	s_or_b32 exec_lo, exec_lo, s0
	v_mul_f64 v[4:5], v[4:5], v[6:7]
	s_mov_b32 s0, 0
	s_delay_alu instid0(VALU_DEP_1)
	v_fma_f64 v[2:3], v[8:9], v[2:3], v[4:5]
	ds_load_b64 v[4:5], v20 offset:8
.LBB42_144:                             ; =>This Inner Loop Header: Depth=1
	s_waitcnt lgkmcnt(0)
	v_add_f64 v[6:7], v[4:5], v[2:3]
	ds_cmpstore_rtn_b64 v[6:7], v20, v[6:7], v[4:5] offset:8
	s_waitcnt lgkmcnt(0)
	v_cmp_eq_u64_e32 vcc_lo, v[6:7], v[4:5]
	v_dual_mov_b32 v4, v6 :: v_dual_mov_b32 v5, v7
	s_or_b32 s0, vcc_lo, s0
	s_delay_alu instid0(SALU_CYCLE_1)
	s_and_not1_b32 exec_lo, exec_lo, s0
	s_cbranch_execnz .LBB42_144
; %bb.145:
	s_or_b32 exec_lo, exec_lo, s0
.LBB42_146:
	s_delay_alu instid0(SALU_CYCLE_1)
	s_or_b32 exec_lo, exec_lo, s16
	v_lshlrev_b64 v[2:3], 4, v[18:19]
	ds_load_b128 v[6:9], v26 offset:8192
	v_add_co_u32 v2, vcc_lo, s18, v2
	v_add_co_ci_u32_e32 v3, vcc_lo, s19, v3, vcc_lo
	v_cmp_ne_u32_e32 vcc_lo, 1, v27
	global_load_b128 v[2:5], v[2:3], off
	s_and_b32 vcc_lo, exec_lo, vcc_lo
	s_waitcnt vmcnt(0) lgkmcnt(0)
	v_mul_f64 v[10:11], v[4:5], -v[8:9]
	v_mul_f64 v[4:5], v[4:5], v[6:7]
	s_delay_alu instid0(VALU_DEP_2) | instskip(NEXT) | instid1(VALU_DEP_2)
	v_fma_f64 v[6:7], v[6:7], v[2:3], v[10:11]
	v_fma_f64 v[8:9], v[8:9], v[2:3], v[4:5]
	v_dual_mov_b32 v2, s20 :: v_dual_mov_b32 v3, s21
	v_dual_mov_b32 v4, s4 :: v_dual_mov_b32 v5, s5
	ds_store_b128 v26, v[6:9] offset:8192
	s_cbranch_vccnz .LBB42_150
; %bb.147:
	v_dual_mov_b32 v2, s20 :: v_dual_mov_b32 v3, s21
	v_dual_mov_b32 v4, s4 :: v_dual_mov_b32 v5, s5
	s_mov_b32 s4, 0
	s_set_inst_prefetch_distance 0x1
	.p2align	6
.LBB42_148:                             ; =>This Inner Loop Header: Depth=1
	s_delay_alu instid0(VALU_DEP_1) | instskip(NEXT) | instid1(VALU_DEP_2)
	v_add_co_u32 v6, vcc_lo, v4, v2
	v_add_co_ci_u32_e32 v7, vcc_lo, v5, v3, vcc_lo
	s_delay_alu instid0(VALU_DEP_1) | instskip(NEXT) | instid1(VALU_DEP_1)
	v_lshrrev_b32_e32 v8, 31, v7
	v_add_co_u32 v6, vcc_lo, v6, v8
	v_add_co_ci_u32_e32 v7, vcc_lo, 0, v7, vcc_lo
	s_delay_alu instid0(VALU_DEP_1) | instskip(NEXT) | instid1(VALU_DEP_1)
	v_ashrrev_i64 v[6:7], 1, v[6:7]
	v_lshlrev_b64 v[8:9], 3, v[6:7]
	s_delay_alu instid0(VALU_DEP_1) | instskip(NEXT) | instid1(VALU_DEP_2)
	v_add_co_u32 v8, vcc_lo, s12, v8
	v_add_co_ci_u32_e32 v9, vcc_lo, s13, v9, vcc_lo
	global_load_b64 v[8:9], v[8:9], off
	s_waitcnt vmcnt(0)
	v_sub_co_u32 v8, vcc_lo, v8, s26
	v_subrev_co_ci_u32_e32 v9, vcc_lo, 0, v9, vcc_lo
	s_delay_alu instid0(VALU_DEP_1) | instskip(SKIP_2) | instid1(VALU_DEP_2)
	v_cmp_gt_i64_e32 vcc_lo, v[8:9], v[16:17]
	v_dual_cndmask_b32 v5, v5, v7 :: v_dual_cndmask_b32 v4, v4, v6
	v_dual_cndmask_b32 v3, v7, v3 :: v_dual_cndmask_b32 v2, v6, v2
	v_add_co_u32 v6, vcc_lo, v4, -1
	s_delay_alu instid0(VALU_DEP_3) | instskip(NEXT) | instid1(VALU_DEP_3)
	v_add_co_ci_u32_e32 v7, vcc_lo, -1, v5, vcc_lo
	v_cmp_ge_i64_e32 vcc_lo, v[2:3], v[4:5]
	s_delay_alu instid0(VALU_DEP_2) | instskip(NEXT) | instid1(VALU_DEP_1)
	v_cmp_eq_u64_e64 s0, v[2:3], v[6:7]
	s_or_b32 s0, vcc_lo, s0
	s_delay_alu instid0(SALU_CYCLE_1) | instskip(NEXT) | instid1(SALU_CYCLE_1)
	s_and_b32 s0, exec_lo, s0
	s_or_b32 s4, s0, s4
	s_delay_alu instid0(SALU_CYCLE_1)
	s_and_not1_b32 exec_lo, exec_lo, s4
	s_cbranch_execnz .LBB42_148
; %bb.149:
	s_set_inst_prefetch_distance 0x2
	s_or_b32 exec_lo, exec_lo, s4
.LBB42_150:
	v_lshlrev_b64 v[6:7], 3, v[4:5]
	s_mov_b32 s4, exec_lo
	s_delay_alu instid0(VALU_DEP_1) | instskip(NEXT) | instid1(VALU_DEP_2)
	v_add_co_u32 v6, vcc_lo, s12, v6
	v_add_co_ci_u32_e32 v7, vcc_lo, s13, v7, vcc_lo
	global_load_b64 v[6:7], v[6:7], off
	global_load_b64 v[8:9], v[14:15], off offset:2048
	s_waitcnt vmcnt(1)
	v_sub_co_u32 v6, vcc_lo, v6, s26
	v_subrev_co_ci_u32_e32 v7, vcc_lo, 0, v7, vcc_lo
	s_delay_alu instid0(VALU_DEP_1) | instskip(SKIP_4) | instid1(VALU_DEP_1)
	v_cmp_gt_i64_e32 vcc_lo, v[6:7], v[16:17]
	v_dual_cndmask_b32 v3, v5, v3 :: v_dual_cndmask_b32 v2, v4, v2
	s_waitcnt vmcnt(0)
	v_sub_co_u32 v14, vcc_lo, v8, s26
	v_subrev_co_ci_u32_e32 v15, vcc_lo, 0, v9, vcc_lo
	v_cmpx_ne_u64_e64 v[14:15], v[2:3]
	s_cbranch_execz .LBB42_164
; %bb.151:
	s_load_b64 s[14:15], s[14:15], 0x0
	s_waitcnt lgkmcnt(0)
	s_sub_u32 s14, s14, s26
	s_subb_u32 s15, s15, 0
	s_delay_alu instid0(SALU_CYCLE_1)
	v_cmp_gt_i64_e32 vcc_lo, s[14:15], v[16:17]
	s_and_b32 exec_lo, exec_lo, vcc_lo
	s_cbranch_execz .LBB42_164
; %bb.152:
	v_cmp_gt_i64_e32 vcc_lo, s[2:3], v[14:15]
	v_cmp_le_i64_e64 s0, s[22:23], v[14:15]
	v_lshlrev_b64 v[2:3], 4, v[2:3]
	s_delay_alu instid0(VALU_DEP_2) | instskip(NEXT) | instid1(SALU_CYCLE_1)
	s_or_b32 s0, vcc_lo, s0
	s_and_saveexec_b32 s5, s0
	s_delay_alu instid0(SALU_CYCLE_1)
	s_xor_b32 s0, exec_lo, s5
	s_cbranch_execz .LBB42_158
; %bb.153:
	s_delay_alu instid0(VALU_DEP_1)
	v_add_co_u32 v2, vcc_lo, s18, v2
	v_add_co_ci_u32_e32 v3, vcc_lo, s19, v3, vcc_lo
	v_lshlrev_b64 v[6:7], 4, v[14:15]
	s_mov_b32 s5, 0
	global_load_b128 v[2:5], v[2:3], off
	v_add_co_u32 v16, vcc_lo, s10, v6
	v_add_co_ci_u32_e32 v17, vcc_lo, s11, v7, vcc_lo
	ds_load_b128 v[6:9], v26 offset:12288
	global_load_b64 v[12:13], v[16:17], off
	s_waitcnt vmcnt(1) lgkmcnt(0)
	v_mul_f64 v[10:11], v[4:5], -v[8:9]
	s_delay_alu instid0(VALU_DEP_1)
	v_fma_f64 v[18:19], v[6:7], v[2:3], v[10:11]
.LBB42_154:                             ; =>This Inner Loop Header: Depth=1
	s_waitcnt vmcnt(0)
	s_delay_alu instid0(VALU_DEP_1)
	v_add_f64 v[10:11], v[12:13], v[18:19]
	global_atomic_cmpswap_b64 v[10:11], v[16:17], v[10:13], off glc
	s_waitcnt vmcnt(0)
	v_cmp_eq_u64_e32 vcc_lo, v[10:11], v[12:13]
	v_dual_mov_b32 v13, v11 :: v_dual_mov_b32 v12, v10
	s_or_b32 s5, vcc_lo, s5
	s_delay_alu instid0(SALU_CYCLE_1)
	s_and_not1_b32 exec_lo, exec_lo, s5
	s_cbranch_execnz .LBB42_154
; %bb.155:
	s_or_b32 exec_lo, exec_lo, s5
	global_load_b64 v[10:11], v[16:17], off offset:8
	v_mul_f64 v[4:5], v[4:5], v[6:7]
	s_mov_b32 s5, 0
	s_delay_alu instid0(VALU_DEP_1)
	v_fma_f64 v[2:3], v[8:9], v[2:3], v[4:5]
.LBB42_156:                             ; =>This Inner Loop Header: Depth=1
	s_waitcnt vmcnt(0)
	s_delay_alu instid0(VALU_DEP_1)
	v_add_f64 v[8:9], v[10:11], v[2:3]
	global_atomic_cmpswap_b64 v[4:5], v[16:17], v[8:11], off offset:8 glc
	s_waitcnt vmcnt(0)
	v_cmp_eq_u64_e32 vcc_lo, v[4:5], v[10:11]
	v_dual_mov_b32 v11, v5 :: v_dual_mov_b32 v10, v4
	s_or_b32 s5, vcc_lo, s5
	s_delay_alu instid0(SALU_CYCLE_1)
	s_and_not1_b32 exec_lo, exec_lo, s5
	s_cbranch_execnz .LBB42_156
; %bb.157:
	s_or_b32 exec_lo, exec_lo, s5
                                        ; implicit-def: $vgpr2_vgpr3
.LBB42_158:
	s_and_not1_saveexec_b32 s0, s0
	s_cbranch_execz .LBB42_164
; %bb.159:
	v_add_co_u32 v2, vcc_lo, s18, v2
	v_add_co_ci_u32_e32 v3, vcc_lo, s19, v3, vcc_lo
	ds_load_b128 v[6:9], v26 offset:12288
	v_subrev_nc_u32_e32 v12, s2, v14
	s_mov_b32 s0, 0
	global_load_b128 v[2:5], v[2:3], off
	v_lshl_add_u32 v16, v12, 4, 0x4000
	ds_load_b64 v[12:13], v16
	s_waitcnt vmcnt(0) lgkmcnt(1)
	v_mul_f64 v[10:11], v[4:5], -v[8:9]
	s_delay_alu instid0(VALU_DEP_1)
	v_fma_f64 v[10:11], v[6:7], v[2:3], v[10:11]
.LBB42_160:                             ; =>This Inner Loop Header: Depth=1
	s_waitcnt lgkmcnt(0)
	s_delay_alu instid0(VALU_DEP_1)
	v_add_f64 v[17:18], v[12:13], v[10:11]
	ds_cmpstore_rtn_b64 v[17:18], v16, v[17:18], v[12:13]
	s_waitcnt lgkmcnt(0)
	v_cmp_eq_u64_e32 vcc_lo, v[17:18], v[12:13]
	v_dual_mov_b32 v12, v17 :: v_dual_mov_b32 v13, v18
	s_or_b32 s0, vcc_lo, s0
	s_delay_alu instid0(SALU_CYCLE_1)
	s_and_not1_b32 exec_lo, exec_lo, s0
	s_cbranch_execnz .LBB42_160
; %bb.161:
	s_or_b32 exec_lo, exec_lo, s0
	v_mul_f64 v[4:5], v[4:5], v[6:7]
	s_mov_b32 s0, 0
	s_delay_alu instid0(VALU_DEP_1)
	v_fma_f64 v[2:3], v[8:9], v[2:3], v[4:5]
	ds_load_b64 v[4:5], v16 offset:8
.LBB42_162:                             ; =>This Inner Loop Header: Depth=1
	s_waitcnt lgkmcnt(0)
	v_add_f64 v[6:7], v[4:5], v[2:3]
	ds_cmpstore_rtn_b64 v[6:7], v16, v[6:7], v[4:5] offset:8
	s_waitcnt lgkmcnt(0)
	v_cmp_eq_u64_e32 vcc_lo, v[6:7], v[4:5]
	v_dual_mov_b32 v4, v6 :: v_dual_mov_b32 v5, v7
	s_or_b32 s0, vcc_lo, s0
	s_delay_alu instid0(SALU_CYCLE_1)
	s_and_not1_b32 exec_lo, exec_lo, s0
	s_cbranch_execnz .LBB42_162
; %bb.163:
	s_or_b32 exec_lo, exec_lo, s0
.LBB42_164:
	s_delay_alu instid0(SALU_CYCLE_1)
	s_or_b32 exec_lo, exec_lo, s4
	v_lshlrev_b64 v[2:3], 4, v[14:15]
	ds_load_b128 v[6:9], v26 offset:12288
	v_add_co_u32 v2, vcc_lo, s18, v2
	v_add_co_ci_u32_e32 v3, vcc_lo, s19, v3, vcc_lo
	global_load_b128 v[2:5], v[2:3], off
	s_waitcnt vmcnt(0) lgkmcnt(0)
	v_mul_f64 v[10:11], v[4:5], -v[8:9]
	v_mul_f64 v[12:13], v[4:5], v[6:7]
	s_delay_alu instid0(VALU_DEP_2) | instskip(NEXT) | instid1(VALU_DEP_2)
	v_fma_f64 v[4:5], v[6:7], v[2:3], v[10:11]
	v_fma_f64 v[6:7], v[8:9], v[2:3], v[12:13]
	ds_store_b128 v26, v[4:7] offset:12288
.LBB42_165:
	s_or_b32 exec_lo, exec_lo, s1
	v_cmp_lt_i64_e64 s0, s[22:23], s[6:7]
	s_waitcnt lgkmcnt(0)
	s_barrier
	buffer_gl0_inv
	s_and_b32 s0, s0, exec_lo
	s_cselect_b32 s1, s22, s6
	s_cselect_b32 s0, s23, s7
	s_sub_u32 s4, s1, s24
	s_subb_u32 s5, s0, s25
	s_mov_b32 s0, exec_lo
	v_cmpx_gt_i64_e64 s[4:5], v[0:1]
	s_cbranch_execz .LBB42_172
; %bb.166:
	s_lshl_b64 s[2:3], s[2:3], 4
	v_dual_mov_b32 v11, v1 :: v_dual_mov_b32 v10, v0
	s_add_u32 s2, s10, s2
	s_addc_u32 s3, s11, s3
	s_mov_b32 s6, 0
	s_set_inst_prefetch_distance 0x1
	.p2align	6
.LBB42_167:                             ; =>This Loop Header: Depth=1
                                        ;     Child Loop BB42_168 Depth 2
                                        ;     Child Loop BB42_170 Depth 2
	v_lshlrev_b64 v[2:3], 4, v[10:11]
	s_mov_b32 s7, 0
	s_delay_alu instid0(VALU_DEP_1) | instskip(NEXT) | instid1(VALU_DEP_2)
	v_add_co_u32 v12, vcc_lo, s2, v2
	v_add_co_ci_u32_e32 v13, vcc_lo, s3, v3, vcc_lo
	v_lshl_add_u32 v2, v10, 4, 0x4000
	global_load_b64 v[8:9], v[12:13], off
	ds_load_2addr_b64 v[2:5], v2 offset1:1
.LBB42_168:                             ;   Parent Loop BB42_167 Depth=1
                                        ; =>  This Inner Loop Header: Depth=2
	s_waitcnt vmcnt(0) lgkmcnt(0)
	v_add_f64 v[6:7], v[8:9], v[2:3]
	global_atomic_cmpswap_b64 v[6:7], v[12:13], v[6:9], off glc
	s_waitcnt vmcnt(0)
	v_cmp_eq_u64_e32 vcc_lo, v[6:7], v[8:9]
	v_dual_mov_b32 v9, v7 :: v_dual_mov_b32 v8, v6
	s_or_b32 s7, vcc_lo, s7
	s_delay_alu instid0(SALU_CYCLE_1)
	s_and_not1_b32 exec_lo, exec_lo, s7
	s_cbranch_execnz .LBB42_168
; %bb.169:                              ;   in Loop: Header=BB42_167 Depth=1
	s_or_b32 exec_lo, exec_lo, s7
	global_load_b64 v[8:9], v[12:13], off offset:8
	s_mov_b32 s7, 0
.LBB42_170:                             ;   Parent Loop BB42_167 Depth=1
                                        ; =>  This Inner Loop Header: Depth=2
	s_waitcnt vmcnt(0)
	v_add_f64 v[6:7], v[8:9], v[4:5]
	global_atomic_cmpswap_b64 v[2:3], v[12:13], v[6:9], off offset:8 glc
	s_waitcnt vmcnt(0)
	v_cmp_eq_u64_e32 vcc_lo, v[2:3], v[8:9]
	v_dual_mov_b32 v9, v3 :: v_dual_mov_b32 v8, v2
	s_or_b32 s7, vcc_lo, s7
	s_delay_alu instid0(SALU_CYCLE_1)
	s_and_not1_b32 exec_lo, exec_lo, s7
	s_cbranch_execnz .LBB42_170
; %bb.171:                              ;   in Loop: Header=BB42_167 Depth=1
	s_or_b32 exec_lo, exec_lo, s7
	v_add_co_u32 v10, vcc_lo, 0x100, v10
	v_add_co_ci_u32_e32 v11, vcc_lo, 0, v11, vcc_lo
	s_delay_alu instid0(VALU_DEP_1) | instskip(SKIP_1) | instid1(SALU_CYCLE_1)
	v_cmp_le_i64_e32 vcc_lo, s[4:5], v[10:11]
	s_or_b32 s6, vcc_lo, s6
	s_and_not1_b32 exec_lo, exec_lo, s6
	s_cbranch_execnz .LBB42_167
.LBB42_172:
	s_set_inst_prefetch_distance 0x2
	s_or_b32 exec_lo, exec_lo, s0
	s_add_i32 s0, s34, -1
	v_add_co_u32 v10, s5, s20, v0
	s_ashr_i32 s2, s0, 1
	v_add_co_ci_u32_e64 v11, null, s21, 0, s5
	s_or_b32 s0, s2, s0
	s_delay_alu instid0(SALU_CYCLE_1) | instskip(SKIP_4) | instid1(SALU_CYCLE_1)
	s_ashr_i32 s2, s0, 2
	s_barrier
	s_or_b32 s0, s2, s0
	buffer_gl0_inv
	s_ashr_i32 s2, s0, 4
	s_or_b32 s0, s2, s0
	s_delay_alu instid0(SALU_CYCLE_1) | instskip(NEXT) | instid1(SALU_CYCLE_1)
	s_ashr_i32 s2, s0, 8
	s_or_b32 s0, s2, s0
	s_delay_alu instid0(SALU_CYCLE_1) | instskip(NEXT) | instid1(SALU_CYCLE_1)
	s_ashr_i32 s2, s0, 16
	s_or_b32 s2, s2, s0
	s_mov_b32 s0, -1
	s_add_i32 s2, s2, 1
	s_delay_alu instid0(SALU_CYCLE_1) | instskip(NEXT) | instid1(SALU_CYCLE_1)
	s_ashr_i32 s3, s2, 1
	s_cmp_gt_i32 s3, 1
	s_cbranch_scc1 .LBB42_185
; %bb.173:
	s_mov_b32 s0, exec_lo
	v_cmpx_gt_i64_e64 s[22:23], v[10:11]
	s_cbranch_execz .LBB42_184
; %bb.174:
	s_sub_i32 s1, s1, s22
	v_dual_mov_b32 v13, v11 :: v_dual_mov_b32 v12, v10
	s_lshl_b32 s6, s8, 4
	s_lshl_b32 s1, s1, 4
	s_mov_b32 s5, 0
	s_addk_i32 s1, 0x4000
	s_sub_i32 s6, 0, s6
.LBB42_175:                             ; =>This Loop Header: Depth=1
                                        ;     Child Loop BB42_177 Depth 2
                                        ;     Child Loop BB42_180 Depth 2
	;; [unrolled: 1-line block ×3, first 2 shown]
	v_lshlrev_b64 v[2:3], 3, v[12:13]
	v_mov_b32_e32 v14, 0
	v_mov_b32_e32 v15, 0
	s_delay_alu instid0(VALU_DEP_2) | instskip(SKIP_1) | instid1(VALU_DEP_4)
	v_mov_b32_e32 v6, v14
	s_mov_b32 s7, exec_lo
	v_add_co_u32 v2, vcc_lo, s12, v2
	s_delay_alu instid0(VALU_DEP_3)
	v_mov_b32_e32 v7, v15
	v_add_co_ci_u32_e32 v3, vcc_lo, s13, v3, vcc_lo
	global_load_b128 v[2:5], v[2:3], off
	s_waitcnt vmcnt(0)
	v_cmpx_lt_i64_e64 v[2:3], v[4:5]
	s_cbranch_execz .LBB42_179
; %bb.176:                              ;   in Loop: Header=BB42_175 Depth=1
	v_mov_b32_e32 v14, 0
	v_sub_co_u32 v4, vcc_lo, v4, s8
	v_mov_b32_e32 v15, 0
	v_subrev_co_ci_u32_e32 v5, vcc_lo, s9, v5, vcc_lo
	v_sub_co_u32 v8, vcc_lo, v2, s8
	v_subrev_co_ci_u32_e32 v9, vcc_lo, s9, v3, vcc_lo
	v_lshl_add_u32 v2, v2, 4, s6
	v_dual_mov_b32 v6, v14 :: v_dual_mov_b32 v7, v15
	s_mov_b32 s14, 0
.LBB42_177:                             ;   Parent Loop BB42_175 Depth=1
                                        ; =>  This Inner Loop Header: Depth=2
	ds_load_b128 v[16:19], v2
	v_add_co_u32 v8, vcc_lo, v8, 1
	v_add_co_ci_u32_e32 v9, vcc_lo, 0, v9, vcc_lo
	v_add_nc_u32_e32 v2, 16, v2
	s_delay_alu instid0(VALU_DEP_2)
	v_cmp_ge_i64_e32 vcc_lo, v[8:9], v[4:5]
	s_or_b32 s14, vcc_lo, s14
	s_waitcnt lgkmcnt(0)
	v_add_f64 v[6:7], v[6:7], v[16:17]
	v_add_f64 v[14:15], v[14:15], v[18:19]
	s_and_not1_b32 exec_lo, exec_lo, s14
	s_cbranch_execnz .LBB42_177
; %bb.178:                              ;   in Loop: Header=BB42_175 Depth=1
	s_or_b32 exec_lo, exec_lo, s14
.LBB42_179:                             ;   in Loop: Header=BB42_175 Depth=1
	s_delay_alu instid0(SALU_CYCLE_1) | instskip(SKIP_2) | instid1(VALU_DEP_1)
	s_or_b32 exec_lo, exec_lo, s7
	v_lshlrev_b64 v[2:3], 4, v[12:13]
	s_mov_b32 s7, 0
	v_add_co_u32 v16, vcc_lo, s10, v2
	s_delay_alu instid0(VALU_DEP_2)
	v_add_co_ci_u32_e32 v17, vcc_lo, s11, v3, vcc_lo
	v_lshl_add_u32 v2, v12, 4, s1
	global_load_b64 v[8:9], v[16:17], off
	ds_load_2addr_b64 v[2:5], v2 offset1:1
	s_waitcnt lgkmcnt(0)
	v_add_f64 v[2:3], v[6:7], v[2:3]
.LBB42_180:                             ;   Parent Loop BB42_175 Depth=1
                                        ; =>  This Inner Loop Header: Depth=2
	s_waitcnt vmcnt(0)
	s_delay_alu instid0(VALU_DEP_1)
	v_add_f64 v[6:7], v[8:9], v[2:3]
	global_atomic_cmpswap_b64 v[6:7], v[16:17], v[6:9], off glc
	s_waitcnt vmcnt(0)
	v_cmp_eq_u64_e32 vcc_lo, v[6:7], v[8:9]
	v_dual_mov_b32 v9, v7 :: v_dual_mov_b32 v8, v6
	s_or_b32 s7, vcc_lo, s7
	s_delay_alu instid0(SALU_CYCLE_1)
	s_and_not1_b32 exec_lo, exec_lo, s7
	s_cbranch_execnz .LBB42_180
; %bb.181:                              ;   in Loop: Header=BB42_175 Depth=1
	s_or_b32 exec_lo, exec_lo, s7
	global_load_b64 v[6:7], v[16:17], off offset:8
	v_add_f64 v[2:3], v[14:15], v[4:5]
	s_mov_b32 s7, 0
.LBB42_182:                             ;   Parent Loop BB42_175 Depth=1
                                        ; =>  This Inner Loop Header: Depth=2
	s_waitcnt vmcnt(0)
	s_delay_alu instid0(VALU_DEP_1)
	v_add_f64 v[4:5], v[6:7], v[2:3]
	global_atomic_cmpswap_b64 v[4:5], v[16:17], v[4:7], off offset:8 glc
	s_waitcnt vmcnt(0)
	v_cmp_eq_u64_e32 vcc_lo, v[4:5], v[6:7]
	v_dual_mov_b32 v7, v5 :: v_dual_mov_b32 v6, v4
	s_or_b32 s7, vcc_lo, s7
	s_delay_alu instid0(SALU_CYCLE_1)
	s_and_not1_b32 exec_lo, exec_lo, s7
	s_cbranch_execnz .LBB42_182
; %bb.183:                              ;   in Loop: Header=BB42_175 Depth=1
	s_or_b32 exec_lo, exec_lo, s7
	v_add_co_u32 v12, vcc_lo, v12, s28
	v_add_co_ci_u32_e32 v13, vcc_lo, 0, v13, vcc_lo
	s_delay_alu instid0(VALU_DEP_1) | instskip(SKIP_1) | instid1(SALU_CYCLE_1)
	v_cmp_le_i64_e32 vcc_lo, s[22:23], v[12:13]
	s_or_b32 s5, vcc_lo, s5
	s_and_not1_b32 exec_lo, exec_lo, s5
	s_cbranch_execnz .LBB42_175
.LBB42_184:
	s_or_b32 exec_lo, exec_lo, s0
	s_mov_b32 s0, 0
.LBB42_185:
	s_delay_alu instid0(SALU_CYCLE_1)
	s_and_not1_b32 vcc_lo, exec_lo, s0
	s_cbranch_vccnz .LBB42_216
; %bb.186:
	v_cvt_f32_u32_e32 v6, s3
	s_sub_i32 s1, 0, s3
                                        ; implicit-def: $vgpr12_vgpr13
	s_mov_b32 s0, exec_lo
	v_mov_b32_e32 v15, 0
	s_delay_alu instid0(VALU_DEP_2) | instskip(SKIP_2) | instid1(VALU_DEP_1)
	v_rcp_iflag_f32_e32 v2, v6
	s_waitcnt_depctr 0xfff
	v_mul_f32_e32 v2, 0x4f7ffffe, v2
	v_cvt_u32_f32_e32 v2, v2
	s_delay_alu instid0(VALU_DEP_1) | instskip(NEXT) | instid1(VALU_DEP_1)
	v_mul_lo_u32 v3, s1, v2
	v_mul_hi_u32 v3, v2, v3
	s_delay_alu instid0(VALU_DEP_1) | instskip(NEXT) | instid1(VALU_DEP_1)
	v_add_nc_u32_e32 v2, v2, v3
	v_mul_hi_u32 v2, v0, v2
	s_delay_alu instid0(VALU_DEP_1) | instskip(SKIP_1) | instid1(VALU_DEP_2)
	v_mul_lo_u32 v3, v2, s3
	v_add_nc_u32_e32 v4, 1, v2
	v_sub_nc_u32_e32 v3, v0, v3
	s_delay_alu instid0(VALU_DEP_1) | instskip(SKIP_1) | instid1(VALU_DEP_2)
	v_subrev_nc_u32_e32 v5, s3, v3
	v_cmp_le_u32_e32 vcc_lo, s3, v3
	v_dual_cndmask_b32 v2, v2, v4 :: v_dual_cndmask_b32 v3, v3, v5
	s_delay_alu instid0(VALU_DEP_1) | instskip(NEXT) | instid1(VALU_DEP_2)
	v_add_nc_u32_e32 v4, 1, v2
	v_cmp_le_u32_e32 vcc_lo, s3, v3
	s_delay_alu instid0(VALU_DEP_2) | instskip(NEXT) | instid1(VALU_DEP_1)
	v_cndmask_b32_e32 v14, v2, v4, vcc_lo
	v_lshlrev_b64 v[2:3], 3, v[14:15]
	s_delay_alu instid0(VALU_DEP_1) | instskip(NEXT) | instid1(VALU_DEP_2)
	v_add_co_u32 v2, vcc_lo, s30, v2
	v_add_co_ci_u32_e32 v3, vcc_lo, s31, v3, vcc_lo
	global_load_b128 v[2:5], v[2:3], off
	s_waitcnt vmcnt(0)
	v_sub_co_u32 v7, vcc_lo, v2, s8
	v_subrev_co_ci_u32_e32 v8, vcc_lo, s9, v3, vcc_lo
	v_mov_b32_e32 v3, v15
	v_sub_co_u32 v9, vcc_lo, v4, s8
	v_subrev_co_ci_u32_e32 v18, vcc_lo, s9, v5, vcc_lo
	s_delay_alu instid0(VALU_DEP_2) | instskip(NEXT) | instid1(VALU_DEP_2)
	v_sub_co_u32 v5, vcc_lo, v9, v7
	v_sub_co_ci_u32_e32 v4, vcc_lo, v18, v8, vcc_lo
	s_delay_alu instid0(VALU_DEP_1)
	v_cmpx_ne_u64_e32 0, v[3:4]
	s_xor_b32 s5, exec_lo, s0
	s_cbranch_execz .LBB42_188
; %bb.187:
	v_cvt_f32_ubyte0_e32 v3, 0
	s_sub_u32 s0, 0, s3
	s_subb_u32 s6, 0, 0
	s_delay_alu instid0(VALU_DEP_1) | instskip(NEXT) | instid1(VALU_DEP_1)
	v_fmamk_f32 v3, v3, 0x4f800000, v6
	v_rcp_f32_e32 v3, v3
	s_waitcnt_depctr 0xfff
	v_mul_f32_e32 v3, 0x5f7ffffc, v3
	s_delay_alu instid0(VALU_DEP_1) | instskip(NEXT) | instid1(VALU_DEP_1)
	v_mul_f32_e32 v6, 0x2f800000, v3
	v_trunc_f32_e32 v6, v6
	s_delay_alu instid0(VALU_DEP_1) | instskip(SKIP_1) | instid1(VALU_DEP_2)
	v_fmamk_f32 v3, v6, 0xcf800000, v3
	v_cvt_u32_f32_e32 v6, v6
	v_cvt_u32_f32_e32 v3, v3
	s_delay_alu instid0(VALU_DEP_2) | instskip(NEXT) | instid1(VALU_DEP_2)
	v_mul_lo_u32 v12, s0, v6
	v_mul_hi_u32 v13, s0, v3
	v_mul_lo_u32 v16, s6, v3
	s_delay_alu instid0(VALU_DEP_2) | instskip(SKIP_1) | instid1(VALU_DEP_2)
	v_add_nc_u32_e32 v12, v13, v12
	v_mul_lo_u32 v13, s0, v3
	v_add_nc_u32_e32 v12, v12, v16
	s_delay_alu instid0(VALU_DEP_2) | instskip(NEXT) | instid1(VALU_DEP_2)
	v_mul_hi_u32 v16, v3, v13
	v_mul_lo_u32 v17, v3, v12
	v_mul_hi_u32 v19, v3, v12
	v_mul_hi_u32 v20, v6, v13
	v_mul_lo_u32 v13, v6, v13
	v_mul_hi_u32 v21, v6, v12
	v_mul_lo_u32 v12, v6, v12
	v_add_co_u32 v16, vcc_lo, v16, v17
	v_add_co_ci_u32_e32 v17, vcc_lo, 0, v19, vcc_lo
	s_delay_alu instid0(VALU_DEP_2) | instskip(NEXT) | instid1(VALU_DEP_2)
	v_add_co_u32 v13, vcc_lo, v16, v13
	v_add_co_ci_u32_e32 v13, vcc_lo, v17, v20, vcc_lo
	v_add_co_ci_u32_e32 v16, vcc_lo, 0, v21, vcc_lo
	v_ashrrev_i32_e32 v20, 31, v4
	s_delay_alu instid0(VALU_DEP_3) | instskip(NEXT) | instid1(VALU_DEP_3)
	v_add_co_u32 v12, vcc_lo, v13, v12
	v_add_co_ci_u32_e32 v13, vcc_lo, 0, v16, vcc_lo
	s_delay_alu instid0(VALU_DEP_2) | instskip(NEXT) | instid1(VALU_DEP_2)
	v_add_co_u32 v3, vcc_lo, v3, v12
	v_add_co_ci_u32_e32 v6, vcc_lo, v6, v13, vcc_lo
	s_delay_alu instid0(VALU_DEP_2) | instskip(SKIP_1) | instid1(VALU_DEP_3)
	v_mul_hi_u32 v12, s0, v3
	v_mul_lo_u32 v16, s6, v3
	v_mul_lo_u32 v13, s0, v6
	s_delay_alu instid0(VALU_DEP_1) | instskip(SKIP_1) | instid1(VALU_DEP_2)
	v_add_nc_u32_e32 v12, v12, v13
	v_mul_lo_u32 v13, s0, v3
	v_add_nc_u32_e32 v12, v12, v16
	s_delay_alu instid0(VALU_DEP_2) | instskip(NEXT) | instid1(VALU_DEP_2)
	v_mul_hi_u32 v16, v3, v13
	v_mul_lo_u32 v17, v3, v12
	v_mul_hi_u32 v19, v3, v12
	v_mul_hi_u32 v21, v6, v13
	v_mul_lo_u32 v13, v6, v13
	v_mul_hi_u32 v22, v6, v12
	v_mul_lo_u32 v12, v6, v12
	v_add_co_u32 v16, vcc_lo, v16, v17
	v_add_co_ci_u32_e32 v17, vcc_lo, 0, v19, vcc_lo
	s_delay_alu instid0(VALU_DEP_2) | instskip(NEXT) | instid1(VALU_DEP_2)
	v_add_co_u32 v13, vcc_lo, v16, v13
	v_add_co_ci_u32_e32 v13, vcc_lo, v17, v21, vcc_lo
	v_add_co_ci_u32_e32 v16, vcc_lo, 0, v22, vcc_lo
	v_add_co_u32 v5, vcc_lo, v5, v20
	v_add_co_ci_u32_e32 v4, vcc_lo, v4, v20, vcc_lo
	s_delay_alu instid0(VALU_DEP_4) | instskip(NEXT) | instid1(VALU_DEP_4)
	v_add_co_u32 v12, vcc_lo, v13, v12
	v_add_co_ci_u32_e32 v13, vcc_lo, 0, v16, vcc_lo
	s_delay_alu instid0(VALU_DEP_4) | instskip(NEXT) | instid1(VALU_DEP_3)
	v_xor_b32_e32 v16, v5, v20
	v_add_co_u32 v12, vcc_lo, v3, v12
	s_delay_alu instid0(VALU_DEP_3) | instskip(SKIP_1) | instid1(VALU_DEP_3)
	v_add_co_ci_u32_e32 v17, vcc_lo, v6, v13, vcc_lo
	v_xor_b32_e32 v19, v4, v20
	v_mul_hi_u32 v21, v16, v12
	s_delay_alu instid0(VALU_DEP_3) | instskip(NEXT) | instid1(VALU_DEP_3)
	v_mad_u64_u32 v[3:4], null, v16, v17, 0
	v_mad_u64_u32 v[5:6], null, v19, v12, 0
	;; [unrolled: 1-line block ×3, first 2 shown]
	s_delay_alu instid0(VALU_DEP_3) | instskip(NEXT) | instid1(VALU_DEP_4)
	v_add_co_u32 v3, vcc_lo, v21, v3
	v_add_co_ci_u32_e32 v4, vcc_lo, 0, v4, vcc_lo
	s_delay_alu instid0(VALU_DEP_2) | instskip(NEXT) | instid1(VALU_DEP_2)
	v_add_co_u32 v3, vcc_lo, v3, v5
	v_add_co_ci_u32_e32 v3, vcc_lo, v4, v6, vcc_lo
	v_add_co_ci_u32_e32 v4, vcc_lo, 0, v13, vcc_lo
	s_delay_alu instid0(VALU_DEP_2) | instskip(NEXT) | instid1(VALU_DEP_2)
	v_add_co_u32 v12, vcc_lo, v3, v12
	v_add_co_ci_u32_e32 v13, vcc_lo, 0, v4, vcc_lo
	s_delay_alu instid0(VALU_DEP_2) | instskip(NEXT) | instid1(VALU_DEP_1)
	v_mad_u64_u32 v[3:4], null, s3, v12, 0
	v_mad_u64_u32 v[5:6], null, s3, v13, v[4:5]
	s_delay_alu instid0(VALU_DEP_2) | instskip(NEXT) | instid1(VALU_DEP_2)
	v_sub_co_u32 v3, vcc_lo, v16, v3
	v_sub_co_ci_u32_e32 v4, vcc_lo, v19, v5, vcc_lo
	s_delay_alu instid0(VALU_DEP_2) | instskip(NEXT) | instid1(VALU_DEP_2)
	v_sub_co_u32 v5, vcc_lo, v3, s3
	v_subrev_co_ci_u32_e32 v6, vcc_lo, 0, v4, vcc_lo
	s_delay_alu instid0(VALU_DEP_2)
	v_cmp_le_u32_e32 vcc_lo, s3, v5
	v_cmp_eq_u32_e64 s0, 0, v4
	v_cndmask_b32_e64 v5, 0, -1, vcc_lo
	v_add_co_u32 v16, vcc_lo, v12, 2
	v_add_co_ci_u32_e32 v17, vcc_lo, 0, v13, vcc_lo
	v_cmp_le_u32_e32 vcc_lo, s3, v3
	v_cndmask_b32_e64 v3, 0, -1, vcc_lo
	v_cmp_eq_u32_e32 vcc_lo, 0, v6
	s_delay_alu instid0(VALU_DEP_2) | instskip(SKIP_3) | instid1(VALU_DEP_3)
	v_cndmask_b32_e64 v3, -1, v3, s0
	v_cndmask_b32_e32 v5, -1, v5, vcc_lo
	v_add_co_u32 v6, vcc_lo, v12, 1
	v_add_co_ci_u32_e32 v19, vcc_lo, 0, v13, vcc_lo
	v_cmp_ne_u32_e32 vcc_lo, 0, v5
	s_delay_alu instid0(VALU_DEP_2) | instskip(SKIP_1) | instid1(VALU_DEP_2)
	v_dual_cndmask_b32 v4, v19, v17 :: v_dual_cndmask_b32 v5, v6, v16
	v_cmp_ne_u32_e32 vcc_lo, 0, v3
	v_dual_cndmask_b32 v3, v13, v4 :: v_dual_cndmask_b32 v4, v12, v5
                                        ; implicit-def: $vgpr5
	s_delay_alu instid0(VALU_DEP_1) | instskip(NEXT) | instid1(VALU_DEP_2)
	v_xor_b32_e32 v3, v3, v20
	v_xor_b32_e32 v4, v4, v20
	s_delay_alu instid0(VALU_DEP_1) | instskip(NEXT) | instid1(VALU_DEP_3)
	v_sub_co_u32 v12, vcc_lo, v4, v20
	v_sub_co_ci_u32_e32 v13, vcc_lo, v3, v20, vcc_lo
.LBB42_188:
	s_and_not1_saveexec_b32 s0, s5
	s_cbranch_execz .LBB42_190
; %bb.189:
	v_cvt_f32_u32_e32 v3, s3
	v_mov_b32_e32 v13, 0
	s_delay_alu instid0(VALU_DEP_2) | instskip(SKIP_2) | instid1(VALU_DEP_1)
	v_rcp_iflag_f32_e32 v3, v3
	s_waitcnt_depctr 0xfff
	v_mul_f32_e32 v3, 0x4f7ffffe, v3
	v_cvt_u32_f32_e32 v3, v3
	s_delay_alu instid0(VALU_DEP_1) | instskip(NEXT) | instid1(VALU_DEP_1)
	v_mul_lo_u32 v4, s1, v3
	v_mul_hi_u32 v4, v3, v4
	s_delay_alu instid0(VALU_DEP_1) | instskip(NEXT) | instid1(VALU_DEP_1)
	v_add_nc_u32_e32 v3, v3, v4
	v_mul_hi_u32 v3, v5, v3
	s_delay_alu instid0(VALU_DEP_1) | instskip(NEXT) | instid1(VALU_DEP_1)
	v_mul_lo_u32 v4, v3, s3
	v_sub_nc_u32_e32 v4, v5, v4
	v_add_nc_u32_e32 v5, 1, v3
	s_delay_alu instid0(VALU_DEP_2) | instskip(SKIP_1) | instid1(VALU_DEP_2)
	v_subrev_nc_u32_e32 v6, s3, v4
	v_cmp_le_u32_e32 vcc_lo, s3, v4
	v_dual_cndmask_b32 v4, v4, v6 :: v_dual_cndmask_b32 v3, v3, v5
	s_delay_alu instid0(VALU_DEP_1) | instskip(NEXT) | instid1(VALU_DEP_2)
	v_cmp_le_u32_e32 vcc_lo, s3, v4
	v_add_nc_u32_e32 v5, 1, v3
	s_delay_alu instid0(VALU_DEP_1)
	v_cndmask_b32_e32 v12, v3, v5, vcc_lo
.LBB42_190:
	s_or_b32 exec_lo, exec_lo, s0
	v_mov_b32_e32 v5, 0
	v_mov_b32_e32 v6, 0
	s_delay_alu instid0(VALU_DEP_2) | instskip(SKIP_1) | instid1(VALU_DEP_2)
	v_mov_b32_e32 v3, v5
	s_mov_b32 s5, exec_lo
	v_mov_b32_e32 v4, v6
	v_cmpx_gt_i64_e64 s[24:25], v[14:15]
	s_cbranch_execz .LBB42_204
; %bb.191:
	s_add_i32 s0, s3, -1
	s_delay_alu instid0(SALU_CYCLE_1) | instskip(SKIP_1) | instid1(VALU_DEP_2)
	v_dual_mov_b32 v5, 0 :: v_dual_and_b32 v14, s0, v0
	v_mov_b32_e32 v6, 0
	v_mov_b32_e32 v3, v5
	s_mov_b32 s6, exec_lo
	s_delay_alu instid0(VALU_DEP_2)
	v_mov_b32_e32 v4, v6
	v_cmpx_lt_i64_e32 0, v[12:13]
	s_cbranch_execz .LBB42_201
; %bb.192:
	v_mov_b32_e32 v3, 0
	v_dual_mov_b32 v4, 0 :: v_dual_mov_b32 v15, 0
	s_mov_b32 s7, exec_lo
	v_mov_b32_e32 v16, 0
	s_delay_alu instid0(VALU_DEP_2)
	v_dual_mov_b32 v6, v4 :: v_dual_mov_b32 v5, v3
	v_cmpx_lt_u64_e32 3, v[12:13]
	s_cbranch_execz .LBB42_196
; %bb.193:
	v_add_nc_u32_e32 v3, v14, v2
	v_dual_mov_b32 v5, 0 :: v_dual_and_b32 v16, 0x7fffffff, v13
	v_dual_mov_b32 v6, 0 :: v_dual_and_b32 v15, -4, v12
	s_delay_alu instid0(VALU_DEP_3)
	v_subrev_nc_u32_e32 v3, s8, v3
	s_lshl_b32 s9, s3, 6
	s_lshl_b32 s12, s3, 4
	s_mov_b64 s[0:1], 0
	s_mov_b32 s13, 0
	v_lshlrev_b32_e32 v17, 4, v3
	v_dual_mov_b32 v3, v5 :: v_dual_mov_b32 v4, v6
	s_set_inst_prefetch_distance 0x1
	.p2align	6
.LBB42_194:                             ; =>This Inner Loop Header: Depth=1
	ds_load_b128 v[19:22], v17
	v_add_nc_u32_e32 v25, s12, v17
	s_add_u32 s0, s0, 4
	s_addc_u32 s1, s1, 0
	s_delay_alu instid0(SALU_CYCLE_1) | instskip(NEXT) | instid1(VALU_DEP_2)
	v_cmp_eq_u64_e32 vcc_lo, s[0:1], v[15:16]
	v_add_nc_u32_e32 v33, s12, v25
	s_or_b32 s13, vcc_lo, s13
	s_delay_alu instid0(VALU_DEP_1)
	v_add_nc_u32_e32 v23, s12, v33
	ds_load_b128 v[27:30], v23
	v_add_nc_u32_e32 v17, s9, v17
	s_waitcnt lgkmcnt(1)
	v_add_f64 v[23:24], v[3:4], v[19:20]
	v_add_f64 v[31:32], v[5:6], v[21:22]
	ds_load_b128 v[3:6], v25
	ds_load_b128 v[19:22], v33
	s_waitcnt lgkmcnt(1)
	v_add_f64 v[3:4], v[23:24], v[3:4]
	v_add_f64 v[5:6], v[31:32], v[5:6]
	s_waitcnt lgkmcnt(0)
	s_delay_alu instid0(VALU_DEP_2) | instskip(NEXT) | instid1(VALU_DEP_2)
	v_add_f64 v[3:4], v[3:4], v[19:20]
	v_add_f64 v[5:6], v[5:6], v[21:22]
	s_delay_alu instid0(VALU_DEP_2) | instskip(NEXT) | instid1(VALU_DEP_2)
	v_add_f64 v[3:4], v[3:4], v[27:28]
	v_add_f64 v[5:6], v[5:6], v[29:30]
	s_and_not1_b32 exec_lo, exec_lo, s13
	s_cbranch_execnz .LBB42_194
; %bb.195:
	s_set_inst_prefetch_distance 0x2
	s_or_b32 exec_lo, exec_lo, s13
.LBB42_196:
	s_delay_alu instid0(SALU_CYCLE_1) | instskip(SKIP_2) | instid1(VALU_DEP_1)
	s_or_b32 exec_lo, exec_lo, s7
	v_dual_mov_b32 v17, 0 :: v_dual_and_b32 v16, 3, v12
	s_mov_b32 s0, exec_lo
	v_cmpx_ne_u64_e32 0, v[16:17]
	s_cbranch_execz .LBB42_200
; %bb.197:
	v_mul_lo_u32 v15, s3, v15
	s_lshl_b32 s7, s3, 4
	s_mov_b32 s1, 0
	s_delay_alu instid0(VALU_DEP_1) | instskip(NEXT) | instid1(VALU_DEP_1)
	v_add3_u32 v2, v14, v15, v2
	v_subrev_nc_u32_e32 v2, s8, v2
	s_delay_alu instid0(VALU_DEP_1)
	v_lshlrev_b32_e32 v2, 4, v2
.LBB42_198:                             ; =>This Inner Loop Header: Depth=1
	ds_load_b128 v[19:22], v2
	v_add_co_u32 v16, vcc_lo, v16, -1
	v_add_co_ci_u32_e32 v17, vcc_lo, -1, v17, vcc_lo
	v_add_nc_u32_e32 v2, s7, v2
	s_delay_alu instid0(VALU_DEP_2)
	v_cmp_eq_u64_e32 vcc_lo, 0, v[16:17]
	s_or_b32 s1, vcc_lo, s1
	s_waitcnt lgkmcnt(0)
	v_add_f64 v[3:4], v[3:4], v[19:20]
	v_add_f64 v[5:6], v[5:6], v[21:22]
	s_and_not1_b32 exec_lo, exec_lo, s1
	s_cbranch_execnz .LBB42_198
; %bb.199:
	s_or_b32 exec_lo, exec_lo, s1
.LBB42_200:
	s_delay_alu instid0(SALU_CYCLE_1)
	s_or_b32 exec_lo, exec_lo, s0
.LBB42_201:
	s_delay_alu instid0(SALU_CYCLE_1) | instskip(SKIP_2) | instid1(VALU_DEP_1)
	s_or_b32 exec_lo, exec_lo, s6
	v_mad_u64_u32 v[16:17], null, v12, s3, v[7:8]
	s_mov_b32 s0, exec_lo
	v_dual_mov_b32 v15, 0 :: v_dual_mov_b32 v2, v17
	s_delay_alu instid0(VALU_DEP_1) | instskip(NEXT) | instid1(VALU_DEP_1)
	v_mad_u64_u32 v[7:8], null, v13, s3, v[2:3]
	v_mov_b32_e32 v2, v7
	s_delay_alu instid0(VALU_DEP_4) | instskip(NEXT) | instid1(VALU_DEP_2)
	v_sub_co_u32 v7, vcc_lo, v9, v16
	v_sub_co_ci_u32_e32 v8, vcc_lo, v18, v2, vcc_lo
	s_delay_alu instid0(VALU_DEP_1)
	v_cmpx_gt_i64_e64 v[7:8], v[14:15]
	s_cbranch_execz .LBB42_203
; %bb.202:
	v_add_lshl_u32 v2, v14, v16, 4
	ds_load_b128 v[12:15], v2
	s_waitcnt lgkmcnt(0)
	v_add_f64 v[3:4], v[3:4], v[12:13]
	v_add_f64 v[5:6], v[5:6], v[14:15]
.LBB42_203:
	s_or_b32 exec_lo, exec_lo, s0
.LBB42_204:
	s_delay_alu instid0(SALU_CYCLE_1)
	s_or_b32 exec_lo, exec_lo, s5
	v_cmp_gt_i64_e32 vcc_lo, s[24:25], v[0:1]
	s_barrier
	buffer_gl0_inv
	ds_store_b128 v26, v[3:6]
	s_waitcnt lgkmcnt(0)
	s_barrier
	buffer_gl0_inv
	s_and_b32 exec_lo, exec_lo, vcc_lo
	s_cbranch_execz .LBB42_216
; %bb.205:
	v_mul_lo_u32 v1, s3, v0
	v_mov_b32_e32 v4, 0
	v_mov_b32_e32 v5, 0
	s_cmp_lt_u32 s3, 8
	s_cbranch_scc1 .LBB42_208
; %bb.206:
	v_mov_b32_e32 v8, 0
	s_delay_alu instid0(VALU_DEP_4) | instskip(NEXT) | instid1(VALU_DEP_2)
	v_dual_mov_b32 v9, 0 :: v_dual_lshlrev_b32 v2, 4, v1
	v_mov_b32_e32 v4, v8
	s_and_b32 s0, s3, 0x7ffffff8
	s_mov_b32 s1, 0
	s_delay_alu instid0(VALU_DEP_2)
	v_mov_b32_e32 v5, v9
.LBB42_207:                             ; =>This Inner Loop Header: Depth=1
	ds_load_b128 v[12:15], v2
	ds_load_b128 v[16:19], v2 offset:16
	s_add_i32 s1, s1, 8
	s_delay_alu instid0(SALU_CYCLE_1) | instskip(SKIP_4) | instid1(VALU_DEP_2)
	s_cmp_eq_u32 s0, s1
	s_waitcnt lgkmcnt(1)
	v_add_f64 v[3:4], v[4:5], v[12:13]
	v_add_f64 v[5:6], v[8:9], v[14:15]
	s_waitcnt lgkmcnt(0)
	v_add_f64 v[7:8], v[3:4], v[16:17]
	s_delay_alu instid0(VALU_DEP_2)
	v_add_f64 v[16:17], v[5:6], v[18:19]
	ds_load_b128 v[3:6], v2 offset:32
	ds_load_b128 v[12:15], v2 offset:48
	s_waitcnt lgkmcnt(1)
	v_add_f64 v[3:4], v[7:8], v[3:4]
	v_add_f64 v[5:6], v[16:17], v[5:6]
	s_waitcnt lgkmcnt(0)
	s_delay_alu instid0(VALU_DEP_2) | instskip(NEXT) | instid1(VALU_DEP_2)
	v_add_f64 v[7:8], v[3:4], v[12:13]
	v_add_f64 v[16:17], v[5:6], v[14:15]
	ds_load_b128 v[3:6], v2 offset:64
	ds_load_b128 v[12:15], v2 offset:80
	s_waitcnt lgkmcnt(1)
	v_add_f64 v[3:4], v[7:8], v[3:4]
	v_add_f64 v[5:6], v[16:17], v[5:6]
	s_waitcnt lgkmcnt(0)
	s_delay_alu instid0(VALU_DEP_2) | instskip(NEXT) | instid1(VALU_DEP_2)
	v_add_f64 v[7:8], v[3:4], v[12:13]
	v_add_f64 v[16:17], v[5:6], v[14:15]
	ds_load_b128 v[3:6], v2 offset:96
	ds_load_b128 v[12:15], v2 offset:112
	v_add_nc_u32_e32 v2, 0x80, v2
	s_waitcnt lgkmcnt(1)
	v_add_f64 v[3:4], v[7:8], v[3:4]
	v_add_f64 v[6:7], v[16:17], v[5:6]
	s_waitcnt lgkmcnt(0)
	s_delay_alu instid0(VALU_DEP_2) | instskip(NEXT) | instid1(VALU_DEP_2)
	v_add_f64 v[4:5], v[3:4], v[12:13]
	v_add_f64 v[8:9], v[6:7], v[14:15]
	s_cbranch_scc0 .LBB42_207
	s_branch .LBB42_209
.LBB42_208:
	s_delay_alu instid0(VALU_DEP_1)
	v_dual_mov_b32 v9, v5 :: v_dual_mov_b32 v8, v4
	s_mov_b32 s0, 0
.LBB42_209:
	s_bfe_u32 s1, s2, 0x30001
	s_delay_alu instid0(SALU_CYCLE_1)
	s_cmp_eq_u32 s1, 0
	s_cbranch_scc1 .LBB42_212
; %bb.210:
	v_add_lshl_u32 v1, s0, v1, 4
.LBB42_211:                             ; =>This Inner Loop Header: Depth=1
	ds_load_b128 v[12:15], v1
	v_add_nc_u32_e32 v1, 16, v1
	s_add_i32 s1, s1, -1
	s_delay_alu instid0(SALU_CYCLE_1)
	s_cmp_lg_u32 s1, 0
	s_waitcnt lgkmcnt(0)
	v_add_f64 v[4:5], v[4:5], v[12:13]
	v_add_f64 v[8:9], v[8:9], v[14:15]
	s_cbranch_scc1 .LBB42_211
.LBB42_212:
	v_lshlrev_b64 v[1:2], 4, v[10:11]
	v_lshlrev_b32_e32 v0, 4, v0
	s_lshl_b32 s0, s4, 4
	s_delay_alu instid0(VALU_DEP_1) | instid1(SALU_CYCLE_1)
	v_add3_u32 v0, 0x4000, s0, v0
	s_delay_alu instid0(VALU_DEP_3) | instskip(NEXT) | instid1(VALU_DEP_4)
	v_add_co_u32 v10, vcc_lo, s10, v1
	v_add_co_ci_u32_e32 v11, vcc_lo, s11, v2, vcc_lo
	ds_load_2addr_b64 v[0:3], v0 offset1:1
	s_mov_b32 s0, 0
	global_load_b64 v[6:7], v[10:11], off
	s_waitcnt lgkmcnt(0)
	v_add_f64 v[0:1], v[4:5], v[0:1]
.LBB42_213:                             ; =>This Inner Loop Header: Depth=1
	s_waitcnt vmcnt(0)
	s_delay_alu instid0(VALU_DEP_1)
	v_add_f64 v[4:5], v[6:7], v[0:1]
	global_atomic_cmpswap_b64 v[4:5], v[10:11], v[4:7], off glc
	s_waitcnt vmcnt(0)
	v_cmp_eq_u64_e32 vcc_lo, v[4:5], v[6:7]
	v_dual_mov_b32 v7, v5 :: v_dual_mov_b32 v6, v4
	s_or_b32 s0, vcc_lo, s0
	s_delay_alu instid0(SALU_CYCLE_1)
	s_and_not1_b32 exec_lo, exec_lo, s0
	s_cbranch_execnz .LBB42_213
; %bb.214:
	s_or_b32 exec_lo, exec_lo, s0
	global_load_b64 v[4:5], v[10:11], off offset:8
	v_add_f64 v[0:1], v[8:9], v[2:3]
	s_mov_b32 s0, 0
.LBB42_215:                             ; =>This Inner Loop Header: Depth=1
	s_waitcnt vmcnt(0)
	s_delay_alu instid0(VALU_DEP_1)
	v_add_f64 v[2:3], v[4:5], v[0:1]
	global_atomic_cmpswap_b64 v[2:3], v[10:11], v[2:5], off offset:8 glc
	s_waitcnt vmcnt(0)
	v_cmp_eq_u64_e32 vcc_lo, v[2:3], v[4:5]
	v_dual_mov_b32 v5, v3 :: v_dual_mov_b32 v4, v2
	s_or_b32 s0, vcc_lo, s0
	s_delay_alu instid0(SALU_CYCLE_1)
	s_and_not1_b32 exec_lo, exec_lo, s0
	s_cbranch_execnz .LBB42_215
.LBB42_216:
	s_endpgm
	.section	.rodata,"a",@progbits
	.p2align	6, 0x0
	.amdhsa_kernel _ZN9rocsparseL27csrmvn_symm_adaptive_kernelIll21rocsparse_complex_numIdES2_S2_S2_EEvbT_S3_PKS3_NS_24const_host_device_scalarIT4_EES5_PKT0_PKT1_PKT2_S8_PT3_21rocsparse_index_base_b
		.amdhsa_group_segment_fixed_size 16384
		.amdhsa_private_segment_fixed_size 24
		.amdhsa_kernarg_size 368
		.amdhsa_user_sgpr_count 15
		.amdhsa_user_sgpr_dispatch_ptr 0
		.amdhsa_user_sgpr_queue_ptr 0
		.amdhsa_user_sgpr_kernarg_segment_ptr 1
		.amdhsa_user_sgpr_dispatch_id 0
		.amdhsa_user_sgpr_private_segment_size 0
		.amdhsa_wavefront_size32 1
		.amdhsa_uses_dynamic_stack 0
		.amdhsa_enable_private_segment 1
		.amdhsa_system_sgpr_workgroup_id_x 1
		.amdhsa_system_sgpr_workgroup_id_y 0
		.amdhsa_system_sgpr_workgroup_id_z 0
		.amdhsa_system_sgpr_workgroup_info 0
		.amdhsa_system_vgpr_workitem_id 0
		.amdhsa_next_free_vgpr 41
		.amdhsa_next_free_sgpr 43
		.amdhsa_reserve_vcc 1
		.amdhsa_float_round_mode_32 0
		.amdhsa_float_round_mode_16_64 0
		.amdhsa_float_denorm_mode_32 3
		.amdhsa_float_denorm_mode_16_64 3
		.amdhsa_dx10_clamp 1
		.amdhsa_ieee_mode 1
		.amdhsa_fp16_overflow 0
		.amdhsa_workgroup_processor_mode 1
		.amdhsa_memory_ordered 1
		.amdhsa_forward_progress 0
		.amdhsa_shared_vgpr_count 0
		.amdhsa_exception_fp_ieee_invalid_op 0
		.amdhsa_exception_fp_denorm_src 0
		.amdhsa_exception_fp_ieee_div_zero 0
		.amdhsa_exception_fp_ieee_overflow 0
		.amdhsa_exception_fp_ieee_underflow 0
		.amdhsa_exception_fp_ieee_inexact 0
		.amdhsa_exception_int_div_zero 0
	.end_amdhsa_kernel
	.section	.text._ZN9rocsparseL27csrmvn_symm_adaptive_kernelIll21rocsparse_complex_numIdES2_S2_S2_EEvbT_S3_PKS3_NS_24const_host_device_scalarIT4_EES5_PKT0_PKT1_PKT2_S8_PT3_21rocsparse_index_base_b,"axG",@progbits,_ZN9rocsparseL27csrmvn_symm_adaptive_kernelIll21rocsparse_complex_numIdES2_S2_S2_EEvbT_S3_PKS3_NS_24const_host_device_scalarIT4_EES5_PKT0_PKT1_PKT2_S8_PT3_21rocsparse_index_base_b,comdat
.Lfunc_end42:
	.size	_ZN9rocsparseL27csrmvn_symm_adaptive_kernelIll21rocsparse_complex_numIdES2_S2_S2_EEvbT_S3_PKS3_NS_24const_host_device_scalarIT4_EES5_PKT0_PKT1_PKT2_S8_PT3_21rocsparse_index_base_b, .Lfunc_end42-_ZN9rocsparseL27csrmvn_symm_adaptive_kernelIll21rocsparse_complex_numIdES2_S2_S2_EEvbT_S3_PKS3_NS_24const_host_device_scalarIT4_EES5_PKT0_PKT1_PKT2_S8_PT3_21rocsparse_index_base_b
                                        ; -- End function
	.section	.AMDGPU.csdata,"",@progbits
; Kernel info:
; codeLenInByte = 12916
; NumSgprs: 45
; NumVgprs: 41
; ScratchSize: 24
; MemoryBound: 0
; FloatMode: 240
; IeeeMode: 1
; LDSByteSize: 16384 bytes/workgroup (compile time only)
; SGPRBlocks: 5
; VGPRBlocks: 5
; NumSGPRsForWavesPerEU: 45
; NumVGPRsForWavesPerEU: 41
; Occupancy: 16
; WaveLimiterHint : 1
; COMPUTE_PGM_RSRC2:SCRATCH_EN: 1
; COMPUTE_PGM_RSRC2:USER_SGPR: 15
; COMPUTE_PGM_RSRC2:TRAP_HANDLER: 0
; COMPUTE_PGM_RSRC2:TGID_X_EN: 1
; COMPUTE_PGM_RSRC2:TGID_Y_EN: 0
; COMPUTE_PGM_RSRC2:TGID_Z_EN: 0
; COMPUTE_PGM_RSRC2:TIDIG_COMP_CNT: 0
	.section	.text._ZL33csrmvn_symm_large_adaptive_kernelIll21rocsparse_complex_numIdES1_S1_S1_EvbT_PKS2_N9rocsparse24const_host_device_scalarIT4_EES4_PKT0_PKT1_PKT2_S8_PT3_21rocsparse_index_base_b,"axG",@progbits,_ZL33csrmvn_symm_large_adaptive_kernelIll21rocsparse_complex_numIdES1_S1_S1_EvbT_PKS2_N9rocsparse24const_host_device_scalarIT4_EES4_PKT0_PKT1_PKT2_S8_PT3_21rocsparse_index_base_b,comdat
	.globl	_ZL33csrmvn_symm_large_adaptive_kernelIll21rocsparse_complex_numIdES1_S1_S1_EvbT_PKS2_N9rocsparse24const_host_device_scalarIT4_EES4_PKT0_PKT1_PKT2_S8_PT3_21rocsparse_index_base_b ; -- Begin function _ZL33csrmvn_symm_large_adaptive_kernelIll21rocsparse_complex_numIdES1_S1_S1_EvbT_PKS2_N9rocsparse24const_host_device_scalarIT4_EES4_PKT0_PKT1_PKT2_S8_PT3_21rocsparse_index_base_b
	.p2align	8
	.type	_ZL33csrmvn_symm_large_adaptive_kernelIll21rocsparse_complex_numIdES1_S1_S1_EvbT_PKS2_N9rocsparse24const_host_device_scalarIT4_EES4_PKT0_PKT1_PKT2_S8_PT3_21rocsparse_index_base_b,@function
_ZL33csrmvn_symm_large_adaptive_kernelIll21rocsparse_complex_numIdES1_S1_S1_EvbT_PKS2_N9rocsparse24const_host_device_scalarIT4_EES4_PKT0_PKT1_PKT2_S8_PT3_21rocsparse_index_base_b: ; @_ZL33csrmvn_symm_large_adaptive_kernelIll21rocsparse_complex_numIdES1_S1_S1_EvbT_PKS2_N9rocsparse24const_host_device_scalarIT4_EES4_PKT0_PKT1_PKT2_S8_PT3_21rocsparse_index_base_b
; %bb.0:
	s_clause 0x2
	s_load_b64 s[20:21], s[0:1], 0x60
	s_load_b128 s[8:11], s[0:1], 0x18
	s_load_b128 s[4:7], s[0:1], 0x48
	s_mov_b64 s[2:3], src_private_base
	v_mov_b32_e32 v1, 0
	s_mov_b32 s12, s15
	s_waitcnt lgkmcnt(0)
	s_bitcmp1_b32 s21, 0
	v_dual_mov_b32 v3, s8 :: v_dual_mov_b32 v6, s5
	s_cselect_b32 s2, -1, 0
	v_mov_b32_e32 v4, s9
	s_and_b32 vcc_lo, s2, exec_lo
	s_cselect_b32 s13, s3, s9
	v_cndmask_b32_e64 v1, s8, v1, s2
	v_dual_mov_b32 v5, s4 :: v_dual_mov_b32 v2, s13
	s_clause 0x1
	scratch_store_b64 off, v[3:4], off
	scratch_store_b64 off, v[5:6], off offset:8
	v_dual_mov_b32 v10, s10 :: v_dual_mov_b32 v11, s11
	flat_load_b64 v[8:9], v[1:2]
	s_xor_b32 s10, s2, -1
	s_cbranch_vccnz .LBB43_2
; %bb.1:
	v_dual_mov_b32 v1, s8 :: v_dual_mov_b32 v2, s9
	flat_load_b64 v[10:11], v[1:2] offset:8
.LBB43_2:
	s_and_b32 s8, s2, exec_lo
	s_cselect_b32 s3, s3, s5
	s_delay_alu instid0(SALU_CYCLE_1) | instskip(SKIP_2) | instid1(VALU_DEP_2)
	v_dual_mov_b32 v1, 8 :: v_dual_mov_b32 v2, s3
	v_dual_mov_b32 v3, s6 :: v_dual_mov_b32 v4, s7
	s_and_not1_b32 vcc_lo, exec_lo, s10
	v_cndmask_b32_e64 v1, s4, v1, s2
	flat_load_b64 v[1:2], v[1:2]
	s_cbranch_vccnz .LBB43_4
; %bb.3:
	v_dual_mov_b32 v3, s4 :: v_dual_mov_b32 v4, s5
	flat_load_b64 v[3:4], v[3:4] offset:8
.LBB43_4:
	s_waitcnt vmcnt(1) lgkmcnt(1)
	v_cmp_eq_f64_e32 vcc_lo, 0, v[8:9]
	v_cmp_eq_f64_e64 s2, 0, v[10:11]
	s_delay_alu instid0(VALU_DEP_1)
	s_and_b32 s4, vcc_lo, s2
	s_mov_b32 s2, -1
	s_and_saveexec_b32 s3, s4
	s_cbranch_execz .LBB43_6
; %bb.5:
	s_waitcnt vmcnt(0) lgkmcnt(0)
	v_cmp_neq_f64_e32 vcc_lo, 1.0, v[1:2]
	v_cmp_neq_f64_e64 s2, 0, v[3:4]
	s_delay_alu instid0(VALU_DEP_1) | instskip(NEXT) | instid1(SALU_CYCLE_1)
	s_or_b32 s2, vcc_lo, s2
	s_or_not1_b32 s2, s2, exec_lo
.LBB43_6:
	s_or_b32 exec_lo, exec_lo, s3
	s_and_saveexec_b32 s3, s2
	s_cbranch_execz .LBB43_51
; %bb.7:
	s_clause 0x1
	s_load_b32 s2, s[0:1], 0x0
	s_load_b64 s[8:9], s[0:1], 0x10
	s_mov_b32 s4, 0
	s_delay_alu instid0(SALU_CYCLE_1)
	s_mov_b32 s5, s4
	s_mov_b32 s6, s4
	;; [unrolled: 1-line block ×3, first 2 shown]
	s_waitcnt vmcnt(0) lgkmcnt(0)
	v_dual_mov_b32 v1, s4 :: v_dual_lshlrev_b32 v14, 4, v0
	v_dual_mov_b32 v2, s5 :: v_dual_mov_b32 v3, s6
	v_mov_b32_e32 v4, s7
	ds_store_b128 v14, v[1:4]
	ds_store_b128 v14, v[1:4] offset:4096
	ds_store_b128 v14, v[1:4] offset:8192
	;; [unrolled: 1-line block ×3, first 2 shown]
	s_waitcnt lgkmcnt(0)
	s_waitcnt_vscnt null, 0x0
	s_barrier
	s_bitcmp1_b32 s2, 0
	buffer_gl0_inv
	s_cselect_b32 s2, -1, 0
	s_ashr_i32 s13, s12, 31
	s_delay_alu instid0(SALU_CYCLE_1) | instskip(NEXT) | instid1(SALU_CYCLE_1)
	s_lshl_b64 s[6:7], s[12:13], 3
	s_add_u32 s6, s8, s6
	s_addc_u32 s7, s9, s7
	s_load_b128 s[16:19], s[6:7], 0x0
	s_clause 0x1
	s_load_b64 s[22:23], s[0:1], 0x58
	s_load_b256 s[8:15], s[0:1], 0x28
	v_sub_co_u32 v15, s1, v0, s20
	s_delay_alu instid0(VALU_DEP_1) | instskip(SKIP_2) | instid1(VALU_DEP_1)
	v_sub_co_ci_u32_e64 v16, null, 0, 0, s1
	s_waitcnt lgkmcnt(0)
	v_cmp_lt_i64_e64 s0, s[16:17], s[18:19]
	s_and_b32 vcc_lo, exec_lo, s0
	s_cbranch_vccnz .LBB43_9
; %bb.8:
	s_lshl_b64 s[0:1], s[16:17], 3
	s_delay_alu instid0(SALU_CYCLE_1)
	s_add_u32 s0, s8, s0
	s_addc_u32 s1, s9, s1
	s_load_b64 s[24:25], s[0:1], 0x0
	s_and_not1_b32 vcc_lo, exec_lo, s4
	s_cbranch_vccz .LBB43_10
	s_branch .LBB43_39
.LBB43_9:
                                        ; implicit-def: $sgpr24_sgpr25
.LBB43_10:
	s_lshl_b64 s[0:1], s[16:17], 3
	v_cmp_gt_u32_e64 s3, 16, v0
	s_add_u32 s0, s8, s0
	s_addc_u32 s1, s9, s1
	v_cmp_gt_u32_e64 s4, 4, v0
	s_waitcnt lgkmcnt(0)
	s_load_b64 s[24:25], s[0:1], 0x0
	v_cmp_gt_u32_e64 s0, 0x100, v0
	v_cmp_gt_u32_e64 s1, 64, v0
	v_cmp_eq_u32_e64 s5, 0, v0
	v_mov_b32_e32 v17, 0
	s_add_u32 s21, s8, 8
	s_addc_u32 s33, s9, 0
	s_add_u32 s34, s12, 8
	s_addc_u32 s35, s13, 0
	s_mov_b64 s[26:27], s[16:17]
	s_waitcnt lgkmcnt(0)
	s_mov_b64 s[28:29], s[24:25]
	s_branch .LBB43_12
.LBB43_11:                              ;   in Loop: Header=BB43_12 Depth=1
	s_or_b32 exec_lo, exec_lo, s30
	s_add_u32 s26, s26, 1
	s_addc_u32 s27, s27, 0
	s_delay_alu instid0(SALU_CYCLE_1) | instskip(NEXT) | instid1(VALU_DEP_1)
	v_cmp_ge_i64_e64 s6, s[26:27], s[18:19]
	s_and_b32 vcc_lo, exec_lo, s6
	s_cbranch_vccnz .LBB43_39
.LBB43_12:                              ; =>This Loop Header: Depth=1
                                        ;     Child Loop BB43_14 Depth 2
                                        ;     Child Loop BB43_28 Depth 2
	;; [unrolled: 1-line block ×5, first 2 shown]
	s_lshl_b64 s[6:7], s[26:27], 3
	s_mov_b64 s[30:31], s[28:29]
	s_add_u32 s6, s21, s6
	s_addc_u32 s7, s33, s7
	v_mov_b32_e32 v2, 0
	s_load_b64 s[28:29], s[6:7], 0x0
	v_mov_b32_e32 v3, 0
	v_add_co_u32 v4, vcc_lo, s30, v15
	v_add_co_ci_u32_e32 v5, vcc_lo, s31, v16, vcc_lo
	s_delay_alu instid0(VALU_DEP_3) | instskip(SKIP_4) | instid1(SALU_CYCLE_1)
	v_dual_mov_b32 v0, v2 :: v_dual_mov_b32 v1, v3
	s_mov_b32 s7, exec_lo
	s_waitcnt lgkmcnt(0)
	s_sub_u32 s30, s28, s20
	s_subb_u32 s31, s29, 0
	v_cmpx_gt_i64_e64 s[30:31], v[4:5]
	s_cbranch_execz .LBB43_16
; %bb.13:                               ;   in Loop: Header=BB43_12 Depth=1
	v_lshlrev_b64 v[0:1], 3, v[4:5]
	v_lshlrev_b64 v[12:13], 4, v[4:5]
	v_mov_b32_e32 v2, 0
	v_mov_b32_e32 v3, 0
	s_mov_b32 s36, 0
	s_delay_alu instid0(VALU_DEP_4)
	v_add_co_u32 v6, vcc_lo, s10, v0
	v_add_co_ci_u32_e32 v7, vcc_lo, s11, v1, vcc_lo
	v_add_co_u32 v12, vcc_lo, s34, v12
	v_add_co_ci_u32_e32 v13, vcc_lo, s35, v13, vcc_lo
	v_dual_mov_b32 v0, v2 :: v_dual_mov_b32 v1, v3
	s_set_inst_prefetch_distance 0x1
	.p2align	6
.LBB43_14:                              ;   Parent Loop BB43_12 Depth=1
                                        ; =>  This Inner Loop Header: Depth=2
	global_load_b64 v[18:19], v[6:7], off
	s_waitcnt vmcnt(0)
	v_sub_co_u32 v18, vcc_lo, v18, s20
	v_subrev_co_ci_u32_e32 v19, vcc_lo, 0, v19, vcc_lo
	s_delay_alu instid0(VALU_DEP_1) | instskip(SKIP_2) | instid1(VALU_DEP_1)
	v_lshlrev_b64 v[22:23], 4, v[18:19]
	global_load_b128 v[18:21], v[12:13], off offset:-8
	v_add_co_u32 v12, s6, 0x1000, v12
	v_add_co_ci_u32_e64 v13, s6, 0, v13, s6
	v_add_co_u32 v22, vcc_lo, s14, v22
	v_add_co_ci_u32_e32 v23, vcc_lo, s15, v23, vcc_lo
	v_add_co_u32 v4, vcc_lo, 0x100, v4
	v_add_co_ci_u32_e32 v5, vcc_lo, 0, v5, vcc_lo
	global_load_b128 v[22:25], v[22:23], off
	v_add_co_u32 v6, vcc_lo, 0x800, v6
	v_add_co_ci_u32_e32 v7, vcc_lo, 0, v7, vcc_lo
	v_cmp_le_i64_e32 vcc_lo, s[30:31], v[4:5]
	s_or_b32 s36, vcc_lo, s36
	s_waitcnt vmcnt(1)
	v_xor_b32_e32 v26, 0x80000000, v21
	s_delay_alu instid0(VALU_DEP_1) | instskip(SKIP_2) | instid1(VALU_DEP_2)
	v_cndmask_b32_e64 v21, v21, v26, s2
	s_waitcnt vmcnt(0)
	v_fma_f64 v[0:1], v[18:19], v[22:23], v[0:1]
	v_fma_f64 v[2:3], v[20:21], v[22:23], v[2:3]
	s_delay_alu instid0(VALU_DEP_2) | instskip(NEXT) | instid1(VALU_DEP_2)
	v_fma_f64 v[0:1], -v[20:21], v[24:25], v[0:1]
	v_fma_f64 v[2:3], v[18:19], v[24:25], v[2:3]
	s_and_not1_b32 exec_lo, exec_lo, s36
	s_cbranch_execnz .LBB43_14
; %bb.15:                               ;   in Loop: Header=BB43_12 Depth=1
	s_set_inst_prefetch_distance 0x2
	s_or_b32 exec_lo, exec_lo, s36
.LBB43_16:                              ;   in Loop: Header=BB43_12 Depth=1
	s_delay_alu instid0(SALU_CYCLE_1)
	s_or_b32 exec_lo, exec_lo, s7
	ds_store_b128 v14, v[0:3]
	s_waitcnt lgkmcnt(0)
	s_barrier
	buffer_gl0_inv
	s_and_saveexec_b32 s6, s0
	s_cbranch_execz .LBB43_18
; %bb.17:                               ;   in Loop: Header=BB43_12 Depth=1
	ds_load_b128 v[0:3], v14 offset:4096
	ds_load_b128 v[4:7], v14 offset:8192
	ds_load_b128 v[18:21], v14 offset:12288
	ds_load_b128 v[22:25], v14
	s_waitcnt lgkmcnt(2)
	v_add_f64 v[0:1], v[4:5], v[0:1]
	v_add_f64 v[2:3], v[6:7], v[2:3]
	s_waitcnt lgkmcnt(1)
	s_delay_alu instid0(VALU_DEP_2) | instskip(NEXT) | instid1(VALU_DEP_2)
	v_add_f64 v[0:1], v[0:1], v[18:19]
	v_add_f64 v[2:3], v[2:3], v[20:21]
	s_waitcnt lgkmcnt(0)
	s_delay_alu instid0(VALU_DEP_2) | instskip(NEXT) | instid1(VALU_DEP_2)
	v_add_f64 v[0:1], v[0:1], v[22:23]
	v_add_f64 v[2:3], v[2:3], v[24:25]
	ds_store_b128 v14, v[0:3]
.LBB43_18:                              ;   in Loop: Header=BB43_12 Depth=1
	s_or_b32 exec_lo, exec_lo, s6
	s_waitcnt lgkmcnt(0)
	s_barrier
	buffer_gl0_inv
	s_and_saveexec_b32 s6, s1
	s_cbranch_execz .LBB43_20
; %bb.19:                               ;   in Loop: Header=BB43_12 Depth=1
	ds_load_b128 v[0:3], v14 offset:1024
	ds_load_b128 v[4:7], v14 offset:2048
	ds_load_b128 v[18:21], v14 offset:3072
	ds_load_b128 v[22:25], v14
	s_waitcnt lgkmcnt(2)
	v_add_f64 v[0:1], v[4:5], v[0:1]
	v_add_f64 v[2:3], v[6:7], v[2:3]
	s_waitcnt lgkmcnt(1)
	s_delay_alu instid0(VALU_DEP_2) | instskip(NEXT) | instid1(VALU_DEP_2)
	v_add_f64 v[0:1], v[0:1], v[18:19]
	v_add_f64 v[2:3], v[2:3], v[20:21]
	s_waitcnt lgkmcnt(0)
	s_delay_alu instid0(VALU_DEP_2) | instskip(NEXT) | instid1(VALU_DEP_2)
	v_add_f64 v[0:1], v[0:1], v[22:23]
	v_add_f64 v[2:3], v[2:3], v[24:25]
	ds_store_b128 v14, v[0:3]
.LBB43_20:                              ;   in Loop: Header=BB43_12 Depth=1
	s_or_b32 exec_lo, exec_lo, s6
	;; [unrolled: 24-line block ×5, first 2 shown]
	s_waitcnt lgkmcnt(0)
	s_barrier
	buffer_gl0_inv
	s_and_saveexec_b32 s30, s5
	s_cbranch_execz .LBB43_11
; %bb.27:                               ;   in Loop: Header=BB43_12 Depth=1
	ds_load_b128 v[0:3], v17
	v_mov_b32_e32 v12, 0
	v_bfrev_b32_e32 v13, 1
	s_mov_b32 s6, exec_lo
	s_waitcnt lgkmcnt(0)
	v_mul_f64 v[4:5], v[2:3], -v[10:11]
	s_delay_alu instid0(VALU_DEP_1)
	v_fma_f64 v[4:5], v[8:9], v[0:1], v[4:5]
.LBB43_28:                              ;   Parent Loop BB43_12 Depth=1
                                        ; =>  This Inner Loop Header: Depth=2
	s_ctz_i32_b32 s7, s6
	s_delay_alu instid0(VALU_DEP_1) | instid1(SALU_CYCLE_1)
	v_readlane_b32 s37, v5, s7
	s_delay_alu instid0(VALU_DEP_2) | instskip(SKIP_1) | instid1(SALU_CYCLE_1)
	v_readlane_b32 s36, v4, s7
	s_lshl_b32 s7, 1, s7
	s_and_not1_b32 s6, s6, s7
	s_delay_alu instid0(VALU_DEP_1)
	v_add_f64 v[12:13], v[12:13], s[36:37]
	s_cmp_lg_u32 s6, 0
	s_cbranch_scc1 .LBB43_28
; %bb.29:                               ;   in Loop: Header=BB43_12 Depth=1
	v_mbcnt_lo_u32_b32 v4, exec_lo, 0
	s_lshl_b64 s[6:7], s[26:27], 4
	s_mov_b32 s31, exec_lo
	s_add_u32 s6, s22, s6
	s_addc_u32 s7, s23, s7
	v_cmpx_eq_u32_e32 0, v4
	s_xor_b32 s31, exec_lo, s31
	s_cbranch_execz .LBB43_33
; %bb.30:                               ;   in Loop: Header=BB43_12 Depth=1
	global_load_b64 v[6:7], v17, s[6:7]
	s_mov_b32 s36, 0
.LBB43_31:                              ;   Parent Loop BB43_12 Depth=1
                                        ; =>  This Inner Loop Header: Depth=2
	s_waitcnt vmcnt(0)
	v_add_f64 v[4:5], v[6:7], v[12:13]
	global_atomic_cmpswap_b64 v[4:5], v17, v[4:7], s[6:7] glc
	s_waitcnt vmcnt(0)
	v_cmp_eq_u64_e32 vcc_lo, v[4:5], v[6:7]
	v_dual_mov_b32 v7, v5 :: v_dual_mov_b32 v6, v4
	s_or_b32 s36, vcc_lo, s36
	s_delay_alu instid0(SALU_CYCLE_1)
	s_and_not1_b32 exec_lo, exec_lo, s36
	s_cbranch_execnz .LBB43_31
; %bb.32:                               ;   in Loop: Header=BB43_12 Depth=1
	s_or_b32 exec_lo, exec_lo, s36
.LBB43_33:                              ;   in Loop: Header=BB43_12 Depth=1
	s_delay_alu instid0(SALU_CYCLE_1) | instskip(SKIP_4) | instid1(VALU_DEP_3)
	s_or_b32 exec_lo, exec_lo, s31
	v_mul_f64 v[2:3], v[8:9], v[2:3]
	v_mov_b32_e32 v4, 0
	v_bfrev_b32_e32 v5, 1
	s_mov_b32 s31, exec_lo
	v_fma_f64 v[0:1], v[10:11], v[0:1], v[2:3]
.LBB43_34:                              ;   Parent Loop BB43_12 Depth=1
                                        ; =>  This Inner Loop Header: Depth=2
	s_ctz_i32_b32 s38, s31
	s_delay_alu instid0(VALU_DEP_1) | instid1(SALU_CYCLE_1)
	v_readlane_b32 s37, v1, s38
	s_delay_alu instid0(VALU_DEP_2) | instskip(NEXT) | instid1(VALU_DEP_1)
	v_readlane_b32 s36, v0, s38
	v_add_f64 v[4:5], v[4:5], s[36:37]
	s_lshl_b32 s36, 1, s38
	s_delay_alu instid0(SALU_CYCLE_1) | instskip(NEXT) | instid1(SALU_CYCLE_1)
	s_and_not1_b32 s31, s31, s36
	s_cmp_lg_u32 s31, 0
	s_cbranch_scc1 .LBB43_34
; %bb.35:                               ;   in Loop: Header=BB43_12 Depth=1
	v_mbcnt_lo_u32_b32 v0, exec_lo, 0
	s_mov_b32 s31, exec_lo
	s_delay_alu instid0(VALU_DEP_1)
	v_cmpx_eq_u32_e32 0, v0
	s_xor_b32 s31, exec_lo, s31
	s_cbranch_execz .LBB43_11
; %bb.36:                               ;   in Loop: Header=BB43_12 Depth=1
	global_load_b64 v[2:3], v17, s[6:7] offset:8
	s_mov_b32 s31, 0
.LBB43_37:                              ;   Parent Loop BB43_12 Depth=1
                                        ; =>  This Inner Loop Header: Depth=2
	s_waitcnt vmcnt(0)
	v_add_f64 v[0:1], v[2:3], v[4:5]
	global_atomic_cmpswap_b64 v[0:1], v17, v[0:3], s[6:7] offset:8 glc
	s_waitcnt vmcnt(0)
	v_cmp_eq_u64_e32 vcc_lo, v[0:1], v[2:3]
	v_dual_mov_b32 v3, v1 :: v_dual_mov_b32 v2, v0
	s_or_b32 s31, vcc_lo, s31
	s_delay_alu instid0(SALU_CYCLE_1)
	s_and_not1_b32 exec_lo, exec_lo, s31
	s_cbranch_execnz .LBB43_37
; %bb.38:                               ;   in Loop: Header=BB43_12 Depth=1
	s_or_b32 exec_lo, exec_lo, s31
	s_branch .LBB43_11
.LBB43_39:
	s_lshl_b64 s[0:1], s[18:19], 3
	s_waitcnt lgkmcnt(0)
	v_add_co_u32 v12, vcc_lo, s24, v15
	s_add_u32 s0, s8, s0
	s_addc_u32 s1, s9, s1
	v_add_co_ci_u32_e32 v13, vcc_lo, s25, v16, vcc_lo
	s_load_b64 s[0:1], s[0:1], 0x0
	s_waitcnt lgkmcnt(0)
	s_sub_u32 s4, s0, s20
	s_subb_u32 s5, s1, 0
	s_delay_alu instid0(SALU_CYCLE_1)
	v_cmp_gt_i64_e32 vcc_lo, s[4:5], v[12:13]
	s_and_b32 exec_lo, exec_lo, vcc_lo
	s_cbranch_execz .LBB43_51
; %bb.40:
	s_add_u32 s6, s18, -1
	s_addc_u32 s7, s19, -1
	s_add_u32 s0, s18, -2
	v_cmp_gt_i64_e64 s3, s[6:7], s[16:17]
	s_addc_u32 s1, s19, -1
	s_delay_alu instid0(SALU_CYCLE_1)
	s_cmp_lg_u64 s[0:1], s[16:17]
	s_cselect_b32 s0, -1, 0
	s_delay_alu instid0(VALU_DEP_1) | instid1(SALU_CYCLE_1)
	s_and_b32 s1, s3, s0
	s_mov_b32 s3, 0
	s_branch .LBB43_42
.LBB43_41:                              ;   in Loop: Header=BB43_42 Depth=1
	s_or_b32 exec_lo, exec_lo, s0
	v_add_co_u32 v12, vcc_lo, 0x100, v12
	v_add_co_ci_u32_e32 v13, vcc_lo, 0, v13, vcc_lo
	s_delay_alu instid0(VALU_DEP_1) | instskip(SKIP_1) | instid1(SALU_CYCLE_1)
	v_cmp_le_i64_e32 vcc_lo, s[4:5], v[12:13]
	s_or_b32 s3, vcc_lo, s3
	s_and_not1_b32 exec_lo, exec_lo, s3
	s_cbranch_execz .LBB43_51
.LBB43_42:                              ; =>This Loop Header: Depth=1
                                        ;     Child Loop BB43_44 Depth 2
                                        ;     Child Loop BB43_48 Depth 2
	;; [unrolled: 1-line block ×3, first 2 shown]
	v_dual_mov_b32 v0, s16 :: v_dual_mov_b32 v1, s17
	v_dual_mov_b32 v2, s6 :: v_dual_mov_b32 v3, s7
	s_and_not1_b32 vcc_lo, exec_lo, s1
	s_cbranch_vccnz .LBB43_46
; %bb.43:                               ;   in Loop: Header=BB43_42 Depth=1
	v_dual_mov_b32 v0, s16 :: v_dual_mov_b32 v1, s17
	v_dual_mov_b32 v2, s6 :: v_dual_mov_b32 v3, s7
	s_mov_b32 s18, 0
	s_set_inst_prefetch_distance 0x1
	.p2align	6
.LBB43_44:                              ;   Parent Loop BB43_42 Depth=1
                                        ; =>  This Inner Loop Header: Depth=2
	s_delay_alu instid0(VALU_DEP_1) | instskip(NEXT) | instid1(VALU_DEP_2)
	v_add_co_u32 v4, vcc_lo, v2, v0
	v_add_co_ci_u32_e32 v5, vcc_lo, v3, v1, vcc_lo
	s_delay_alu instid0(VALU_DEP_1) | instskip(NEXT) | instid1(VALU_DEP_1)
	v_lshrrev_b32_e32 v6, 31, v5
	v_add_co_u32 v4, vcc_lo, v4, v6
	v_add_co_ci_u32_e32 v5, vcc_lo, 0, v5, vcc_lo
	s_delay_alu instid0(VALU_DEP_1) | instskip(NEXT) | instid1(VALU_DEP_1)
	v_ashrrev_i64 v[4:5], 1, v[4:5]
	v_lshlrev_b64 v[6:7], 3, v[4:5]
	s_delay_alu instid0(VALU_DEP_1) | instskip(NEXT) | instid1(VALU_DEP_2)
	v_add_co_u32 v6, vcc_lo, s8, v6
	v_add_co_ci_u32_e32 v7, vcc_lo, s9, v7, vcc_lo
	global_load_b64 v[6:7], v[6:7], off
	s_waitcnt vmcnt(0)
	v_sub_co_u32 v6, vcc_lo, v6, s20
	v_subrev_co_ci_u32_e32 v7, vcc_lo, 0, v7, vcc_lo
	s_delay_alu instid0(VALU_DEP_1) | instskip(SKIP_2) | instid1(VALU_DEP_2)
	v_cmp_gt_i64_e32 vcc_lo, v[6:7], v[12:13]
	v_dual_cndmask_b32 v3, v3, v5 :: v_dual_cndmask_b32 v2, v2, v4
	v_dual_cndmask_b32 v1, v5, v1 :: v_dual_cndmask_b32 v0, v4, v0
	v_add_co_u32 v4, vcc_lo, v2, -1
	s_delay_alu instid0(VALU_DEP_3) | instskip(NEXT) | instid1(VALU_DEP_3)
	v_add_co_ci_u32_e32 v5, vcc_lo, -1, v3, vcc_lo
	v_cmp_ge_i64_e32 vcc_lo, v[0:1], v[2:3]
	s_delay_alu instid0(VALU_DEP_2) | instskip(NEXT) | instid1(VALU_DEP_1)
	v_cmp_eq_u64_e64 s0, v[0:1], v[4:5]
	s_or_b32 s0, vcc_lo, s0
	s_delay_alu instid0(SALU_CYCLE_1) | instskip(NEXT) | instid1(SALU_CYCLE_1)
	s_and_b32 s0, exec_lo, s0
	s_or_b32 s18, s0, s18
	s_delay_alu instid0(SALU_CYCLE_1)
	s_and_not1_b32 exec_lo, exec_lo, s18
	s_cbranch_execnz .LBB43_44
; %bb.45:                               ;   in Loop: Header=BB43_42 Depth=1
	s_set_inst_prefetch_distance 0x2
	s_or_b32 exec_lo, exec_lo, s18
.LBB43_46:                              ;   in Loop: Header=BB43_42 Depth=1
	s_delay_alu instid0(VALU_DEP_1) | instskip(SKIP_2) | instid1(VALU_DEP_2)
	v_lshlrev_b64 v[4:5], 3, v[2:3]
	v_lshlrev_b64 v[6:7], 3, v[12:13]
	s_mov_b32 s0, exec_lo
	v_add_co_u32 v4, vcc_lo, s8, v4
	s_delay_alu instid0(VALU_DEP_3) | instskip(NEXT) | instid1(VALU_DEP_3)
	v_add_co_ci_u32_e32 v5, vcc_lo, s9, v5, vcc_lo
	v_add_co_u32 v6, vcc_lo, s10, v6
	s_delay_alu instid0(VALU_DEP_4)
	v_add_co_ci_u32_e32 v7, vcc_lo, s11, v7, vcc_lo
	global_load_b64 v[4:5], v[4:5], off
	global_load_b64 v[6:7], v[6:7], off
	s_waitcnt vmcnt(1)
	v_sub_co_u32 v4, vcc_lo, v4, s20
	v_subrev_co_ci_u32_e32 v5, vcc_lo, 0, v5, vcc_lo
	s_delay_alu instid0(VALU_DEP_1) | instskip(SKIP_4) | instid1(VALU_DEP_1)
	v_cmp_gt_i64_e32 vcc_lo, v[4:5], v[12:13]
	v_dual_cndmask_b32 v1, v3, v1 :: v_dual_cndmask_b32 v0, v2, v0
	s_waitcnt vmcnt(0)
	v_sub_co_u32 v4, vcc_lo, v6, s20
	v_subrev_co_ci_u32_e32 v5, vcc_lo, 0, v7, vcc_lo
	v_cmpx_ne_u64_e64 v[4:5], v[0:1]
	s_cbranch_execz .LBB43_41
; %bb.47:                               ;   in Loop: Header=BB43_42 Depth=1
	v_lshlrev_b64 v[2:3], 4, v[12:13]
	v_lshlrev_b64 v[0:1], 4, v[0:1]
	;; [unrolled: 1-line block ×3, first 2 shown]
	s_mov_b32 s18, 0
	s_delay_alu instid0(VALU_DEP_3) | instskip(NEXT) | instid1(VALU_DEP_4)
	v_add_co_u32 v2, vcc_lo, s12, v2
	v_add_co_ci_u32_e32 v3, vcc_lo, s13, v3, vcc_lo
	s_delay_alu instid0(VALU_DEP_4)
	v_add_co_u32 v0, vcc_lo, s14, v0
	v_add_co_ci_u32_e32 v1, vcc_lo, s15, v1, vcc_lo
	global_load_b128 v[18:21], v[2:3], off
	v_add_co_u32 v14, vcc_lo, s22, v4
	global_load_b128 v[0:3], v[0:1], off
	v_add_co_ci_u32_e32 v15, vcc_lo, s23, v5, vcc_lo
	global_load_b64 v[6:7], v[14:15], off
	s_waitcnt vmcnt(2)
	v_xor_b32_e32 v4, 0x80000000, v21
	s_delay_alu instid0(VALU_DEP_1) | instskip(NEXT) | instid1(VALU_DEP_1)
	v_cndmask_b32_e64 v21, v21, v4, s2
	v_mul_f64 v[4:5], v[8:9], v[20:21]
	v_mul_f64 v[20:21], v[20:21], -v[10:11]
	s_delay_alu instid0(VALU_DEP_2) | instskip(NEXT) | instid1(VALU_DEP_2)
	v_fma_f64 v[16:17], v[10:11], v[18:19], v[4:5]
	v_fma_f64 v[18:19], v[8:9], v[18:19], v[20:21]
	s_waitcnt vmcnt(1)
	s_delay_alu instid0(VALU_DEP_2) | instskip(NEXT) | instid1(VALU_DEP_1)
	v_mul_f64 v[4:5], v[2:3], -v[16:17]
	v_fma_f64 v[20:21], v[18:19], v[0:1], v[4:5]
.LBB43_48:                              ;   Parent Loop BB43_42 Depth=1
                                        ; =>  This Inner Loop Header: Depth=2
	s_waitcnt vmcnt(0)
	s_delay_alu instid0(VALU_DEP_1)
	v_add_f64 v[4:5], v[6:7], v[20:21]
	global_atomic_cmpswap_b64 v[4:5], v[14:15], v[4:7], off glc
	s_waitcnt vmcnt(0)
	v_cmp_eq_u64_e32 vcc_lo, v[4:5], v[6:7]
	v_dual_mov_b32 v7, v5 :: v_dual_mov_b32 v6, v4
	s_or_b32 s18, vcc_lo, s18
	s_delay_alu instid0(SALU_CYCLE_1)
	s_and_not1_b32 exec_lo, exec_lo, s18
	s_cbranch_execnz .LBB43_48
; %bb.49:                               ;   in Loop: Header=BB43_42 Depth=1
	s_or_b32 exec_lo, exec_lo, s18
	global_load_b64 v[4:5], v[14:15], off offset:8
	v_mul_f64 v[2:3], v[2:3], v[18:19]
	s_mov_b32 s18, 0
	s_delay_alu instid0(VALU_DEP_1)
	v_fma_f64 v[0:1], v[16:17], v[0:1], v[2:3]
.LBB43_50:                              ;   Parent Loop BB43_42 Depth=1
                                        ; =>  This Inner Loop Header: Depth=2
	s_waitcnt vmcnt(0)
	s_delay_alu instid0(VALU_DEP_1)
	v_add_f64 v[2:3], v[4:5], v[0:1]
	global_atomic_cmpswap_b64 v[2:3], v[14:15], v[2:5], off offset:8 glc
	s_waitcnt vmcnt(0)
	v_cmp_eq_u64_e32 vcc_lo, v[2:3], v[4:5]
	v_dual_mov_b32 v5, v3 :: v_dual_mov_b32 v4, v2
	s_or_b32 s18, vcc_lo, s18
	s_delay_alu instid0(SALU_CYCLE_1)
	s_and_not1_b32 exec_lo, exec_lo, s18
	s_cbranch_execnz .LBB43_50
	s_branch .LBB43_41
.LBB43_51:
	s_endpgm
	.section	.rodata,"a",@progbits
	.p2align	6, 0x0
	.amdhsa_kernel _ZL33csrmvn_symm_large_adaptive_kernelIll21rocsparse_complex_numIdES1_S1_S1_EvbT_PKS2_N9rocsparse24const_host_device_scalarIT4_EES4_PKT0_PKT1_PKT2_S8_PT3_21rocsparse_index_base_b
		.amdhsa_group_segment_fixed_size 16384
		.amdhsa_private_segment_fixed_size 24
		.amdhsa_kernarg_size 104
		.amdhsa_user_sgpr_count 15
		.amdhsa_user_sgpr_dispatch_ptr 0
		.amdhsa_user_sgpr_queue_ptr 0
		.amdhsa_user_sgpr_kernarg_segment_ptr 1
		.amdhsa_user_sgpr_dispatch_id 0
		.amdhsa_user_sgpr_private_segment_size 0
		.amdhsa_wavefront_size32 1
		.amdhsa_uses_dynamic_stack 0
		.amdhsa_enable_private_segment 1
		.amdhsa_system_sgpr_workgroup_id_x 1
		.amdhsa_system_sgpr_workgroup_id_y 0
		.amdhsa_system_sgpr_workgroup_id_z 0
		.amdhsa_system_sgpr_workgroup_info 0
		.amdhsa_system_vgpr_workitem_id 0
		.amdhsa_next_free_vgpr 27
		.amdhsa_next_free_sgpr 39
		.amdhsa_reserve_vcc 1
		.amdhsa_float_round_mode_32 0
		.amdhsa_float_round_mode_16_64 0
		.amdhsa_float_denorm_mode_32 3
		.amdhsa_float_denorm_mode_16_64 3
		.amdhsa_dx10_clamp 1
		.amdhsa_ieee_mode 1
		.amdhsa_fp16_overflow 0
		.amdhsa_workgroup_processor_mode 1
		.amdhsa_memory_ordered 1
		.amdhsa_forward_progress 0
		.amdhsa_shared_vgpr_count 0
		.amdhsa_exception_fp_ieee_invalid_op 0
		.amdhsa_exception_fp_denorm_src 0
		.amdhsa_exception_fp_ieee_div_zero 0
		.amdhsa_exception_fp_ieee_overflow 0
		.amdhsa_exception_fp_ieee_underflow 0
		.amdhsa_exception_fp_ieee_inexact 0
		.amdhsa_exception_int_div_zero 0
	.end_amdhsa_kernel
	.section	.text._ZL33csrmvn_symm_large_adaptive_kernelIll21rocsparse_complex_numIdES1_S1_S1_EvbT_PKS2_N9rocsparse24const_host_device_scalarIT4_EES4_PKT0_PKT1_PKT2_S8_PT3_21rocsparse_index_base_b,"axG",@progbits,_ZL33csrmvn_symm_large_adaptive_kernelIll21rocsparse_complex_numIdES1_S1_S1_EvbT_PKS2_N9rocsparse24const_host_device_scalarIT4_EES4_PKT0_PKT1_PKT2_S8_PT3_21rocsparse_index_base_b,comdat
.Lfunc_end43:
	.size	_ZL33csrmvn_symm_large_adaptive_kernelIll21rocsparse_complex_numIdES1_S1_S1_EvbT_PKS2_N9rocsparse24const_host_device_scalarIT4_EES4_PKT0_PKT1_PKT2_S8_PT3_21rocsparse_index_base_b, .Lfunc_end43-_ZL33csrmvn_symm_large_adaptive_kernelIll21rocsparse_complex_numIdES1_S1_S1_EvbT_PKS2_N9rocsparse24const_host_device_scalarIT4_EES4_PKT0_PKT1_PKT2_S8_PT3_21rocsparse_index_base_b
                                        ; -- End function
	.section	.AMDGPU.csdata,"",@progbits
; Kernel info:
; codeLenInByte = 3008
; NumSgprs: 41
; NumVgprs: 27
; ScratchSize: 24
; MemoryBound: 0
; FloatMode: 240
; IeeeMode: 1
; LDSByteSize: 16384 bytes/workgroup (compile time only)
; SGPRBlocks: 5
; VGPRBlocks: 3
; NumSGPRsForWavesPerEU: 41
; NumVGPRsForWavesPerEU: 27
; Occupancy: 16
; WaveLimiterHint : 1
; COMPUTE_PGM_RSRC2:SCRATCH_EN: 1
; COMPUTE_PGM_RSRC2:USER_SGPR: 15
; COMPUTE_PGM_RSRC2:TRAP_HANDLER: 0
; COMPUTE_PGM_RSRC2:TGID_X_EN: 1
; COMPUTE_PGM_RSRC2:TGID_Y_EN: 0
; COMPUTE_PGM_RSRC2:TGID_Z_EN: 0
; COMPUTE_PGM_RSRC2:TIDIG_COMP_CNT: 0
	.section	.text._ZN9rocsparseL22csrmvn_adaptive_kernelIiiaaiiEEvbT_PKS1_PjPKT0_NS_24const_host_device_scalarIT4_EES3_S7_PKT1_PKT2_SA_PT3_21rocsparse_index_base_b,"axG",@progbits,_ZN9rocsparseL22csrmvn_adaptive_kernelIiiaaiiEEvbT_PKS1_PjPKT0_NS_24const_host_device_scalarIT4_EES3_S7_PKT1_PKT2_SA_PT3_21rocsparse_index_base_b,comdat
	.globl	_ZN9rocsparseL22csrmvn_adaptive_kernelIiiaaiiEEvbT_PKS1_PjPKT0_NS_24const_host_device_scalarIT4_EES3_S7_PKT1_PKT2_SA_PT3_21rocsparse_index_base_b ; -- Begin function _ZN9rocsparseL22csrmvn_adaptive_kernelIiiaaiiEEvbT_PKS1_PjPKT0_NS_24const_host_device_scalarIT4_EES3_S7_PKT1_PKT2_SA_PT3_21rocsparse_index_base_b
	.p2align	8
	.type	_ZN9rocsparseL22csrmvn_adaptive_kernelIiiaaiiEEvbT_PKS1_PjPKT0_NS_24const_host_device_scalarIT4_EES3_S7_PKT1_PKT2_SA_PT3_21rocsparse_index_base_b,@function
_ZN9rocsparseL22csrmvn_adaptive_kernelIiiaaiiEEvbT_PKS1_PjPKT0_NS_24const_host_device_scalarIT4_EES3_S7_PKT1_PKT2_SA_PT3_21rocsparse_index_base_b: ; @_ZN9rocsparseL22csrmvn_adaptive_kernelIiiaaiiEEvbT_PKS1_PjPKT0_NS_24const_host_device_scalarIT4_EES3_S7_PKT1_PKT2_SA_PT3_21rocsparse_index_base_b
; %bb.0:
	s_clause 0x1
	s_load_b64 s[26:27], s[0:1], 0x58
	s_load_b64 s[4:5], s[0:1], 0x20
	s_mov_b32 s30, s15
	s_mov_b32 s7, -1
                                        ; implicit-def: $sgpr33
	s_waitcnt lgkmcnt(0)
	s_bitcmp1_b32 s27, 0
	s_cselect_b32 s2, -1, 0
	s_delay_alu instid0(SALU_CYCLE_1) | instskip(NEXT) | instid1(SALU_CYCLE_1)
	s_xor_b32 s6, s2, -1
	s_and_b32 vcc_lo, exec_lo, s6
	s_cbranch_vccnz .LBB44_4
; %bb.1:
	s_load_b64 s[2:3], s[0:1], 0x48
	s_and_not1_b32 vcc_lo, exec_lo, s7
	s_cbranch_vccz .LBB44_5
.LBB44_2:
	s_and_b32 vcc_lo, exec_lo, s6
	s_cbranch_vccz .LBB44_6
.LBB44_3:
	s_waitcnt lgkmcnt(0)
	s_load_b32 s11, s[2:3], 0x0
	s_cbranch_execz .LBB44_7
	s_branch .LBB44_8
.LBB44_4:
	s_load_b32 s33, s[4:5], 0x0
	s_load_b64 s[2:3], s[0:1], 0x48
	s_cbranch_execnz .LBB44_2
.LBB44_5:
	s_waitcnt lgkmcnt(0)
	s_mov_b32 s33, s4
	s_and_b32 vcc_lo, exec_lo, s6
	s_cbranch_vccnz .LBB44_3
.LBB44_6:
	s_waitcnt lgkmcnt(0)
                                        ; implicit-def: $sgpr11
.LBB44_7:
	s_waitcnt lgkmcnt(0)
	s_mov_b32 s11, s2
.LBB44_8:
	s_cmp_lg_u32 s33, 0
	s_cselect_b32 s2, -1, 0
	s_waitcnt lgkmcnt(0)
	s_cmp_lg_u32 s11, 1
	s_cselect_b32 s3, -1, 0
	s_delay_alu instid0(SALU_CYCLE_1) | instskip(NEXT) | instid1(SALU_CYCLE_1)
	s_or_b32 s2, s2, s3
	s_and_not1_b32 vcc_lo, exec_lo, s2
	s_cbranch_vccnz .LBB44_119
; %bb.9:
	s_clause 0x2
	s_load_b64 s[2:3], s[0:1], 0x8
	s_load_b64 s[4:5], s[0:1], 0x18
	;; [unrolled: 1-line block ×3, first 2 shown]
	s_ashr_i32 s31, s30, 31
	s_delay_alu instid0(SALU_CYCLE_1)
	s_lshl_b64 s[34:35], s[30:31], 2
	s_waitcnt lgkmcnt(0)
	s_add_u32 s2, s2, s34
	s_addc_u32 s3, s3, s35
	s_load_b64 s[22:23], s[2:3], 0x0
	s_load_b256 s[12:19], s[0:1], 0x28
	s_mov_b32 s3, -1
	s_waitcnt lgkmcnt(0)
	s_sub_i32 s2, s23, s22
	s_add_u32 s4, s4, s34
	s_addc_u32 s5, s5, s35
	s_ashr_i32 s7, s22, 31
	s_mov_b32 s6, s22
	s_delay_alu instid0(SALU_CYCLE_1) | instskip(NEXT) | instid1(SALU_CYCLE_1)
	s_lshl_b64 s[28:29], s[6:7], 2
	s_add_u32 s24, s12, s28
	s_addc_u32 s25, s13, s29
	s_load_b32 s27, s[4:5], 0x0
	s_load_b32 s31, s[24:25], 0x0
	s_cmp_lt_i32 s2, 2
	s_cbranch_scc0 .LBB44_75
; %bb.10:
	s_cmp_lg_u32 s2, 1
	s_cselect_b32 s2, -1, 0
	s_waitcnt lgkmcnt(0)
	s_cmp_lg_u32 s27, 0
	s_cselect_b32 s3, -1, 0
	s_delay_alu instid0(SALU_CYCLE_1) | instskip(NEXT) | instid1(SALU_CYCLE_1)
	s_or_b32 s2, s2, s3
	s_and_b32 vcc_lo, exec_lo, s2
	s_mov_b32 s2, -1
	s_cbranch_vccnz .LBB44_39
; %bb.11:
	s_cmp_le_i32 s23, s22
	s_cbranch_scc1 .LBB44_38
; %bb.12:
	v_subrev_nc_u32_e32 v7, s26, v0
	v_dual_mov_b32 v9, 0 :: v_dual_lshlrev_b32 v8, 2, v0
	v_cmp_gt_u32_e64 s2, 0x80, v0
	v_cmp_gt_u32_e64 s3, 64, v0
	;; [unrolled: 1-line block ×7, first 2 shown]
	s_cmp_lg_u32 s11, 0
	v_cmp_eq_u32_e64 s9, 0, v0
	s_cselect_b32 s40, -1, 0
	s_add_u32 s41, s12, 4
	s_addc_u32 s42, s13, 0
	s_mov_b32 s43, s31
	s_mov_b32 s36, s22
	s_branch .LBB44_15
.LBB44_13:                              ;   in Loop: Header=BB44_15 Depth=1
	s_add_u32 s38, s20, s38
	s_addc_u32 s39, s21, s39
	s_waitcnt lgkmcnt(0)
	global_store_b32 v9, v1, s[38:39]
.LBB44_14:                              ;   in Loop: Header=BB44_15 Depth=1
	s_or_b32 exec_lo, exec_lo, s10
	s_add_i32 s36, s36, 1
	s_delay_alu instid0(SALU_CYCLE_1)
	s_cmp_ge_i32 s36, s23
	s_cbranch_scc1 .LBB44_38
.LBB44_15:                              ; =>This Loop Header: Depth=1
                                        ;     Child Loop BB44_17 Depth 2
	s_ashr_i32 s37, s36, 31
	s_mov_b32 s10, s43
	s_lshl_b64 s[38:39], s[36:37], 2
	v_dual_mov_b32 v2, 0 :: v_dual_add_nc_u32 v1, s10, v7
	s_add_u32 s44, s41, s38
	s_addc_u32 s45, s42, s39
	s_mov_b32 s37, exec_lo
	s_load_b32 s43, s[44:45], 0x0
	s_waitcnt lgkmcnt(0)
	s_sub_i32 s44, s43, s26
	s_delay_alu instid0(SALU_CYCLE_1)
	v_cmpx_gt_i32_e64 s44, v1
	s_cbranch_execz .LBB44_19
; %bb.16:                               ;   in Loop: Header=BB44_15 Depth=1
	v_ashrrev_i32_e32 v2, 31, v1
	v_add_co_u32 v3, vcc_lo, s16, v1
	s_mov_b32 s45, 0
	s_delay_alu instid0(VALU_DEP_2) | instskip(SKIP_2) | instid1(VALU_DEP_3)
	v_lshlrev_b64 v[5:6], 2, v[1:2]
	v_add_co_ci_u32_e32 v4, vcc_lo, s17, v2, vcc_lo
	v_mov_b32_e32 v2, 0
	v_add_co_u32 v5, vcc_lo, s14, v5
	s_delay_alu instid0(VALU_DEP_4)
	v_add_co_ci_u32_e32 v6, vcc_lo, s15, v6, vcc_lo
	.p2align	6
.LBB44_17:                              ;   Parent Loop BB44_15 Depth=1
                                        ; =>  This Inner Loop Header: Depth=2
	global_load_b32 v10, v[5:6], off
	global_load_i8 v12, v[3:4], off
	s_waitcnt vmcnt(1)
	v_subrev_nc_u32_e32 v10, s26, v10
	s_waitcnt vmcnt(0)
	v_mul_lo_u32 v12, s33, v12
	s_delay_alu instid0(VALU_DEP_2) | instskip(SKIP_1) | instid1(VALU_DEP_2)
	v_ashrrev_i32_e32 v11, 31, v10
	v_add_co_u32 v10, vcc_lo, s18, v10
	v_add_co_ci_u32_e32 v11, vcc_lo, s19, v11, vcc_lo
	v_add_co_u32 v3, vcc_lo, 0x100, v3
	v_add_co_ci_u32_e32 v4, vcc_lo, 0, v4, vcc_lo
	global_load_i8 v13, v[10:11], off
	v_add_co_u32 v5, vcc_lo, 0x400, v5
	v_add_co_ci_u32_e32 v6, vcc_lo, 0, v6, vcc_lo
	s_waitcnt vmcnt(0)
	v_mad_u64_u32 v[10:11], null, v12, v13, v[2:3]
	s_delay_alu instid0(VALU_DEP_1) | instskip(NEXT) | instid1(VALU_DEP_1)
	v_dual_mov_b32 v2, v10 :: v_dual_add_nc_u32 v1, 0x100, v1
	v_cmp_le_i32_e64 s10, s44, v1
	s_delay_alu instid0(VALU_DEP_1) | instskip(NEXT) | instid1(SALU_CYCLE_1)
	s_or_b32 s45, s10, s45
	s_and_not1_b32 exec_lo, exec_lo, s45
	s_cbranch_execnz .LBB44_17
; %bb.18:                               ;   in Loop: Header=BB44_15 Depth=1
	s_or_b32 exec_lo, exec_lo, s45
.LBB44_19:                              ;   in Loop: Header=BB44_15 Depth=1
	s_delay_alu instid0(SALU_CYCLE_1)
	s_or_b32 exec_lo, exec_lo, s37
	ds_store_b32 v8, v2
	s_waitcnt lgkmcnt(0)
	s_waitcnt_vscnt null, 0x0
	s_barrier
	buffer_gl0_inv
	s_and_saveexec_b32 s10, s2
	s_cbranch_execz .LBB44_21
; %bb.20:                               ;   in Loop: Header=BB44_15 Depth=1
	ds_load_2addr_stride64_b32 v[1:2], v8 offset1:2
	s_waitcnt lgkmcnt(0)
	v_add_nc_u32_e32 v1, v2, v1
	ds_store_b32 v8, v1
.LBB44_21:                              ;   in Loop: Header=BB44_15 Depth=1
	s_or_b32 exec_lo, exec_lo, s10
	s_waitcnt lgkmcnt(0)
	s_barrier
	buffer_gl0_inv
	s_and_saveexec_b32 s10, s3
	s_cbranch_execz .LBB44_23
; %bb.22:                               ;   in Loop: Header=BB44_15 Depth=1
	ds_load_2addr_stride64_b32 v[1:2], v8 offset1:1
	s_waitcnt lgkmcnt(0)
	v_add_nc_u32_e32 v1, v2, v1
	ds_store_b32 v8, v1
.LBB44_23:                              ;   in Loop: Header=BB44_15 Depth=1
	s_or_b32 exec_lo, exec_lo, s10
	s_waitcnt lgkmcnt(0)
	s_barrier
	buffer_gl0_inv
	s_and_saveexec_b32 s10, s4
	s_cbranch_execz .LBB44_25
; %bb.24:                               ;   in Loop: Header=BB44_15 Depth=1
	ds_load_2addr_b32 v[1:2], v8 offset1:32
	s_waitcnt lgkmcnt(0)
	v_add_nc_u32_e32 v1, v2, v1
	ds_store_b32 v8, v1
.LBB44_25:                              ;   in Loop: Header=BB44_15 Depth=1
	s_or_b32 exec_lo, exec_lo, s10
	s_waitcnt lgkmcnt(0)
	s_barrier
	buffer_gl0_inv
	s_and_saveexec_b32 s10, s5
	s_cbranch_execz .LBB44_27
; %bb.26:                               ;   in Loop: Header=BB44_15 Depth=1
	ds_load_2addr_b32 v[1:2], v8 offset1:16
	s_waitcnt lgkmcnt(0)
	v_add_nc_u32_e32 v1, v2, v1
	ds_store_b32 v8, v1
.LBB44_27:                              ;   in Loop: Header=BB44_15 Depth=1
	s_or_b32 exec_lo, exec_lo, s10
	s_waitcnt lgkmcnt(0)
	s_barrier
	buffer_gl0_inv
	s_and_saveexec_b32 s10, s6
	s_cbranch_execz .LBB44_29
; %bb.28:                               ;   in Loop: Header=BB44_15 Depth=1
	ds_load_2addr_b32 v[1:2], v8 offset1:8
	s_waitcnt lgkmcnt(0)
	v_add_nc_u32_e32 v1, v2, v1
	ds_store_b32 v8, v1
.LBB44_29:                              ;   in Loop: Header=BB44_15 Depth=1
	s_or_b32 exec_lo, exec_lo, s10
	s_waitcnt lgkmcnt(0)
	s_barrier
	buffer_gl0_inv
	s_and_saveexec_b32 s10, s7
	s_cbranch_execz .LBB44_31
; %bb.30:                               ;   in Loop: Header=BB44_15 Depth=1
	ds_load_2addr_b32 v[1:2], v8 offset1:4
	s_waitcnt lgkmcnt(0)
	v_add_nc_u32_e32 v1, v2, v1
	ds_store_b32 v8, v1
.LBB44_31:                              ;   in Loop: Header=BB44_15 Depth=1
	s_or_b32 exec_lo, exec_lo, s10
	s_waitcnt lgkmcnt(0)
	s_barrier
	buffer_gl0_inv
	s_and_saveexec_b32 s10, s8
	s_cbranch_execz .LBB44_33
; %bb.32:                               ;   in Loop: Header=BB44_15 Depth=1
	ds_load_2addr_b32 v[1:2], v8 offset1:2
	s_waitcnt lgkmcnt(0)
	v_add_nc_u32_e32 v1, v2, v1
	ds_store_b32 v8, v1
.LBB44_33:                              ;   in Loop: Header=BB44_15 Depth=1
	s_or_b32 exec_lo, exec_lo, s10
	s_waitcnt lgkmcnt(0)
	s_barrier
	buffer_gl0_inv
	s_and_saveexec_b32 s10, s9
	s_cbranch_execz .LBB44_35
; %bb.34:                               ;   in Loop: Header=BB44_15 Depth=1
	ds_load_b64 v[1:2], v9
	s_waitcnt lgkmcnt(0)
	v_add_nc_u32_e32 v1, v2, v1
	ds_store_b32 v9, v1
.LBB44_35:                              ;   in Loop: Header=BB44_15 Depth=1
	s_or_b32 exec_lo, exec_lo, s10
	s_waitcnt lgkmcnt(0)
	s_barrier
	buffer_gl0_inv
	s_and_saveexec_b32 s10, s9
	s_cbranch_execz .LBB44_14
; %bb.36:                               ;   in Loop: Header=BB44_15 Depth=1
	ds_load_b32 v1, v9
	s_and_not1_b32 vcc_lo, exec_lo, s40
	s_cbranch_vccnz .LBB44_13
; %bb.37:                               ;   in Loop: Header=BB44_15 Depth=1
	s_add_u32 s44, s20, s38
	s_addc_u32 s45, s21, s39
	global_load_b32 v2, v9, s[44:45]
	s_waitcnt vmcnt(0)
	v_mul_lo_u32 v2, v2, s11
	s_waitcnt lgkmcnt(0)
	s_delay_alu instid0(VALU_DEP_1)
	v_add_nc_u32_e32 v1, v2, v1
	s_branch .LBB44_13
.LBB44_38:
	s_mov_b32 s2, 0
.LBB44_39:
	s_delay_alu instid0(SALU_CYCLE_1)
	s_and_not1_b32 vcc_lo, exec_lo, s2
	s_cbranch_vccnz .LBB44_74
; %bb.40:
	s_load_b64 s[6:7], s[0:1], 0x10
	s_sub_i32 s8, s30, s27
	v_or_b32_e32 v1, s27, v0
	s_delay_alu instid0(VALU_DEP_1)
	v_cmp_eq_u32_e32 vcc_lo, 0, v1
	v_mov_b32_e32 v1, 0
	s_waitcnt lgkmcnt(0)
	s_add_u32 s4, s6, s34
	s_addc_u32 s5, s7, s35
	s_load_b32 s10, s[4:5], 0x0
	s_and_saveexec_b32 s2, vcc_lo
	s_cbranch_execz .LBB44_44
; %bb.41:
	s_add_u32 s34, s20, s28
	s_addc_u32 s35, s21, s29
	s_mov_b32 s3, exec_lo
	s_load_b32 s30, s[34:35], 0x0
	v_mbcnt_lo_u32_b32 v1, s3, 0
	s_add_i32 s9, s11, -1
	s_mov_b32 s34, exec_lo
	s_waitcnt vmcnt(0) expcnt(0) lgkmcnt(0)
	s_waitcnt_vscnt null, 0x0
	s_mul_i32 s30, s30, s9
	v_cmpx_eq_u32_e32 0, v1
	s_cbranch_execz .LBB44_43
; %bb.42:
	s_ashr_i32 s9, s8, 31
	s_delay_alu instid0(SALU_CYCLE_1) | instskip(NEXT) | instid1(SALU_CYCLE_1)
	s_lshl_b64 s[36:37], s[8:9], 2
	s_add_u32 s36, s6, s36
	s_addc_u32 s37, s7, s37
	s_bcnt1_i32_b32 s3, s3
	s_delay_alu instid0(SALU_CYCLE_1) | instskip(NEXT) | instid1(SALU_CYCLE_1)
	s_and_b32 s3, s3, 1
	v_dual_mov_b32 v1, 0 :: v_dual_mov_b32 v2, s3
	global_atomic_xor_b32 v1, v2, s[36:37]
.LBB44_43:
	s_or_b32 exec_lo, exec_lo, s34
	v_mov_b32_e32 v1, s30
.LBB44_44:
	s_or_b32 exec_lo, exec_lo, s2
	s_load_b32 s2, s[24:25], 0x4
	s_mul_i32 s3, s27, 0xc00
	s_sub_i32 s9, s31, s26
	s_delay_alu instid0(SALU_CYCLE_1)
	s_add_i32 s9, s9, s3
	s_mov_b32 s3, exec_lo
	v_add_nc_u32_e32 v2, s9, v0
	s_waitcnt lgkmcnt(0)
	s_sub_i32 s2, s2, s26
	s_delay_alu instid0(VALU_DEP_1) | instid1(SALU_CYCLE_1)
	v_cmpx_gt_i32_e64 s2, v2
	s_cbranch_execz .LBB44_48
; %bb.45:
	v_ashrrev_i32_e32 v3, 31, v2
	v_add_co_u32 v4, vcc_lo, s16, v2
	s_addk_i32 s9, 0xc00
	s_mov_b32 s30, 0
	s_delay_alu instid0(VALU_DEP_2) | instskip(SKIP_2) | instid1(VALU_DEP_2)
	v_lshlrev_b64 v[6:7], 2, v[2:3]
	v_add_co_ci_u32_e32 v5, vcc_lo, s17, v3, vcc_lo
	s_min_i32 s9, s9, s2
	v_add_co_u32 v6, vcc_lo, s14, v6
	s_delay_alu instid0(VALU_DEP_3)
	v_add_co_ci_u32_e32 v7, vcc_lo, s15, v7, vcc_lo
	.p2align	6
.LBB44_46:                              ; =>This Inner Loop Header: Depth=1
	global_load_b32 v3, v[6:7], off
	global_load_i8 v10, v[4:5], off
	v_add_nc_u32_e32 v2, 0x100, v2
	s_waitcnt vmcnt(1)
	v_subrev_nc_u32_e32 v3, s26, v3
	s_waitcnt vmcnt(0)
	v_mul_lo_u32 v10, s33, v10
	s_delay_alu instid0(VALU_DEP_2) | instskip(SKIP_1) | instid1(VALU_DEP_2)
	v_ashrrev_i32_e32 v9, 31, v3
	v_add_co_u32 v8, vcc_lo, s18, v3
	v_add_co_ci_u32_e32 v9, vcc_lo, s19, v9, vcc_lo
	v_add_co_u32 v4, vcc_lo, 0x100, v4
	v_add_co_ci_u32_e32 v5, vcc_lo, 0, v5, vcc_lo
	global_load_i8 v3, v[8:9], off
	v_add_co_u32 v6, vcc_lo, 0x400, v6
	v_add_co_ci_u32_e32 v7, vcc_lo, 0, v7, vcc_lo
	s_waitcnt vmcnt(0)
	v_mad_u64_u32 v[8:9], null, v10, v3, v[1:2]
	s_delay_alu instid0(VALU_DEP_1) | instskip(SKIP_1) | instid1(VALU_DEP_1)
	v_mov_b32_e32 v1, v8
	v_cmp_le_i32_e64 s2, s9, v2
	s_or_b32 s30, s2, s30
	s_delay_alu instid0(SALU_CYCLE_1)
	s_and_not1_b32 exec_lo, exec_lo, s30
	s_cbranch_execnz .LBB44_46
; %bb.47:
	s_or_b32 exec_lo, exec_lo, s30
.LBB44_48:
	s_delay_alu instid0(SALU_CYCLE_1)
	s_or_b32 exec_lo, exec_lo, s3
	v_lshlrev_b32_e32 v2, 2, v0
	s_mov_b32 s2, exec_lo
	ds_store_b32 v2, v1
	s_waitcnt lgkmcnt(0)
	s_waitcnt_vscnt null, 0x0
	s_barrier
	buffer_gl0_inv
	v_cmpx_gt_u32_e32 0x80, v0
	s_cbranch_execz .LBB44_50
; %bb.49:
	ds_load_2addr_stride64_b32 v[3:4], v2 offset1:2
	s_waitcnt lgkmcnt(0)
	v_add_nc_u32_e32 v1, v4, v3
	ds_store_b32 v2, v1
.LBB44_50:
	s_or_b32 exec_lo, exec_lo, s2
	s_delay_alu instid0(SALU_CYCLE_1)
	s_mov_b32 s2, exec_lo
	s_waitcnt lgkmcnt(0)
	s_barrier
	buffer_gl0_inv
	v_cmpx_gt_u32_e32 64, v0
	s_cbranch_execz .LBB44_52
; %bb.51:
	ds_load_2addr_stride64_b32 v[3:4], v2 offset1:1
	s_waitcnt lgkmcnt(0)
	v_add_nc_u32_e32 v1, v4, v3
	ds_store_b32 v2, v1
.LBB44_52:
	s_or_b32 exec_lo, exec_lo, s2
	s_delay_alu instid0(SALU_CYCLE_1)
	s_mov_b32 s2, exec_lo
	s_waitcnt lgkmcnt(0)
	s_barrier
	buffer_gl0_inv
	v_cmpx_gt_u32_e32 32, v0
	s_cbranch_execz .LBB44_54
; %bb.53:
	ds_load_2addr_b32 v[3:4], v2 offset1:32
	s_waitcnt lgkmcnt(0)
	v_add_nc_u32_e32 v1, v4, v3
	ds_store_b32 v2, v1
.LBB44_54:
	s_or_b32 exec_lo, exec_lo, s2
	s_delay_alu instid0(SALU_CYCLE_1)
	s_mov_b32 s2, exec_lo
	s_waitcnt lgkmcnt(0)
	s_barrier
	buffer_gl0_inv
	v_cmpx_gt_u32_e32 16, v0
	s_cbranch_execz .LBB44_56
; %bb.55:
	ds_load_2addr_b32 v[3:4], v2 offset1:16
	s_waitcnt lgkmcnt(0)
	v_add_nc_u32_e32 v1, v4, v3
	ds_store_b32 v2, v1
.LBB44_56:
	;; [unrolled: 14-line block ×5, first 2 shown]
	s_or_b32 exec_lo, exec_lo, s2
	v_cmp_eq_u32_e32 vcc_lo, 0, v0
	s_waitcnt lgkmcnt(0)
	s_barrier
	buffer_gl0_inv
	s_and_saveexec_b32 s2, vcc_lo
	s_cbranch_execz .LBB44_64
; %bb.63:
	v_mov_b32_e32 v3, 0
	ds_load_b64 v[1:2], v3
	s_waitcnt lgkmcnt(0)
	v_add_nc_u32_e32 v1, v2, v1
	ds_store_b32 v3, v1
.LBB44_64:
	s_or_b32 exec_lo, exec_lo, s2
	s_waitcnt lgkmcnt(0)
	s_barrier
	buffer_gl0_inv
	s_and_saveexec_b32 s30, vcc_lo
	s_cbranch_execz .LBB44_73
; %bb.65:
	s_cmp_eq_u32 s27, 0
	s_cbranch_scc1 .LBB44_71
; %bb.66:
	s_ashr_i32 s9, s8, 31
	v_mov_b32_e32 v1, 0
	s_lshl_b64 s[2:3], s[8:9], 2
	s_delay_alu instid0(SALU_CYCLE_1)
	s_add_u32 s2, s6, s2
	s_addc_u32 s3, s7, s3
	s_branch .LBB44_68
.LBB44_67:                              ;   in Loop: Header=BB44_68 Depth=1
	s_or_b32 exec_lo, exec_lo, s6
	s_waitcnt vmcnt(0)
	v_readfirstlane_b32 s6, v2
	s_delay_alu instid0(VALU_DEP_1)
	s_cmp_eq_u32 s6, s10
	s_cbranch_scc0 .LBB44_70
.LBB44_68:                              ; =>This Inner Loop Header: Depth=1
	v_mbcnt_lo_u32_b32 v2, exec_lo, 0
	s_delay_alu instid0(VALU_DEP_1)
	v_cmp_eq_u32_e32 vcc_lo, 0, v2
                                        ; implicit-def: $vgpr2
	s_and_saveexec_b32 s6, vcc_lo
	s_cbranch_execz .LBB44_67
; %bb.69:                               ;   in Loop: Header=BB44_68 Depth=1
	global_load_b32 v2, v1, s[2:3] glc
	s_branch .LBB44_67
.LBB44_70:
	v_mov_b32_e32 v1, 0
	global_load_b32 v2, v1, s[4:5]
	s_waitcnt vmcnt(0)
	v_xor_b32_e32 v2, 1, v2
	global_store_b32 v1, v2, s[4:5]
.LBB44_71:
	s_mov_b32 s2, exec_lo
	s_delay_alu instid0(SALU_CYCLE_1) | instskip(NEXT) | instid1(VALU_DEP_1)
	v_mbcnt_lo_u32_b32 v1, s2, 0
	v_cmp_eq_u32_e32 vcc_lo, 0, v1
	s_and_b32 s3, exec_lo, vcc_lo
	s_delay_alu instid0(SALU_CYCLE_1)
	s_mov_b32 exec_lo, s3
	s_cbranch_execz .LBB44_73
; %bb.72:
	v_mov_b32_e32 v1, 0
	s_add_u32 s4, s20, s28
	s_addc_u32 s5, s21, s29
	s_bcnt1_i32_b32 s2, s2
	ds_load_b32 v2, v1
	s_waitcnt lgkmcnt(0)
	v_mul_lo_u32 v2, v2, s2
	global_atomic_add_u32 v1, v2, s[4:5]
.LBB44_73:
	s_or_b32 exec_lo, exec_lo, s30
.LBB44_74:
	s_mov_b32 s3, 0
.LBB44_75:
	s_delay_alu instid0(SALU_CYCLE_1)
	s_and_not1_b32 vcc_lo, exec_lo, s3
	s_cbranch_vccnz .LBB44_119
; %bb.76:
	s_load_b32 s0, s[0:1], 0x4
	v_subrev_nc_u32_e32 v1, s26, v0
	s_waitcnt lgkmcnt(0)
	s_delay_alu instid0(VALU_DEP_1) | instskip(NEXT) | instid1(VALU_DEP_1)
	v_add_nc_u32_e32 v1, s31, v1
	v_add_nc_u32_e32 v2, 0x300, v1
	s_delay_alu instid0(VALU_DEP_1) | instskip(SKIP_1) | instid1(SALU_CYCLE_1)
	v_cmp_le_i32_e32 vcc_lo, s0, v2
	s_and_saveexec_b32 s0, vcc_lo
	s_xor_b32 s0, exec_lo, s0
	s_cbranch_execz .LBB44_81
; %bb.77:
	s_ashr_i32 s3, s23, 31
	s_mov_b32 s2, s23
	s_delay_alu instid0(SALU_CYCLE_1) | instskip(NEXT) | instid1(SALU_CYCLE_1)
	s_lshl_b64 s[2:3], s[2:3], 2
	s_add_u32 s2, s12, s2
	s_addc_u32 s3, s13, s3
	s_load_b32 s1, s[2:3], 0x0
	s_mov_b32 s2, exec_lo
	s_waitcnt lgkmcnt(0)
	s_sub_i32 s1, s1, s26
	s_delay_alu instid0(SALU_CYCLE_1)
	v_cmpx_gt_i32_e64 s1, v1
	s_cbranch_execz .LBB44_80
; %bb.78:
	v_lshlrev_b32_e32 v3, 2, v0
	s_mov_b32 s3, 0
	s_set_inst_prefetch_distance 0x1
	.p2align	6
.LBB44_79:                              ; =>This Inner Loop Header: Depth=1
	v_ashrrev_i32_e32 v2, 31, v1
	s_delay_alu instid0(VALU_DEP_1) | instskip(NEXT) | instid1(VALU_DEP_1)
	v_lshlrev_b64 v[4:5], 2, v[1:2]
	v_add_co_u32 v4, vcc_lo, s14, v4
	s_delay_alu instid0(VALU_DEP_2)
	v_add_co_ci_u32_e32 v5, vcc_lo, s15, v5, vcc_lo
	global_load_b32 v5, v[4:5], off
	v_add_co_u32 v4, vcc_lo, s16, v1
	v_add_nc_u32_e32 v1, 0x100, v1
	s_waitcnt vmcnt(0)
	v_subrev_nc_u32_e32 v6, s26, v5
	v_add_co_ci_u32_e32 v5, vcc_lo, s17, v2, vcc_lo
	global_load_i8 v2, v[4:5], off
	v_ashrrev_i32_e32 v5, 31, v6
	v_add_co_u32 v4, vcc_lo, s18, v6
	s_delay_alu instid0(VALU_DEP_2)
	v_add_co_ci_u32_e32 v5, vcc_lo, s19, v5, vcc_lo
	v_cmp_le_i32_e32 vcc_lo, s1, v1
	global_load_i8 v4, v[4:5], off
	s_or_b32 s3, vcc_lo, s3
	s_waitcnt vmcnt(1)
	v_mul_lo_u32 v2, s33, v2
	s_waitcnt vmcnt(0)
	s_delay_alu instid0(VALU_DEP_1)
	v_mul_lo_u32 v2, v2, v4
	ds_store_b32 v3, v2
	v_add_nc_u32_e32 v3, 0x400, v3
	s_and_not1_b32 exec_lo, exec_lo, s3
	s_cbranch_execnz .LBB44_79
.LBB44_80:
	s_set_inst_prefetch_distance 0x2
	s_or_b32 exec_lo, exec_lo, s2
                                        ; implicit-def: $vgpr1
.LBB44_81:
	s_or_saveexec_b32 s0, s0
	v_lshlrev_b32_e32 v7, 2, v0
	s_xor_b32 exec_lo, exec_lo, s0
	s_cbranch_execz .LBB44_83
; %bb.82:
	v_ashrrev_i32_e32 v2, 31, v1
	s_delay_alu instid0(VALU_DEP_1) | instskip(NEXT) | instid1(VALU_DEP_1)
	v_lshlrev_b64 v[3:4], 2, v[1:2]
	v_add_co_u32 v3, vcc_lo, s14, v3
	s_delay_alu instid0(VALU_DEP_2)
	v_add_co_ci_u32_e32 v4, vcc_lo, s15, v4, vcc_lo
	v_add_co_u32 v1, vcc_lo, s16, v1
	v_add_co_ci_u32_e32 v2, vcc_lo, s17, v2, vcc_lo
	s_clause 0x3
	global_load_b32 v5, v[3:4], off
	global_load_b32 v6, v[3:4], off offset:1024
	global_load_b32 v8, v[3:4], off offset:2048
	;; [unrolled: 1-line block ×3, first 2 shown]
	s_clause 0x3
	global_load_i8 v10, v[1:2], off
	global_load_i8 v11, v[1:2], off offset:256
	global_load_i8 v12, v[1:2], off offset:512
	;; [unrolled: 1-line block ×3, first 2 shown]
	s_waitcnt vmcnt(7)
	v_subrev_nc_u32_e32 v4, s26, v5
	s_waitcnt vmcnt(6)
	v_subrev_nc_u32_e32 v5, s26, v6
	s_waitcnt vmcnt(5)
	v_subrev_nc_u32_e32 v6, s26, v8
	s_waitcnt vmcnt(4)
	v_subrev_nc_u32_e32 v8, s26, v3
	v_ashrrev_i32_e32 v2, 31, v4
	v_ashrrev_i32_e32 v9, 31, v5
	v_add_co_u32 v1, vcc_lo, s18, v4
	v_ashrrev_i32_e32 v14, 31, v6
	s_delay_alu instid0(VALU_DEP_4)
	v_add_co_ci_u32_e32 v2, vcc_lo, s19, v2, vcc_lo
	v_add_co_u32 v3, vcc_lo, s18, v5
	v_add_co_ci_u32_e32 v4, vcc_lo, s19, v9, vcc_lo
	v_ashrrev_i32_e32 v15, 31, v8
	v_add_co_u32 v5, vcc_lo, s18, v6
	v_add_co_ci_u32_e32 v6, vcc_lo, s19, v14, vcc_lo
	v_add_co_u32 v8, vcc_lo, s18, v8
	s_delay_alu instid0(VALU_DEP_4)
	v_add_co_ci_u32_e32 v9, vcc_lo, s19, v15, vcc_lo
	s_clause 0x3
	global_load_i8 v1, v[1:2], off
	global_load_i8 v2, v[3:4], off
	;; [unrolled: 1-line block ×4, first 2 shown]
	s_waitcnt vmcnt(7)
	v_mul_lo_u32 v5, s33, v10
	s_waitcnt vmcnt(6)
	v_mul_lo_u32 v6, s33, v11
	;; [unrolled: 2-line block ×8, first 2 shown]
	ds_store_2addr_stride64_b32 v7, v1, v2 offset1:4
	ds_store_2addr_stride64_b32 v7, v3, v4 offset0:8 offset1:12
.LBB44_83:
	s_or_b32 exec_lo, exec_lo, s0
	s_cmp_lt_i32 s27, 2
	s_mov_b32 s0, -1
	s_waitcnt lgkmcnt(0)
	s_waitcnt_vscnt null, 0x0
	s_barrier
	buffer_gl0_inv
	s_cbranch_scc0 .LBB44_94
; %bb.84:
	v_add_nc_u32_e32 v1, s22, v0
	s_mov_b32 s1, exec_lo
	s_delay_alu instid0(VALU_DEP_1)
	v_cmpx_gt_i32_e64 s23, v1
	s_cbranch_execz .LBB44_93
; %bb.85:
	s_cmp_lg_u32 s11, 0
	s_mov_b32 s3, 0
	s_cselect_b32 s2, -1, 0
	s_lshl_b32 s0, s31, 2
	s_delay_alu instid0(SALU_CYCLE_1)
	s_sub_i32 s4, 0, s0
	s_branch .LBB44_87
.LBB44_86:                              ;   in Loop: Header=BB44_87 Depth=1
	v_add_nc_u32_e32 v1, 0x100, v1
	v_add_co_u32 v2, s0, s20, v2
	s_delay_alu instid0(VALU_DEP_1) | instskip(NEXT) | instid1(VALU_DEP_3)
	v_add_co_ci_u32_e64 v3, s0, s21, v3, s0
	v_cmp_le_i32_e32 vcc_lo, s23, v1
	global_store_b32 v[2:3], v4, off
	s_or_b32 s3, vcc_lo, s3
	s_delay_alu instid0(SALU_CYCLE_1)
	s_and_not1_b32 exec_lo, exec_lo, s3
	s_cbranch_execz .LBB44_93
.LBB44_87:                              ; =>This Loop Header: Depth=1
                                        ;     Child Loop BB44_89 Depth 2
	v_ashrrev_i32_e32 v2, 31, v1
	s_mov_b32 s0, exec_lo
	s_delay_alu instid0(VALU_DEP_1) | instskip(NEXT) | instid1(VALU_DEP_1)
	v_lshlrev_b64 v[2:3], 2, v[1:2]
	v_add_co_u32 v4, vcc_lo, s12, v2
	s_delay_alu instid0(VALU_DEP_2)
	v_add_co_ci_u32_e32 v5, vcc_lo, s13, v3, vcc_lo
	global_load_b64 v[5:6], v[4:5], off
	v_mov_b32_e32 v4, 0
	s_waitcnt vmcnt(0)
	v_cmpx_lt_i32_e64 v5, v6
	s_cbranch_execz .LBB44_91
; %bb.88:                               ;   in Loop: Header=BB44_87 Depth=1
	v_subrev_nc_u32_e32 v6, s31, v6
	v_subrev_nc_u32_e32 v8, s31, v5
	v_lshl_add_u32 v5, v5, 2, s4
	v_mov_b32_e32 v4, 0
	s_mov_b32 s5, 0
.LBB44_89:                              ;   Parent Loop BB44_87 Depth=1
                                        ; =>  This Inner Loop Header: Depth=2
	ds_load_b32 v9, v5
	v_add_nc_u32_e32 v8, 1, v8
	v_add_nc_u32_e32 v5, 4, v5
	s_delay_alu instid0(VALU_DEP_2)
	v_cmp_ge_i32_e32 vcc_lo, v8, v6
	s_or_b32 s5, vcc_lo, s5
	s_waitcnt lgkmcnt(0)
	v_add_nc_u32_e32 v4, v9, v4
	s_and_not1_b32 exec_lo, exec_lo, s5
	s_cbranch_execnz .LBB44_89
; %bb.90:                               ;   in Loop: Header=BB44_87 Depth=1
	s_or_b32 exec_lo, exec_lo, s5
.LBB44_91:                              ;   in Loop: Header=BB44_87 Depth=1
	s_delay_alu instid0(SALU_CYCLE_1) | instskip(NEXT) | instid1(SALU_CYCLE_1)
	s_or_b32 exec_lo, exec_lo, s0
	s_and_b32 vcc_lo, exec_lo, s2
	s_cbranch_vccz .LBB44_86
; %bb.92:                               ;   in Loop: Header=BB44_87 Depth=1
	v_add_co_u32 v5, vcc_lo, s20, v2
	v_add_co_ci_u32_e32 v6, vcc_lo, s21, v3, vcc_lo
	global_load_b32 v8, v[5:6], off
	s_waitcnt vmcnt(0)
	v_mad_u64_u32 v[5:6], null, v8, s11, v[4:5]
	s_delay_alu instid0(VALU_DEP_1)
	v_mov_b32_e32 v4, v5
	s_branch .LBB44_86
.LBB44_93:
	s_or_b32 exec_lo, exec_lo, s1
	s_mov_b32 s0, 0
.LBB44_94:
	s_delay_alu instid0(SALU_CYCLE_1)
	s_and_not1_b32 vcc_lo, exec_lo, s0
	s_cbranch_vccnz .LBB44_119
; %bb.95:
	s_clz_i32_u32 s0, s27
	s_mov_b32 s1, exec_lo
	s_xor_b32 s0, s0, 31
	v_mov_b32_e32 v2, 0
	v_lshrrev_b32_e32 v3, s0, v0
	s_add_i32 s0, s27, -1
	s_delay_alu instid0(SALU_CYCLE_1) | instskip(NEXT) | instid1(VALU_DEP_2)
	v_and_b32_e32 v0, s0, v0
	v_add_nc_u32_e32 v1, s22, v3
	s_delay_alu instid0(VALU_DEP_1)
	v_cmp_le_i32_e32 vcc_lo, s23, v1
	v_cmpx_gt_i32_e64 s23, v1
	s_cbranch_execz .LBB44_101
; %bb.96:
	v_lshlrev_b32_e32 v2, 2, v3
	v_subrev_nc_u32_e32 v4, s31, v0
	s_mov_b32 s2, exec_lo
	global_load_b64 v[2:3], v2, s[24:25]
	s_waitcnt vmcnt(0)
	v_subrev_nc_u32_e32 v3, s31, v3
	v_add_nc_u32_e32 v4, v2, v4
	v_mov_b32_e32 v2, 0
	s_delay_alu instid0(VALU_DEP_2)
	v_cmpx_lt_i32_e64 v4, v3
	s_cbranch_execz .LBB44_100
; %bb.97:
	v_dual_mov_b32 v2, 0 :: v_dual_lshlrev_b32 v5, 2, v4
	s_lshl_b32 s4, s27, 2
	s_mov_b32 s3, 0
.LBB44_98:                              ; =>This Inner Loop Header: Depth=1
	ds_load_b32 v6, v5
	v_add_nc_u32_e32 v4, s27, v4
	v_add_nc_u32_e32 v5, s4, v5
	s_delay_alu instid0(VALU_DEP_2) | instskip(NEXT) | instid1(VALU_DEP_1)
	v_cmp_ge_i32_e64 s0, v4, v3
	s_or_b32 s3, s0, s3
	s_waitcnt lgkmcnt(0)
	v_add_nc_u32_e32 v2, v6, v2
	s_and_not1_b32 exec_lo, exec_lo, s3
	s_cbranch_execnz .LBB44_98
; %bb.99:
	s_or_b32 exec_lo, exec_lo, s3
.LBB44_100:
	s_delay_alu instid0(SALU_CYCLE_1)
	s_or_b32 exec_lo, exec_lo, s2
.LBB44_101:
	s_delay_alu instid0(SALU_CYCLE_1)
	s_or_b32 exec_lo, exec_lo, s1
	s_cmpk_lt_i32 s27, 0x81
	s_waitcnt_vscnt null, 0x0
	s_barrier
	buffer_gl0_inv
	ds_store_b32 v7, v2
	s_waitcnt lgkmcnt(0)
	s_barrier
	buffer_gl0_inv
	s_cbranch_scc1 .LBB44_103
; %bb.102:
	ds_load_b32 v3, v7 offset:512
	s_waitcnt lgkmcnt(0)
	s_barrier
	buffer_gl0_inv
	v_add_nc_u32_e32 v2, v3, v2
	ds_store_b32 v7, v2
.LBB44_103:
	s_cmpk_lt_i32 s27, 0x41
	s_waitcnt lgkmcnt(0)
	s_barrier
	buffer_gl0_inv
	s_cbranch_scc1 .LBB44_105
; %bb.104:
	ds_load_b32 v3, v7 offset:256
	s_waitcnt lgkmcnt(0)
	s_barrier
	buffer_gl0_inv
	v_add_nc_u32_e32 v2, v3, v2
	ds_store_b32 v7, v2
.LBB44_105:
	s_cmp_lt_i32 s27, 33
	s_waitcnt lgkmcnt(0)
	s_barrier
	buffer_gl0_inv
	s_cbranch_scc1 .LBB44_107
; %bb.106:
	ds_load_b32 v3, v7 offset:128
	s_waitcnt lgkmcnt(0)
	s_barrier
	buffer_gl0_inv
	v_add_nc_u32_e32 v2, v3, v2
	ds_store_b32 v7, v2
.LBB44_107:
	s_cmp_lt_i32 s27, 17
	;; [unrolled: 13-line block ×4, first 2 shown]
	s_waitcnt lgkmcnt(0)
	s_barrier
	buffer_gl0_inv
	s_cbranch_scc1 .LBB44_113
; %bb.112:
	ds_load_b32 v3, v7 offset:16
	s_waitcnt lgkmcnt(0)
	s_barrier
	buffer_gl0_inv
	v_add_nc_u32_e32 v2, v3, v2
	ds_store_b32 v7, v2
.LBB44_113:
	s_cmp_eq_u32 s27, 2
	s_waitcnt lgkmcnt(0)
	s_barrier
	buffer_gl0_inv
	s_cbranch_scc1 .LBB44_115
; %bb.114:
	ds_load_b32 v3, v7 offset:8
	s_waitcnt lgkmcnt(0)
	s_barrier
	buffer_gl0_inv
	v_add_nc_u32_e32 v2, v3, v2
	ds_store_b32 v7, v2
.LBB44_115:
	s_waitcnt lgkmcnt(0)
	s_barrier
	buffer_gl0_inv
	ds_load_b32 v3, v7 offset:4
	v_cmp_eq_u32_e64 s0, 0, v0
	s_xor_b32 s1, vcc_lo, -1
	s_waitcnt lgkmcnt(0)
	s_barrier
	buffer_gl0_inv
	s_and_b32 s0, s0, s1
	v_add_nc_u32_e32 v0, v3, v2
	ds_store_b32 v7, v0
	s_and_saveexec_b32 s1, s0
	s_cbranch_execz .LBB44_119
; %bb.116:
	v_ashrrev_i32_e32 v2, 31, v1
	s_cmp_eq_u32 s11, 0
	s_delay_alu instid0(VALU_DEP_1)
	v_lshlrev_b64 v[1:2], 2, v[1:2]
	s_cbranch_scc1 .LBB44_118
; %bb.117:
	s_delay_alu instid0(VALU_DEP_1) | instskip(NEXT) | instid1(VALU_DEP_2)
	v_add_co_u32 v3, vcc_lo, s20, v1
	v_add_co_ci_u32_e32 v4, vcc_lo, s21, v2, vcc_lo
	global_load_b32 v5, v[3:4], off
	s_waitcnt vmcnt(0)
	v_mad_u64_u32 v[3:4], null, v5, s11, v[0:1]
	s_delay_alu instid0(VALU_DEP_1)
	v_mov_b32_e32 v0, v3
.LBB44_118:
	s_delay_alu instid0(VALU_DEP_1) | instskip(NEXT) | instid1(VALU_DEP_2)
	v_add_co_u32 v1, vcc_lo, s20, v1
	v_add_co_ci_u32_e32 v2, vcc_lo, s21, v2, vcc_lo
	global_store_b32 v[1:2], v0, off
.LBB44_119:
	s_nop 0
	s_sendmsg sendmsg(MSG_DEALLOC_VGPRS)
	s_endpgm
	.section	.rodata,"a",@progbits
	.p2align	6, 0x0
	.amdhsa_kernel _ZN9rocsparseL22csrmvn_adaptive_kernelIiiaaiiEEvbT_PKS1_PjPKT0_NS_24const_host_device_scalarIT4_EES3_S7_PKT1_PKT2_SA_PT3_21rocsparse_index_base_b
		.amdhsa_group_segment_fixed_size 4096
		.amdhsa_private_segment_fixed_size 0
		.amdhsa_kernarg_size 96
		.amdhsa_user_sgpr_count 15
		.amdhsa_user_sgpr_dispatch_ptr 0
		.amdhsa_user_sgpr_queue_ptr 0
		.amdhsa_user_sgpr_kernarg_segment_ptr 1
		.amdhsa_user_sgpr_dispatch_id 0
		.amdhsa_user_sgpr_private_segment_size 0
		.amdhsa_wavefront_size32 1
		.amdhsa_uses_dynamic_stack 0
		.amdhsa_enable_private_segment 0
		.amdhsa_system_sgpr_workgroup_id_x 1
		.amdhsa_system_sgpr_workgroup_id_y 0
		.amdhsa_system_sgpr_workgroup_id_z 0
		.amdhsa_system_sgpr_workgroup_info 0
		.amdhsa_system_vgpr_workitem_id 0
		.amdhsa_next_free_vgpr 16
		.amdhsa_next_free_sgpr 46
		.amdhsa_reserve_vcc 1
		.amdhsa_float_round_mode_32 0
		.amdhsa_float_round_mode_16_64 0
		.amdhsa_float_denorm_mode_32 3
		.amdhsa_float_denorm_mode_16_64 3
		.amdhsa_dx10_clamp 1
		.amdhsa_ieee_mode 1
		.amdhsa_fp16_overflow 0
		.amdhsa_workgroup_processor_mode 1
		.amdhsa_memory_ordered 1
		.amdhsa_forward_progress 0
		.amdhsa_shared_vgpr_count 0
		.amdhsa_exception_fp_ieee_invalid_op 0
		.amdhsa_exception_fp_denorm_src 0
		.amdhsa_exception_fp_ieee_div_zero 0
		.amdhsa_exception_fp_ieee_overflow 0
		.amdhsa_exception_fp_ieee_underflow 0
		.amdhsa_exception_fp_ieee_inexact 0
		.amdhsa_exception_int_div_zero 0
	.end_amdhsa_kernel
	.section	.text._ZN9rocsparseL22csrmvn_adaptive_kernelIiiaaiiEEvbT_PKS1_PjPKT0_NS_24const_host_device_scalarIT4_EES3_S7_PKT1_PKT2_SA_PT3_21rocsparse_index_base_b,"axG",@progbits,_ZN9rocsparseL22csrmvn_adaptive_kernelIiiaaiiEEvbT_PKS1_PjPKT0_NS_24const_host_device_scalarIT4_EES3_S7_PKT1_PKT2_SA_PT3_21rocsparse_index_base_b,comdat
.Lfunc_end44:
	.size	_ZN9rocsparseL22csrmvn_adaptive_kernelIiiaaiiEEvbT_PKS1_PjPKT0_NS_24const_host_device_scalarIT4_EES3_S7_PKT1_PKT2_SA_PT3_21rocsparse_index_base_b, .Lfunc_end44-_ZN9rocsparseL22csrmvn_adaptive_kernelIiiaaiiEEvbT_PKS1_PjPKT0_NS_24const_host_device_scalarIT4_EES3_S7_PKT1_PKT2_SA_PT3_21rocsparse_index_base_b
                                        ; -- End function
	.section	.AMDGPU.csdata,"",@progbits
; Kernel info:
; codeLenInByte = 4368
; NumSgprs: 48
; NumVgprs: 16
; ScratchSize: 0
; MemoryBound: 0
; FloatMode: 240
; IeeeMode: 1
; LDSByteSize: 4096 bytes/workgroup (compile time only)
; SGPRBlocks: 5
; VGPRBlocks: 1
; NumSGPRsForWavesPerEU: 48
; NumVGPRsForWavesPerEU: 16
; Occupancy: 16
; WaveLimiterHint : 1
; COMPUTE_PGM_RSRC2:SCRATCH_EN: 0
; COMPUTE_PGM_RSRC2:USER_SGPR: 15
; COMPUTE_PGM_RSRC2:TRAP_HANDLER: 0
; COMPUTE_PGM_RSRC2:TGID_X_EN: 1
; COMPUTE_PGM_RSRC2:TGID_Y_EN: 0
; COMPUTE_PGM_RSRC2:TGID_Z_EN: 0
; COMPUTE_PGM_RSRC2:TIDIG_COMP_CNT: 0
	.section	.text._ZN9rocsparseL22partial_scale_y_kernelIiiiEEvT_S1_S1_NS_24const_host_device_scalarIT1_EEPT0_b,"axG",@progbits,_ZN9rocsparseL22partial_scale_y_kernelIiiiEEvT_S1_S1_NS_24const_host_device_scalarIT1_EEPT0_b,comdat
	.globl	_ZN9rocsparseL22partial_scale_y_kernelIiiiEEvT_S1_S1_NS_24const_host_device_scalarIT1_EEPT0_b ; -- Begin function _ZN9rocsparseL22partial_scale_y_kernelIiiiEEvT_S1_S1_NS_24const_host_device_scalarIT1_EEPT0_b
	.p2align	8
	.type	_ZN9rocsparseL22partial_scale_y_kernelIiiiEEvT_S1_S1_NS_24const_host_device_scalarIT1_EEPT0_b,@function
_ZN9rocsparseL22partial_scale_y_kernelIiiiEEvT_S1_S1_NS_24const_host_device_scalarIT1_EEPT0_b: ; @_ZN9rocsparseL22partial_scale_y_kernelIiiiEEvT_S1_S1_NS_24const_host_device_scalarIT1_EEPT0_b
; %bb.0:
	s_clause 0x1
	s_load_b32 s4, s[0:1], 0x20
	s_load_b64 s[2:3], s[0:1], 0x10
	s_waitcnt lgkmcnt(0)
	s_bitcmp0_b32 s4, 0
	s_mov_b32 s4, 0
	s_cbranch_scc0 .LBB45_2
; %bb.1:
	s_load_b32 s3, s[2:3], 0x0
	s_and_not1_b32 vcc_lo, exec_lo, s4
	s_cbranch_vccz .LBB45_3
	s_branch .LBB45_4
.LBB45_2:
                                        ; implicit-def: $sgpr3
.LBB45_3:
	s_waitcnt lgkmcnt(0)
	s_mov_b32 s3, s2
.LBB45_4:
	s_waitcnt lgkmcnt(0)
	s_cmp_eq_u32 s3, 1
	s_cbranch_scc1 .LBB45_14
; %bb.5:
	s_load_b128 s[4:7], s[0:1], 0x0
	v_lshl_or_b32 v0, s15, 8, v0
	s_waitcnt lgkmcnt(0)
	s_add_i32 s2, s5, s4
	s_delay_alu instid0(SALU_CYCLE_1)
	s_sub_i32 s2, s2, s6
	s_delay_alu instid0(VALU_DEP_1) | instid1(SALU_CYCLE_1)
	v_cmp_gt_i32_e32 vcc_lo, s2, v0
	s_and_saveexec_b32 s2, vcc_lo
	s_cbranch_execz .LBB45_14
; %bb.6:
	s_load_b64 s[0:1], s[0:1], 0x18
	s_cmp_lg_u32 s3, 0
	s_mov_b32 s4, exec_lo
	s_cselect_b32 s2, -1, 0
	v_cmpx_le_i32_e64 s5, v0
	s_xor_b32 s4, exec_lo, s4
	s_cbranch_execz .LBB45_10
; %bb.7:
	v_subrev_nc_u32_e32 v0, s5, v0
	s_delay_alu instid0(VALU_DEP_1) | instskip(NEXT) | instid1(VALU_DEP_1)
	v_add_nc_u32_e32 v0, s6, v0
	v_ashrrev_i32_e32 v1, 31, v0
	s_delay_alu instid0(VALU_DEP_1) | instskip(SKIP_1) | instid1(VALU_DEP_1)
	v_lshlrev_b64 v[1:2], 2, v[0:1]
	s_waitcnt lgkmcnt(0)
	v_add_co_u32 v1, vcc_lo, s0, v1
	s_delay_alu instid0(VALU_DEP_2)
	v_add_co_ci_u32_e32 v2, vcc_lo, s1, v2, vcc_lo
	s_and_b32 vcc_lo, exec_lo, s2
	s_cbranch_vccz .LBB45_15
; %bb.8:
	global_load_b32 v0, v[1:2], off
	s_waitcnt vmcnt(0)
	v_mul_lo_u32 v0, v0, s3
	global_store_b32 v[1:2], v0, off
                                        ; implicit-def: $vgpr0
	s_cbranch_execnz .LBB45_10
.LBB45_9:
	v_mov_b32_e32 v0, 0
	global_store_b32 v[1:2], v0, off
                                        ; implicit-def: $vgpr0
.LBB45_10:
	s_and_not1_saveexec_b32 s4, s4
	s_cbranch_execz .LBB45_14
; %bb.11:
	v_ashrrev_i32_e32 v1, 31, v0
	s_delay_alu instid0(VALU_DEP_1) | instskip(SKIP_1) | instid1(VALU_DEP_1)
	v_lshlrev_b64 v[0:1], 2, v[0:1]
	s_waitcnt lgkmcnt(0)
	v_add_co_u32 v0, vcc_lo, s0, v0
	s_delay_alu instid0(VALU_DEP_2)
	v_add_co_ci_u32_e32 v1, vcc_lo, s1, v1, vcc_lo
	s_and_b32 vcc_lo, exec_lo, s2
	s_cbranch_vccz .LBB45_16
; %bb.12:
	global_load_b32 v2, v[0:1], off
	s_waitcnt vmcnt(0)
	v_mul_lo_u32 v2, v2, s3
	global_store_b32 v[0:1], v2, off
	s_cbranch_execnz .LBB45_14
.LBB45_13:
	v_mov_b32_e32 v2, 0
	global_store_b32 v[0:1], v2, off
.LBB45_14:
	s_nop 0
	s_sendmsg sendmsg(MSG_DEALLOC_VGPRS)
	s_endpgm
.LBB45_15:
                                        ; implicit-def: $vgpr0
	s_branch .LBB45_9
.LBB45_16:
	s_branch .LBB45_13
	.section	.rodata,"a",@progbits
	.p2align	6, 0x0
	.amdhsa_kernel _ZN9rocsparseL22partial_scale_y_kernelIiiiEEvT_S1_S1_NS_24const_host_device_scalarIT1_EEPT0_b
		.amdhsa_group_segment_fixed_size 0
		.amdhsa_private_segment_fixed_size 0
		.amdhsa_kernarg_size 36
		.amdhsa_user_sgpr_count 15
		.amdhsa_user_sgpr_dispatch_ptr 0
		.amdhsa_user_sgpr_queue_ptr 0
		.amdhsa_user_sgpr_kernarg_segment_ptr 1
		.amdhsa_user_sgpr_dispatch_id 0
		.amdhsa_user_sgpr_private_segment_size 0
		.amdhsa_wavefront_size32 1
		.amdhsa_uses_dynamic_stack 0
		.amdhsa_enable_private_segment 0
		.amdhsa_system_sgpr_workgroup_id_x 1
		.amdhsa_system_sgpr_workgroup_id_y 0
		.amdhsa_system_sgpr_workgroup_id_z 0
		.amdhsa_system_sgpr_workgroup_info 0
		.amdhsa_system_vgpr_workitem_id 0
		.amdhsa_next_free_vgpr 3
		.amdhsa_next_free_sgpr 16
		.amdhsa_reserve_vcc 1
		.amdhsa_float_round_mode_32 0
		.amdhsa_float_round_mode_16_64 0
		.amdhsa_float_denorm_mode_32 3
		.amdhsa_float_denorm_mode_16_64 3
		.amdhsa_dx10_clamp 1
		.amdhsa_ieee_mode 1
		.amdhsa_fp16_overflow 0
		.amdhsa_workgroup_processor_mode 1
		.amdhsa_memory_ordered 1
		.amdhsa_forward_progress 0
		.amdhsa_shared_vgpr_count 0
		.amdhsa_exception_fp_ieee_invalid_op 0
		.amdhsa_exception_fp_denorm_src 0
		.amdhsa_exception_fp_ieee_div_zero 0
		.amdhsa_exception_fp_ieee_overflow 0
		.amdhsa_exception_fp_ieee_underflow 0
		.amdhsa_exception_fp_ieee_inexact 0
		.amdhsa_exception_int_div_zero 0
	.end_amdhsa_kernel
	.section	.text._ZN9rocsparseL22partial_scale_y_kernelIiiiEEvT_S1_S1_NS_24const_host_device_scalarIT1_EEPT0_b,"axG",@progbits,_ZN9rocsparseL22partial_scale_y_kernelIiiiEEvT_S1_S1_NS_24const_host_device_scalarIT1_EEPT0_b,comdat
.Lfunc_end45:
	.size	_ZN9rocsparseL22partial_scale_y_kernelIiiiEEvT_S1_S1_NS_24const_host_device_scalarIT1_EEPT0_b, .Lfunc_end45-_ZN9rocsparseL22partial_scale_y_kernelIiiiEEvT_S1_S1_NS_24const_host_device_scalarIT1_EEPT0_b
                                        ; -- End function
	.section	.AMDGPU.csdata,"",@progbits
; Kernel info:
; codeLenInByte = 376
; NumSgprs: 18
; NumVgprs: 3
; ScratchSize: 0
; MemoryBound: 0
; FloatMode: 240
; IeeeMode: 1
; LDSByteSize: 0 bytes/workgroup (compile time only)
; SGPRBlocks: 2
; VGPRBlocks: 0
; NumSGPRsForWavesPerEU: 18
; NumVGPRsForWavesPerEU: 3
; Occupancy: 16
; WaveLimiterHint : 0
; COMPUTE_PGM_RSRC2:SCRATCH_EN: 0
; COMPUTE_PGM_RSRC2:USER_SGPR: 15
; COMPUTE_PGM_RSRC2:TRAP_HANDLER: 0
; COMPUTE_PGM_RSRC2:TGID_X_EN: 1
; COMPUTE_PGM_RSRC2:TGID_Y_EN: 0
; COMPUTE_PGM_RSRC2:TGID_Z_EN: 0
; COMPUTE_PGM_RSRC2:TIDIG_COMP_CNT: 0
	.section	.text._ZN9rocsparseL27csrmvn_symm_adaptive_kernelIiiaaiiEEvbT_S1_PKS1_NS_24const_host_device_scalarIT4_EES3_PKT0_PKT1_PKT2_S6_PT3_21rocsparse_index_base_b,"axG",@progbits,_ZN9rocsparseL27csrmvn_symm_adaptive_kernelIiiaaiiEEvbT_S1_PKS1_NS_24const_host_device_scalarIT4_EES3_PKT0_PKT1_PKT2_S6_PT3_21rocsparse_index_base_b,comdat
	.globl	_ZN9rocsparseL27csrmvn_symm_adaptive_kernelIiiaaiiEEvbT_S1_PKS1_NS_24const_host_device_scalarIT4_EES3_PKT0_PKT1_PKT2_S6_PT3_21rocsparse_index_base_b ; -- Begin function _ZN9rocsparseL27csrmvn_symm_adaptive_kernelIiiaaiiEEvbT_S1_PKS1_NS_24const_host_device_scalarIT4_EES3_PKT0_PKT1_PKT2_S6_PT3_21rocsparse_index_base_b
	.p2align	8
	.type	_ZN9rocsparseL27csrmvn_symm_adaptive_kernelIiiaaiiEEvbT_S1_PKS1_NS_24const_host_device_scalarIT4_EES3_PKT0_PKT1_PKT2_S6_PT3_21rocsparse_index_base_b,@function
_ZN9rocsparseL27csrmvn_symm_adaptive_kernelIiiaaiiEEvbT_S1_PKS1_NS_24const_host_device_scalarIT4_EES3_PKT0_PKT1_PKT2_S6_PT3_21rocsparse_index_base_b: ; @_ZN9rocsparseL27csrmvn_symm_adaptive_kernelIiiaaiiEEvbT_S1_PKS1_NS_24const_host_device_scalarIT4_EES3_PKT0_PKT1_PKT2_S6_PT3_21rocsparse_index_base_b
; %bb.0:
	s_clause 0x1
	s_load_b64 s[20:21], s[0:1], 0x50
	s_load_b64 s[6:7], s[0:1], 0x18
	s_mov_b32 s2, s15
	s_mov_b32 s8, -1
                                        ; implicit-def: $sgpr26
	s_waitcnt lgkmcnt(0)
	s_bitcmp1_b32 s21, 0
	s_cselect_b32 s3, -1, 0
	s_delay_alu instid0(SALU_CYCLE_1) | instskip(NEXT) | instid1(SALU_CYCLE_1)
	s_xor_b32 s3, s3, -1
	s_and_b32 vcc_lo, exec_lo, s3
	s_cbranch_vccnz .LBB46_4
; %bb.1:
	s_load_b64 s[4:5], s[0:1], 0x40
	s_and_not1_b32 vcc_lo, exec_lo, s8
	s_cbranch_vccz .LBB46_5
.LBB46_2:
	s_and_b32 vcc_lo, exec_lo, s3
	s_cbranch_vccz .LBB46_6
.LBB46_3:
	s_waitcnt lgkmcnt(0)
	s_load_b32 s3, s[4:5], 0x0
	s_cbranch_execz .LBB46_7
	s_branch .LBB46_8
.LBB46_4:
	s_load_b32 s26, s[6:7], 0x0
	s_load_b64 s[4:5], s[0:1], 0x40
	s_cbranch_execnz .LBB46_2
.LBB46_5:
	s_waitcnt lgkmcnt(0)
	s_mov_b32 s26, s6
	s_and_b32 vcc_lo, exec_lo, s3
	s_cbranch_vccnz .LBB46_3
.LBB46_6:
	s_waitcnt lgkmcnt(0)
                                        ; implicit-def: $sgpr3
.LBB46_7:
	s_waitcnt lgkmcnt(0)
	s_mov_b32 s3, s4
.LBB46_8:
	s_cmp_lg_u32 s26, 0
	s_cselect_b32 s4, -1, 0
	s_waitcnt lgkmcnt(0)
	s_cmp_lg_u32 s3, 1
	s_cselect_b32 s3, -1, 0
	s_delay_alu instid0(SALU_CYCLE_1) | instskip(NEXT) | instid1(SALU_CYCLE_1)
	s_or_b32 s3, s4, s3
	s_and_not1_b32 vcc_lo, exec_lo, s3
	s_cbranch_vccnz .LBB46_163
; %bb.9:
	s_load_b64 s[4:5], s[0:1], 0x10
	s_ashr_i32 s3, s2, 31
	v_lshlrev_b32_e32 v7, 2, v0
	v_mov_b32_e32 v1, 0
	s_lshl_b64 s[2:3], s[2:3], 2
	ds_store_2addr_stride64_b32 v7, v1, v1 offset1:4
	ds_store_2addr_stride64_b32 v7, v1, v1 offset0:8 offset1:12
	s_waitcnt lgkmcnt(0)
	s_barrier
	buffer_gl0_inv
	v_subrev_nc_u32_e32 v8, s20, v0
	s_add_u32 s2, s4, s2
	s_addc_u32 s3, s5, s3
	s_load_b64 s[18:19], s[2:3], 0x0
	s_clause 0x1
	s_load_b256 s[8:15], s[0:1], 0x20
	s_load_b64 s[16:17], s[0:1], 0x48
	s_mov_b32 s2, -1
	s_waitcnt lgkmcnt(0)
	s_sub_i32 s21, s19, s18
	s_delay_alu instid0(SALU_CYCLE_1)
	s_cmp_gt_i32 s21, 2
	s_cbranch_scc1 .LBB46_42
; %bb.10:
	s_cmp_gt_i32 s19, s18
	s_cbranch_scc1 .LBB46_12
; %bb.11:
	s_ashr_i32 s3, s18, 31
	s_mov_b32 s2, s18
	s_delay_alu instid0(SALU_CYCLE_1) | instskip(NEXT) | instid1(SALU_CYCLE_1)
	s_lshl_b64 s[2:3], s[2:3], 2
	s_add_u32 s2, s8, s2
	s_addc_u32 s3, s9, s3
	s_load_b32 s27, s[2:3], 0x0
	s_cbranch_execz .LBB46_13
	s_branch .LBB46_32
.LBB46_12:
                                        ; implicit-def: $sgpr27
	s_and_not1_b32 vcc_lo, exec_lo, s2
	s_cbranch_vccnz .LBB46_32
.LBB46_13:
	s_ashr_i32 s3, s18, 31
	s_mov_b32 s2, s18
	v_cmp_gt_u32_e32 vcc_lo, 0x100, v0
	s_lshl_b64 s[2:3], s[2:3], 2
	v_cmp_gt_u32_e64 s4, 4, v0
	s_add_u32 s2, s8, s2
	s_addc_u32 s3, s9, s3
	v_cmp_eq_u32_e64 s5, 0, v0
	s_waitcnt lgkmcnt(0)
	s_load_b32 s27, s[2:3], 0x0
	v_cmp_gt_u32_e64 s2, 64, v0
	v_cmp_gt_u32_e64 s3, 16, v0
	v_mov_b32_e32 v9, 0
	s_add_u32 s28, s8, 4
	s_addc_u32 s29, s9, 0
	s_mov_b32 s22, s18
	s_waitcnt lgkmcnt(0)
	s_mov_b32 s30, s27
	s_branch .LBB46_15
.LBB46_14:                              ;   in Loop: Header=BB46_15 Depth=1
	s_or_b32 exec_lo, exec_lo, s7
	s_add_i32 s22, s22, 1
	s_delay_alu instid0(SALU_CYCLE_1)
	s_cmp_ge_i32 s22, s19
	s_cbranch_scc1 .LBB46_32
.LBB46_15:                              ; =>This Loop Header: Depth=1
                                        ;     Child Loop BB46_17 Depth 2
	s_ashr_i32 s23, s22, 31
	v_mov_b32_e32 v2, 0
	s_lshl_b64 s[24:25], s[22:23], 2
	s_mov_b32 s23, s30
	s_add_u32 s6, s28, s24
	s_addc_u32 s7, s29, s25
	v_add_nc_u32_e32 v1, s23, v8
	s_load_b32 s30, s[6:7], 0x0
	s_mov_b32 s23, exec_lo
	s_waitcnt lgkmcnt(0)
	s_sub_i32 s31, s30, s20
	s_delay_alu instid0(SALU_CYCLE_1)
	v_cmpx_gt_i32_e64 s31, v1
	s_cbranch_execz .LBB46_19
; %bb.16:                               ;   in Loop: Header=BB46_15 Depth=1
	v_ashrrev_i32_e32 v2, 31, v1
	v_add_co_u32 v3, s6, s12, v1
	s_mov_b32 s33, 0
	s_delay_alu instid0(VALU_DEP_2) | instskip(SKIP_2) | instid1(VALU_DEP_3)
	v_lshlrev_b64 v[5:6], 2, v[1:2]
	v_add_co_ci_u32_e64 v4, s6, s13, v2, s6
	v_mov_b32_e32 v2, 0
	v_add_co_u32 v5, s6, s10, v5
	s_delay_alu instid0(VALU_DEP_1)
	v_add_co_ci_u32_e64 v6, s6, s11, v6, s6
	.p2align	6
.LBB46_17:                              ;   Parent Loop BB46_15 Depth=1
                                        ; =>  This Inner Loop Header: Depth=2
	global_load_b32 v10, v[5:6], off
	v_add_nc_u32_e32 v1, 0x100, v1
	s_delay_alu instid0(VALU_DEP_1) | instskip(NEXT) | instid1(VALU_DEP_1)
	v_cmp_le_i32_e64 s7, s31, v1
	s_or_b32 s33, s7, s33
	s_waitcnt vmcnt(0)
	v_subrev_nc_u32_e32 v10, s20, v10
	s_delay_alu instid0(VALU_DEP_1) | instskip(SKIP_1) | instid1(VALU_DEP_1)
	v_ashrrev_i32_e32 v11, 31, v10
	v_add_co_u32 v10, s6, s14, v10
	v_add_co_ci_u32_e64 v11, s6, s15, v11, s6
	v_add_co_u32 v5, s6, 0x400, v5
	global_load_i8 v12, v[3:4], off
	global_load_i8 v10, v[10:11], off
	v_add_co_ci_u32_e64 v6, s6, 0, v6, s6
	v_add_co_u32 v3, s6, 0x100, v3
	s_delay_alu instid0(VALU_DEP_1)
	v_add_co_ci_u32_e64 v4, s6, 0, v4, s6
	s_waitcnt vmcnt(0)
	v_mad_i32_i24 v2, v10, v12, v2
	s_and_not1_b32 exec_lo, exec_lo, s33
	s_cbranch_execnz .LBB46_17
; %bb.18:                               ;   in Loop: Header=BB46_15 Depth=1
	s_or_b32 exec_lo, exec_lo, s33
.LBB46_19:                              ;   in Loop: Header=BB46_15 Depth=1
	s_delay_alu instid0(SALU_CYCLE_1)
	s_or_b32 exec_lo, exec_lo, s23
	ds_store_b32 v7, v2
	s_waitcnt lgkmcnt(0)
	s_waitcnt_vscnt null, 0x0
	s_barrier
	buffer_gl0_inv
	s_and_saveexec_b32 s6, vcc_lo
	s_cbranch_execz .LBB46_21
; %bb.20:                               ;   in Loop: Header=BB46_15 Depth=1
	ds_load_2addr_stride64_b32 v[1:2], v7 offset1:4
	ds_load_2addr_stride64_b32 v[3:4], v7 offset0:8 offset1:12
	s_waitcnt lgkmcnt(0)
	v_add_nc_u32_e32 v2, v3, v2
	s_delay_alu instid0(VALU_DEP_1)
	v_add3_u32 v1, v2, v4, v1
	ds_store_b32 v7, v1
.LBB46_21:                              ;   in Loop: Header=BB46_15 Depth=1
	s_or_b32 exec_lo, exec_lo, s6
	s_waitcnt lgkmcnt(0)
	s_barrier
	buffer_gl0_inv
	s_and_saveexec_b32 s6, s2
	s_cbranch_execz .LBB46_23
; %bb.22:                               ;   in Loop: Header=BB46_15 Depth=1
	ds_load_2addr_stride64_b32 v[1:2], v7 offset1:1
	ds_load_2addr_stride64_b32 v[3:4], v7 offset0:2 offset1:3
	s_waitcnt lgkmcnt(0)
	v_add_nc_u32_e32 v2, v3, v2
	s_delay_alu instid0(VALU_DEP_1)
	v_add3_u32 v1, v2, v4, v1
	ds_store_b32 v7, v1
.LBB46_23:                              ;   in Loop: Header=BB46_15 Depth=1
	s_or_b32 exec_lo, exec_lo, s6
	s_waitcnt lgkmcnt(0)
	s_barrier
	buffer_gl0_inv
	s_and_saveexec_b32 s6, s3
	s_cbranch_execz .LBB46_25
; %bb.24:                               ;   in Loop: Header=BB46_15 Depth=1
	ds_load_2addr_b32 v[1:2], v7 offset1:16
	ds_load_2addr_b32 v[3:4], v7 offset0:32 offset1:48
	s_waitcnt lgkmcnt(0)
	v_add_nc_u32_e32 v2, v3, v2
	s_delay_alu instid0(VALU_DEP_1)
	v_add3_u32 v1, v2, v4, v1
	ds_store_b32 v7, v1
.LBB46_25:                              ;   in Loop: Header=BB46_15 Depth=1
	s_or_b32 exec_lo, exec_lo, s6
	s_waitcnt lgkmcnt(0)
	s_barrier
	buffer_gl0_inv
	s_and_saveexec_b32 s6, s4
	s_cbranch_execz .LBB46_27
; %bb.26:                               ;   in Loop: Header=BB46_15 Depth=1
	ds_load_2addr_b32 v[1:2], v7 offset1:4
	ds_load_2addr_b32 v[3:4], v7 offset0:8 offset1:12
	s_waitcnt lgkmcnt(0)
	v_add_nc_u32_e32 v2, v3, v2
	s_delay_alu instid0(VALU_DEP_1)
	v_add3_u32 v1, v2, v4, v1
	ds_store_b32 v7, v1
.LBB46_27:                              ;   in Loop: Header=BB46_15 Depth=1
	s_or_b32 exec_lo, exec_lo, s6
	s_waitcnt lgkmcnt(0)
	s_barrier
	buffer_gl0_inv
	s_and_saveexec_b32 s6, s5
	s_cbranch_execz .LBB46_29
; %bb.28:                               ;   in Loop: Header=BB46_15 Depth=1
	ds_load_2addr_b32 v[1:2], v9 offset0:1 offset1:2
	ds_load_b32 v3, v9 offset:12
	ds_load_b32 v4, v7
	s_waitcnt lgkmcnt(2)
	v_add_nc_u32_e32 v1, v2, v1
	s_waitcnt lgkmcnt(0)
	s_delay_alu instid0(VALU_DEP_1)
	v_add3_u32 v1, v1, v3, v4
	ds_store_b32 v7, v1
.LBB46_29:                              ;   in Loop: Header=BB46_15 Depth=1
	s_or_b32 exec_lo, exec_lo, s6
	s_waitcnt lgkmcnt(0)
	s_barrier
	buffer_gl0_inv
	s_and_saveexec_b32 s7, s5
	s_cbranch_execz .LBB46_14
; %bb.30:                               ;   in Loop: Header=BB46_15 Depth=1
	s_mov_b32 s23, exec_lo
	s_delay_alu instid0(SALU_CYCLE_1) | instskip(NEXT) | instid1(VALU_DEP_1)
	v_mbcnt_lo_u32_b32 v1, s23, 0
	v_cmp_eq_u32_e64 s6, 0, v1
	s_delay_alu instid0(VALU_DEP_1) | instskip(NEXT) | instid1(SALU_CYCLE_1)
	s_and_b32 s6, exec_lo, s6
	s_mov_b32 exec_lo, s6
	s_cbranch_execz .LBB46_14
; %bb.31:                               ;   in Loop: Header=BB46_15 Depth=1
	ds_load_b32 v1, v9
	s_add_u32 s24, s16, s24
	s_addc_u32 s25, s17, s25
	s_bcnt1_i32_b32 s6, s23
	s_waitcnt lgkmcnt(0)
	v_mul_lo_u32 v1, v1, s26
	s_delay_alu instid0(VALU_DEP_1)
	v_mul_lo_u32 v1, v1, s6
	global_atomic_add_u32 v9, v1, s[24:25]
	s_branch .LBB46_14
.LBB46_32:
	s_ashr_i32 s3, s19, 31
	s_mov_b32 s2, s19
	s_waitcnt lgkmcnt(0)
	v_add_nc_u32_e32 v1, s27, v8
	s_lshl_b64 s[2:3], s[2:3], 2
	s_mov_b32 s4, exec_lo
	s_add_u32 s2, s8, s2
	s_addc_u32 s3, s9, s3
	s_load_b32 s2, s[2:3], 0x0
	s_waitcnt lgkmcnt(0)
	s_sub_i32 s3, s2, s20
	s_delay_alu instid0(SALU_CYCLE_1)
	v_cmpx_gt_i32_e64 s3, v1
	s_cbranch_execz .LBB46_41
; %bb.33:
	s_add_i32 s5, s19, -1
	s_mov_b32 s7, 0
	s_cmp_gt_i32 s5, s18
	s_cselect_b32 s2, -1, 0
	s_add_i32 s6, s19, -2
	s_delay_alu instid0(SALU_CYCLE_1) | instskip(SKIP_1) | instid1(SALU_CYCLE_1)
	s_cmp_lg_u32 s6, s18
	s_cselect_b32 s6, -1, 0
	s_and_b32 s6, s2, s6
	s_branch .LBB46_35
.LBB46_34:                              ;   in Loop: Header=BB46_35 Depth=1
	s_or_b32 exec_lo, exec_lo, s2
	v_add_nc_u32_e32 v1, 0x100, v1
	s_delay_alu instid0(VALU_DEP_1) | instskip(SKIP_1) | instid1(SALU_CYCLE_1)
	v_cmp_le_i32_e32 vcc_lo, s3, v1
	s_or_b32 s7, vcc_lo, s7
	s_and_not1_b32 exec_lo, exec_lo, s7
	s_cbranch_execz .LBB46_41
.LBB46_35:                              ; =>This Loop Header: Depth=1
                                        ;     Child Loop BB46_37 Depth 2
	v_mov_b32_e32 v5, s18
	v_mov_b32_e32 v3, s5
	s_and_not1_b32 vcc_lo, exec_lo, s6
	s_cbranch_vccnz .LBB46_39
; %bb.36:                               ;   in Loop: Header=BB46_35 Depth=1
	v_mov_b32_e32 v5, s18
	v_mov_b32_e32 v3, s5
	s_mov_b32 s22, 0
	.p2align	6
.LBB46_37:                              ;   Parent Loop BB46_35 Depth=1
                                        ; =>  This Inner Loop Header: Depth=2
	s_delay_alu instid0(VALU_DEP_1) | instskip(NEXT) | instid1(VALU_DEP_1)
	v_add_nc_u32_e32 v2, v3, v5
	v_lshrrev_b32_e32 v4, 31, v2
	s_delay_alu instid0(VALU_DEP_1) | instskip(NEXT) | instid1(VALU_DEP_1)
	v_add_nc_u32_e32 v2, v2, v4
	v_ashrrev_i32_e32 v9, 1, v2
	s_delay_alu instid0(VALU_DEP_1) | instskip(NEXT) | instid1(VALU_DEP_1)
	v_ashrrev_i32_e32 v10, 31, v9
	v_lshlrev_b64 v[10:11], 2, v[9:10]
	s_delay_alu instid0(VALU_DEP_1) | instskip(NEXT) | instid1(VALU_DEP_2)
	v_add_co_u32 v10, vcc_lo, s8, v10
	v_add_co_ci_u32_e32 v11, vcc_lo, s9, v11, vcc_lo
	global_load_b32 v2, v[10:11], off
	s_waitcnt vmcnt(0)
	v_subrev_nc_u32_e32 v2, s20, v2
	s_delay_alu instid0(VALU_DEP_1) | instskip(SKIP_1) | instid1(VALU_DEP_1)
	v_cmp_gt_i32_e32 vcc_lo, v2, v1
	v_cndmask_b32_e32 v3, v3, v9, vcc_lo
	v_dual_cndmask_b32 v5, v9, v5 :: v_dual_add_nc_u32 v2, -1, v3
	s_delay_alu instid0(VALU_DEP_1) | instskip(NEXT) | instid1(VALU_DEP_2)
	v_cmp_ge_i32_e32 vcc_lo, v5, v3
	v_cmp_eq_u32_e64 s2, v5, v2
	s_delay_alu instid0(VALU_DEP_1) | instskip(NEXT) | instid1(SALU_CYCLE_1)
	s_or_b32 s2, vcc_lo, s2
	s_and_b32 s2, exec_lo, s2
	s_delay_alu instid0(SALU_CYCLE_1) | instskip(NEXT) | instid1(SALU_CYCLE_1)
	s_or_b32 s22, s2, s22
	s_and_not1_b32 exec_lo, exec_lo, s22
	s_cbranch_execnz .LBB46_37
; %bb.38:                               ;   in Loop: Header=BB46_35 Depth=1
	s_or_b32 exec_lo, exec_lo, s22
.LBB46_39:                              ;   in Loop: Header=BB46_35 Depth=1
	s_delay_alu instid0(VALU_DEP_1) | instskip(SKIP_2) | instid1(VALU_DEP_2)
	v_ashrrev_i32_e32 v4, 31, v3
	v_ashrrev_i32_e32 v2, 31, v1
	s_mov_b32 s2, exec_lo
	v_lshlrev_b64 v[9:10], 2, v[3:4]
	s_delay_alu instid0(VALU_DEP_2) | instskip(NEXT) | instid1(VALU_DEP_2)
	v_lshlrev_b64 v[11:12], 2, v[1:2]
	v_add_co_u32 v9, vcc_lo, s8, v9
	s_delay_alu instid0(VALU_DEP_3)
	v_add_co_ci_u32_e32 v10, vcc_lo, s9, v10, vcc_lo
	global_load_b32 v4, v[9:10], off
	v_add_co_u32 v9, vcc_lo, s10, v11
	v_add_co_ci_u32_e32 v10, vcc_lo, s11, v12, vcc_lo
	global_load_b32 v6, v[9:10], off
	s_waitcnt vmcnt(1)
	v_subrev_nc_u32_e32 v4, s20, v4
	s_delay_alu instid0(VALU_DEP_1) | instskip(SKIP_3) | instid1(VALU_DEP_1)
	v_cmp_gt_i32_e32 vcc_lo, v4, v1
	v_cndmask_b32_e32 v4, v3, v5, vcc_lo
	s_waitcnt vmcnt(0)
	v_subrev_nc_u32_e32 v3, s20, v6
	v_cmpx_ne_u32_e64 v3, v4
	s_cbranch_execz .LBB46_34
; %bb.40:                               ;   in Loop: Header=BB46_35 Depth=1
	v_add_co_u32 v5, vcc_lo, s12, v1
	v_add_co_ci_u32_e32 v6, vcc_lo, s13, v2, vcc_lo
	v_ashrrev_i32_e32 v2, 31, v4
	v_add_co_u32 v4, vcc_lo, s14, v4
	global_load_i8 v6, v[5:6], off
	v_add_co_ci_u32_e32 v5, vcc_lo, s15, v2, vcc_lo
	global_load_i8 v5, v[4:5], off
	v_ashrrev_i32_e32 v4, 31, v3
	s_delay_alu instid0(VALU_DEP_1) | instskip(NEXT) | instid1(VALU_DEP_1)
	v_lshlrev_b64 v[2:3], 2, v[3:4]
	v_add_co_u32 v2, vcc_lo, s16, v2
	s_delay_alu instid0(VALU_DEP_2) | instskip(SKIP_3) | instid1(VALU_DEP_1)
	v_add_co_ci_u32_e32 v3, vcc_lo, s17, v3, vcc_lo
	s_waitcnt vmcnt(1)
	v_mul_lo_u32 v6, s26, v6
	s_waitcnt vmcnt(0)
	v_mul_lo_u32 v4, v6, v5
	global_atomic_add_u32 v[2:3], v4, off
	s_branch .LBB46_34
.LBB46_41:
	s_or_b32 exec_lo, exec_lo, s4
	s_mov_b32 s2, 0
.LBB46_42:
	s_delay_alu instid0(SALU_CYCLE_1)
	s_and_b32 vcc_lo, exec_lo, s2
	s_cbranch_vccz .LBB46_163
; %bb.43:
	s_ashr_i32 s3, s18, 31
	s_mov_b32 s2, s18
	s_sub_i32 s7, 0, s21
	s_lshl_b64 s[2:3], s[2:3], 2
	v_cvt_f32_u32_e32 v1, s21
	s_add_u32 s2, s8, s2
	s_addc_u32 s3, s9, s3
	s_load_b32 s22, s[2:3], 0x0
	s_delay_alu instid0(VALU_DEP_1)
	v_rcp_iflag_f32_e32 v1, v1
	s_clause 0x1
	s_load_b64 s[4:5], s[0:1], 0x4
	s_load_b32 s1, s[0:1], 0x64
	s_waitcnt lgkmcnt(0)
	s_waitcnt_depctr 0xfff
	v_dual_mul_f32 v2, 0x4f7ffffe, v1 :: v_dual_add_nc_u32 v1, s22, v8
	s_delay_alu instid0(VALU_DEP_1) | instskip(NEXT) | instid1(VALU_DEP_2)
	v_cvt_u32_f32_e32 v2, v2
	v_add_nc_u32_e32 v8, 0x300, v1
	s_delay_alu instid0(VALU_DEP_2) | instskip(NEXT) | instid1(VALU_DEP_2)
	v_readfirstlane_b32 s6, v2
	v_cmp_le_i32_e32 vcc_lo, s4, v8
	s_delay_alu instid0(VALU_DEP_2) | instskip(NEXT) | instid1(SALU_CYCLE_1)
	s_mul_i32 s7, s7, s6
	s_mul_hi_u32 s4, s6, s7
	s_and_saveexec_b32 s0, vcc_lo
	s_delay_alu instid0(SALU_CYCLE_1)
	s_xor_b32 s7, exec_lo, s0
	s_cbranch_execz .LBB46_48
; %bb.44:
	s_ashr_i32 s25, s19, 31
	s_mov_b32 s24, s19
	s_delay_alu instid0(SALU_CYCLE_1) | instskip(NEXT) | instid1(SALU_CYCLE_1)
	s_lshl_b64 s[24:25], s[24:25], 2
	s_add_u32 s24, s8, s24
	s_addc_u32 s25, s9, s25
	s_load_b32 s0, s[24:25], 0x0
	s_mov_b32 s24, exec_lo
	s_waitcnt lgkmcnt(0)
	s_sub_i32 s23, s0, s22
	s_delay_alu instid0(SALU_CYCLE_1)
	v_cmpx_gt_i32_e64 s23, v0
	s_cbranch_execz .LBB46_47
; %bb.45:
	v_dual_mov_b32 v2, v0 :: v_dual_mov_b32 v3, v7
	s_sub_i32 s25, s22, s20
	s_mov_b32 s27, 0
	.p2align	6
.LBB46_46:                              ; =>This Inner Loop Header: Depth=1
	s_delay_alu instid0(VALU_DEP_1) | instskip(SKIP_1) | instid1(VALU_DEP_2)
	v_add_nc_u32_e32 v4, s25, v2
	v_add_nc_u32_e32 v2, 0x100, v2
	v_ashrrev_i32_e32 v5, 31, v4
	v_add_co_u32 v4, s0, s12, v4
	s_delay_alu instid0(VALU_DEP_1) | instskip(NEXT) | instid1(VALU_DEP_4)
	v_add_co_ci_u32_e64 v5, s0, s13, v5, s0
	v_cmp_le_i32_e64 s0, s23, v2
	global_load_i8 v4, v[4:5], off
	s_or_b32 s27, s0, s27
	s_waitcnt vmcnt(0)
	v_mul_lo_u32 v4, s26, v4
	ds_store_b32 v3, v4
	v_add_nc_u32_e32 v3, 0x400, v3
	s_and_not1_b32 exec_lo, exec_lo, s27
	s_cbranch_execnz .LBB46_46
.LBB46_47:
	s_or_b32 exec_lo, exec_lo, s24
.LBB46_48:
	s_or_saveexec_b32 s7, s7
	v_ashrrev_i32_e32 v2, 31, v1
	s_and_b32 s1, s1, 0xffff
	s_add_i32 s6, s6, s4
	s_xor_b32 exec_lo, exec_lo, s7
	s_cbranch_execz .LBB46_50
; %bb.49:
	v_add_co_u32 v3, s0, s12, v1
	s_delay_alu instid0(VALU_DEP_1)
	v_add_co_ci_u32_e64 v4, s0, s13, v2, s0
	s_clause 0x3
	global_load_i8 v5, v[3:4], off
	global_load_i8 v6, v[3:4], off offset:256
	global_load_i8 v9, v[3:4], off offset:512
	;; [unrolled: 1-line block ×3, first 2 shown]
	s_waitcnt vmcnt(3)
	v_mul_lo_u32 v4, s26, v5
	s_waitcnt vmcnt(2)
	v_mul_lo_u32 v5, s26, v6
	;; [unrolled: 2-line block ×4, first 2 shown]
	ds_store_2addr_stride64_b32 v7, v4, v5 offset1:4
	ds_store_2addr_stride64_b32 v7, v6, v3 offset0:8 offset1:12
.LBB46_50:
	s_or_b32 exec_lo, exec_lo, s7
	v_lshl_add_u32 v6, v0, 2, 0x1000
	s_mul_hi_u32 s4, s1, s6
	s_mov_b32 s6, exec_lo
	v_cmpx_gt_i32_e64 s5, v0
	s_cbranch_execz .LBB46_53
; %bb.51:
	v_lshl_add_u32 v3, v0, 2, 0x1000
	v_dual_mov_b32 v4, 0 :: v_dual_mov_b32 v5, v0
	s_mov_b32 s7, 0
.LBB46_52:                              ; =>This Inner Loop Header: Depth=1
	s_delay_alu instid0(VALU_DEP_1) | instskip(SKIP_3) | instid1(VALU_DEP_1)
	v_add_nc_u32_e32 v5, 0x100, v5
	ds_store_b32 v3, v4
	v_add_nc_u32_e32 v3, 0x400, v3
	v_cmp_le_i32_e64 s0, s5, v5
	s_or_b32 s7, s0, s7
	s_delay_alu instid0(SALU_CYCLE_1)
	s_and_not1_b32 exec_lo, exec_lo, s7
	s_cbranch_execnz .LBB46_52
.LBB46_53:
	s_or_b32 exec_lo, exec_lo, s6
	s_sub_i32 s0, s19, s5
	s_cmp_ge_i32 s19, s5
	s_waitcnt lgkmcnt(0)
	s_waitcnt_vscnt null, 0x0
	s_cselect_b32 s12, s0, 0
	s_barrier
	buffer_gl0_inv
	s_and_saveexec_b32 s0, vcc_lo
	s_delay_alu instid0(SALU_CYCLE_1)
	s_xor_b32 s6, exec_lo, s0
	s_cbranch_execz .LBB46_70
; %bb.54:
	s_ashr_i32 s25, s19, 31
	s_mov_b32 s24, s19
	s_mov_b32 s13, exec_lo
	s_lshl_b64 s[24:25], s[24:25], 2
	s_delay_alu instid0(SALU_CYCLE_1) | instskip(SKIP_4) | instid1(SALU_CYCLE_1)
	s_add_u32 s24, s8, s24
	s_addc_u32 s25, s9, s25
	s_load_b32 s0, s[24:25], 0x0
	s_waitcnt lgkmcnt(0)
	s_sub_i32 s7, s0, s22
	v_cmpx_gt_i32_e64 s7, v0
	s_cbranch_execz .LBB46_69
; %bb.55:
	s_add_i32 s23, s19, -1
	s_mov_b32 s26, 0
	s_cmp_gt_i32 s23, s18
	s_mov_b32 s27, 0
	s_cselect_b32 s24, -1, 0
	s_add_i32 s25, s19, -2
	s_delay_alu instid0(SALU_CYCLE_1) | instskip(SKIP_1) | instid1(SALU_CYCLE_1)
	s_cmp_lg_u32 s25, s18
	s_cselect_b32 s25, -1, 0
	s_and_b32 s24, s24, s25
	s_sub_i32 s25, s0, s20
	s_branch .LBB46_58
.LBB46_56:                              ;   in Loop: Header=BB46_58 Depth=1
	s_or_b32 exec_lo, exec_lo, s0
.LBB46_57:                              ;   in Loop: Header=BB46_58 Depth=1
	s_delay_alu instid0(SALU_CYCLE_1) | instskip(SKIP_3) | instid1(VALU_DEP_2)
	s_or_b32 exec_lo, exec_lo, s28
	v_ashrrev_i32_e32 v4, 31, v3
	v_add_co_u32 v3, vcc_lo, s14, v3
	s_addk_i32 s27, 0x100
	v_add_co_ci_u32_e32 v4, vcc_lo, s15, v4, vcc_lo
	global_load_i8 v3, v[3:4], off
	v_add_nc_u32_e32 v4, s27, v0
	s_delay_alu instid0(VALU_DEP_1)
	v_cmp_le_i32_e32 vcc_lo, s7, v4
	s_or_b32 s26, vcc_lo, s26
	s_waitcnt vmcnt(0) lgkmcnt(0)
	v_mul_lo_u32 v3, v5, v3
	ds_store_b32 v2, v3
	s_and_not1_b32 exec_lo, exec_lo, s26
	s_cbranch_execz .LBB46_69
.LBB46_58:                              ; =>This Loop Header: Depth=1
                                        ;     Child Loop BB46_60 Depth 2
	v_add_nc_u32_e32 v2, s27, v1
	v_mov_b32_e32 v8, s18
	v_mov_b32_e32 v4, s23
	s_and_not1_b32 vcc_lo, exec_lo, s24
	s_cbranch_vccnz .LBB46_62
; %bb.59:                               ;   in Loop: Header=BB46_58 Depth=1
	v_mov_b32_e32 v8, s18
	v_mov_b32_e32 v4, s23
	s_mov_b32 s28, 0
	.p2align	6
.LBB46_60:                              ;   Parent Loop BB46_58 Depth=1
                                        ; =>  This Inner Loop Header: Depth=2
	s_delay_alu instid0(VALU_DEP_1) | instskip(NEXT) | instid1(VALU_DEP_1)
	v_add_nc_u32_e32 v3, v4, v8
	v_lshrrev_b32_e32 v5, 31, v3
	s_delay_alu instid0(VALU_DEP_1) | instskip(NEXT) | instid1(VALU_DEP_1)
	v_add_nc_u32_e32 v3, v3, v5
	v_ashrrev_i32_e32 v9, 1, v3
	s_delay_alu instid0(VALU_DEP_1) | instskip(NEXT) | instid1(VALU_DEP_1)
	v_ashrrev_i32_e32 v10, 31, v9
	v_lshlrev_b64 v[10:11], 2, v[9:10]
	s_delay_alu instid0(VALU_DEP_1) | instskip(NEXT) | instid1(VALU_DEP_2)
	v_add_co_u32 v10, vcc_lo, s8, v10
	v_add_co_ci_u32_e32 v11, vcc_lo, s9, v11, vcc_lo
	global_load_b32 v3, v[10:11], off
	s_waitcnt vmcnt(0)
	v_subrev_nc_u32_e32 v3, s20, v3
	s_delay_alu instid0(VALU_DEP_1) | instskip(SKIP_2) | instid1(VALU_DEP_1)
	v_cmp_gt_i32_e32 vcc_lo, v3, v2
	v_cndmask_b32_e32 v8, v9, v8, vcc_lo
	v_cndmask_b32_e32 v4, v4, v9, vcc_lo
	v_add_nc_u32_e32 v3, -1, v4
	s_delay_alu instid0(VALU_DEP_3) | instskip(NEXT) | instid1(VALU_DEP_2)
	v_cmp_ge_i32_e32 vcc_lo, v8, v4
	v_cmp_eq_u32_e64 s0, v8, v3
	s_delay_alu instid0(VALU_DEP_1) | instskip(NEXT) | instid1(SALU_CYCLE_1)
	s_or_b32 s0, vcc_lo, s0
	s_and_b32 s0, exec_lo, s0
	s_delay_alu instid0(SALU_CYCLE_1) | instskip(NEXT) | instid1(SALU_CYCLE_1)
	s_or_b32 s28, s0, s28
	s_and_not1_b32 exec_lo, exec_lo, s28
	s_cbranch_execnz .LBB46_60
; %bb.61:                               ;   in Loop: Header=BB46_58 Depth=1
	s_or_b32 exec_lo, exec_lo, s28
.LBB46_62:                              ;   in Loop: Header=BB46_58 Depth=1
	s_delay_alu instid0(VALU_DEP_1) | instskip(SKIP_2) | instid1(VALU_DEP_3)
	v_ashrrev_i32_e32 v5, 31, v4
	v_ashrrev_i32_e32 v3, 31, v2
	v_cmp_le_i32_e64 s0, s25, v2
	v_lshlrev_b64 v[9:10], 2, v[4:5]
	s_delay_alu instid0(VALU_DEP_3) | instskip(NEXT) | instid1(VALU_DEP_2)
	v_lshlrev_b64 v[11:12], 2, v[2:3]
	v_add_co_u32 v9, vcc_lo, s8, v9
	s_delay_alu instid0(VALU_DEP_3) | instskip(NEXT) | instid1(VALU_DEP_3)
	v_add_co_ci_u32_e32 v10, vcc_lo, s9, v10, vcc_lo
	v_add_co_u32 v11, vcc_lo, s10, v11
	s_delay_alu instid0(VALU_DEP_4)
	v_add_co_ci_u32_e32 v12, vcc_lo, s11, v12, vcc_lo
	global_load_b32 v3, v[9:10], off
	global_load_b32 v5, v[11:12], off
	s_waitcnt vmcnt(1)
	v_subrev_nc_u32_e32 v9, s20, v3
	s_waitcnt vmcnt(0)
	v_subrev_nc_u32_e32 v3, s20, v5
                                        ; implicit-def: $vgpr5
	s_delay_alu instid0(VALU_DEP_2) | instskip(SKIP_2) | instid1(VALU_DEP_1)
	v_cmp_gt_i32_e32 vcc_lo, v9, v2
	v_lshl_add_u32 v2, s27, 2, v7
	v_cndmask_b32_e32 v4, v4, v8, vcc_lo
	v_cmp_eq_u32_e32 vcc_lo, v3, v4
	s_or_b32 s0, vcc_lo, s0
	s_delay_alu instid0(SALU_CYCLE_1) | instskip(NEXT) | instid1(SALU_CYCLE_1)
	s_and_saveexec_b32 s28, s0
	s_xor_b32 s0, exec_lo, s28
	s_cbranch_execz .LBB46_64
; %bb.63:                               ;   in Loop: Header=BB46_58 Depth=1
	ds_load_b32 v5, v2
                                        ; implicit-def: $vgpr4
.LBB46_64:                              ;   in Loop: Header=BB46_58 Depth=1
	s_and_not1_saveexec_b32 s28, s0
	s_cbranch_execz .LBB46_57
; %bb.65:                               ;   in Loop: Header=BB46_58 Depth=1
	s_waitcnt lgkmcnt(0)
	v_ashrrev_i32_e32 v5, 31, v4
	v_add_co_u32 v4, vcc_lo, s14, v4
	v_cmp_le_i32_e64 s0, s19, v3
	s_delay_alu instid0(VALU_DEP_3)
	v_add_co_ci_u32_e32 v5, vcc_lo, s15, v5, vcc_lo
	v_cmp_gt_i32_e32 vcc_lo, s12, v3
	global_load_i8 v4, v[4:5], off
	ds_load_b32 v5, v2
	s_or_b32 s0, vcc_lo, s0
	s_waitcnt vmcnt(0) lgkmcnt(0)
	v_mul_lo_u32 v8, v5, v4
	s_and_saveexec_b32 s29, s0
	s_delay_alu instid0(SALU_CYCLE_1)
	s_xor_b32 s0, exec_lo, s29
	s_cbranch_execz .LBB46_67
; %bb.66:                               ;   in Loop: Header=BB46_58 Depth=1
	v_ashrrev_i32_e32 v4, 31, v3
	s_delay_alu instid0(VALU_DEP_1) | instskip(NEXT) | instid1(VALU_DEP_1)
	v_lshlrev_b64 v[9:10], 2, v[3:4]
	v_add_co_u32 v9, vcc_lo, s16, v9
	s_delay_alu instid0(VALU_DEP_2)
	v_add_co_ci_u32_e32 v10, vcc_lo, s17, v10, vcc_lo
	global_atomic_add_u32 v[9:10], v8, off
                                        ; implicit-def: $vgpr8
.LBB46_67:                              ;   in Loop: Header=BB46_58 Depth=1
	s_and_not1_saveexec_b32 s0, s0
	s_cbranch_execz .LBB46_56
; %bb.68:                               ;   in Loop: Header=BB46_58 Depth=1
	v_subrev_nc_u32_e32 v4, s12, v3
	s_delay_alu instid0(VALU_DEP_1)
	v_lshl_add_u32 v4, v4, 2, 0x1000
	ds_add_u32 v4, v8
	s_branch .LBB46_56
.LBB46_69:
	s_or_b32 exec_lo, exec_lo, s13
                                        ; implicit-def: $vgpr8
                                        ; implicit-def: $vgpr1
.LBB46_70:
	s_and_not1_saveexec_b32 s13, s6
	s_cbranch_execz .LBB46_128
; %bb.71:
	s_add_i32 s23, s19, -1
	s_delay_alu instid0(SALU_CYCLE_1) | instskip(SKIP_3) | instid1(SALU_CYCLE_1)
	v_dual_mov_b32 v9, s18 :: v_dual_mov_b32 v4, s23
	s_cmp_le_i32 s23, s18
	s_cselect_b32 s0, -1, 0
	s_add_i32 s6, s19, -2
	s_cmp_eq_u32 s6, s18
	s_cselect_b32 s6, -1, 0
	s_delay_alu instid0(SALU_CYCLE_1) | instskip(NEXT) | instid1(SALU_CYCLE_1)
	s_or_b32 s6, s0, s6
	s_and_b32 vcc_lo, exec_lo, s6
	s_cbranch_vccnz .LBB46_75
; %bb.72:
	v_dual_mov_b32 v9, s18 :: v_dual_mov_b32 v4, s23
	s_mov_b32 s7, 0
	.p2align	6
.LBB46_73:                              ; =>This Inner Loop Header: Depth=1
	s_delay_alu instid0(VALU_DEP_1) | instskip(NEXT) | instid1(VALU_DEP_1)
	v_add_nc_u32_e32 v3, v4, v9
	v_lshrrev_b32_e32 v5, 31, v3
	s_delay_alu instid0(VALU_DEP_1) | instskip(NEXT) | instid1(VALU_DEP_1)
	v_add_nc_u32_e32 v3, v3, v5
	v_ashrrev_i32_e32 v10, 1, v3
	s_delay_alu instid0(VALU_DEP_1) | instskip(NEXT) | instid1(VALU_DEP_1)
	v_ashrrev_i32_e32 v11, 31, v10
	v_lshlrev_b64 v[11:12], 2, v[10:11]
	s_delay_alu instid0(VALU_DEP_1) | instskip(NEXT) | instid1(VALU_DEP_2)
	v_add_co_u32 v11, vcc_lo, s8, v11
	v_add_co_ci_u32_e32 v12, vcc_lo, s9, v12, vcc_lo
	global_load_b32 v3, v[11:12], off
	s_waitcnt vmcnt(0)
	v_subrev_nc_u32_e32 v3, s20, v3
	s_delay_alu instid0(VALU_DEP_1) | instskip(SKIP_1) | instid1(VALU_DEP_1)
	v_cmp_gt_i32_e32 vcc_lo, v3, v1
	v_dual_cndmask_b32 v4, v4, v10 :: v_dual_cndmask_b32 v9, v10, v9
	v_add_nc_u32_e32 v3, -1, v4
	s_delay_alu instid0(VALU_DEP_2) | instskip(NEXT) | instid1(VALU_DEP_2)
	v_cmp_ge_i32_e32 vcc_lo, v9, v4
	v_cmp_eq_u32_e64 s0, v9, v3
	s_delay_alu instid0(VALU_DEP_1) | instskip(NEXT) | instid1(SALU_CYCLE_1)
	s_or_b32 s0, vcc_lo, s0
	s_and_b32 s0, exec_lo, s0
	s_delay_alu instid0(SALU_CYCLE_1) | instskip(NEXT) | instid1(SALU_CYCLE_1)
	s_or_b32 s7, s0, s7
	s_and_not1_b32 exec_lo, exec_lo, s7
	s_cbranch_execnz .LBB46_73
; %bb.74:
	s_or_b32 exec_lo, exec_lo, s7
.LBB46_75:
	v_ashrrev_i32_e32 v5, 31, v4
	v_lshlrev_b64 v[2:3], 2, v[1:2]
	s_xor_b32 s24, s6, -1
	s_ashr_i32 s7, s19, 31
	s_mov_b32 s6, s19
	v_lshlrev_b64 v[10:11], 2, v[4:5]
	s_lshl_b64 s[6:7], s[6:7], 2
	s_mov_b32 s0, exec_lo
	s_add_u32 s6, s8, s6
	s_addc_u32 s7, s9, s7
	s_delay_alu instid0(VALU_DEP_1)
	v_add_co_u32 v10, vcc_lo, s8, v10
	v_add_co_ci_u32_e32 v11, vcc_lo, s9, v11, vcc_lo
	v_add_co_u32 v2, vcc_lo, s10, v2
	v_add_co_ci_u32_e32 v3, vcc_lo, s11, v3, vcc_lo
	global_load_b32 v5, v[10:11], off
	global_load_b32 v10, v[2:3], off
	s_waitcnt vmcnt(1)
	v_subrev_nc_u32_e32 v5, s20, v5
	s_delay_alu instid0(VALU_DEP_1) | instskip(SKIP_3) | instid1(VALU_DEP_1)
	v_cmp_gt_i32_e32 vcc_lo, v5, v1
	v_cndmask_b32_e32 v5, v4, v9, vcc_lo
	s_waitcnt vmcnt(0)
	v_subrev_nc_u32_e32 v4, s20, v10
                                        ; implicit-def: $vgpr10
	v_cmpx_ne_u32_e64 v4, v5
	s_xor_b32 s10, exec_lo, s0
	s_cbranch_execz .LBB46_83
; %bb.76:
	s_load_b32 s0, s[6:7], 0x0
	ds_load_b32 v10, v7
	s_mov_b32 s11, exec_lo
	s_waitcnt lgkmcnt(0)
	s_sub_i32 s0, s0, s20
	s_delay_alu instid0(SALU_CYCLE_1)
	v_cmpx_gt_i32_e64 s0, v1
	s_cbranch_execz .LBB46_82
; %bb.77:
	v_ashrrev_i32_e32 v9, 31, v5
	v_add_co_u32 v11, vcc_lo, s14, v5
	v_cmp_le_i32_e64 s0, s19, v4
	s_delay_alu instid0(VALU_DEP_3)
	v_add_co_ci_u32_e32 v12, vcc_lo, s15, v9, vcc_lo
	v_cmp_gt_i32_e32 vcc_lo, s12, v4
	global_load_i8 v5, v[11:12], off
	s_or_b32 s0, vcc_lo, s0
	s_waitcnt vmcnt(0)
	v_mul_lo_u32 v9, v10, v5
	s_and_saveexec_b32 s25, s0
	s_delay_alu instid0(SALU_CYCLE_1)
	s_xor_b32 s0, exec_lo, s25
	s_cbranch_execz .LBB46_79
; %bb.78:
	v_ashrrev_i32_e32 v5, 31, v4
	s_delay_alu instid0(VALU_DEP_1) | instskip(NEXT) | instid1(VALU_DEP_1)
	v_lshlrev_b64 v[11:12], 2, v[4:5]
	v_add_co_u32 v11, vcc_lo, s16, v11
	s_delay_alu instid0(VALU_DEP_2)
	v_add_co_ci_u32_e32 v12, vcc_lo, s17, v12, vcc_lo
	global_atomic_add_u32 v[11:12], v9, off
                                        ; implicit-def: $vgpr9
.LBB46_79:
	s_and_not1_saveexec_b32 s0, s0
	s_cbranch_execz .LBB46_81
; %bb.80:
	v_subrev_nc_u32_e32 v5, s12, v4
	s_delay_alu instid0(VALU_DEP_1)
	v_lshl_add_u32 v5, v5, 2, 0x1000
	ds_add_u32 v5, v9
.LBB46_81:
	s_or_b32 exec_lo, exec_lo, s0
.LBB46_82:
	s_delay_alu instid0(SALU_CYCLE_1)
	s_or_b32 exec_lo, exec_lo, s11
.LBB46_83:
	s_and_not1_saveexec_b32 s0, s10
	s_cbranch_execz .LBB46_85
; %bb.84:
	ds_load_b32 v10, v7
.LBB46_85:
	s_or_b32 exec_lo, exec_lo, s0
	v_ashrrev_i32_e32 v5, 31, v4
	v_add_co_u32 v4, vcc_lo, s14, v4
	v_cndmask_b32_e64 v9, 0, 1, s24
	v_mov_b32_e32 v11, s18
	s_delay_alu instid0(VALU_DEP_4)
	v_add_co_ci_u32_e32 v5, vcc_lo, s15, v5, vcc_lo
	s_and_not1_b32 vcc_lo, exec_lo, s24
	global_load_i8 v4, v[4:5], off
	s_waitcnt vmcnt(0) lgkmcnt(0)
	v_mul_lo_u32 v5, v10, v4
	v_add_nc_u32_e32 v10, 0x100, v1
	v_mov_b32_e32 v4, s23
	ds_store_b32 v7, v5
	s_cbranch_vccnz .LBB46_89
; %bb.86:
	v_dual_mov_b32 v11, s18 :: v_dual_mov_b32 v4, s23
	s_mov_b32 s10, 0
	.p2align	6
.LBB46_87:                              ; =>This Inner Loop Header: Depth=1
	s_delay_alu instid0(VALU_DEP_1) | instskip(NEXT) | instid1(VALU_DEP_1)
	v_add_nc_u32_e32 v5, v4, v11
	v_lshrrev_b32_e32 v12, 31, v5
	s_delay_alu instid0(VALU_DEP_1) | instskip(NEXT) | instid1(VALU_DEP_1)
	v_add_nc_u32_e32 v5, v5, v12
	v_ashrrev_i32_e32 v12, 1, v5
	s_delay_alu instid0(VALU_DEP_1) | instskip(NEXT) | instid1(VALU_DEP_1)
	v_ashrrev_i32_e32 v13, 31, v12
	v_lshlrev_b64 v[13:14], 2, v[12:13]
	s_delay_alu instid0(VALU_DEP_1) | instskip(NEXT) | instid1(VALU_DEP_2)
	v_add_co_u32 v13, vcc_lo, s8, v13
	v_add_co_ci_u32_e32 v14, vcc_lo, s9, v14, vcc_lo
	global_load_b32 v5, v[13:14], off
	s_waitcnt vmcnt(0)
	v_subrev_nc_u32_e32 v5, s20, v5
	s_delay_alu instid0(VALU_DEP_1) | instskip(SKIP_2) | instid1(VALU_DEP_2)
	v_cmp_gt_i32_e32 vcc_lo, v5, v10
	v_cndmask_b32_e32 v4, v4, v12, vcc_lo
	v_cndmask_b32_e32 v11, v12, v11, vcc_lo
	v_add_nc_u32_e32 v5, -1, v4
	s_delay_alu instid0(VALU_DEP_2) | instskip(NEXT) | instid1(VALU_DEP_2)
	v_cmp_ge_i32_e32 vcc_lo, v11, v4
	v_cmp_eq_u32_e64 s0, v11, v5
	s_delay_alu instid0(VALU_DEP_1) | instskip(NEXT) | instid1(SALU_CYCLE_1)
	s_or_b32 s0, vcc_lo, s0
	s_and_b32 s0, exec_lo, s0
	s_delay_alu instid0(SALU_CYCLE_1) | instskip(NEXT) | instid1(SALU_CYCLE_1)
	s_or_b32 s10, s0, s10
	s_and_not1_b32 exec_lo, exec_lo, s10
	s_cbranch_execnz .LBB46_87
; %bb.88:
	s_or_b32 exec_lo, exec_lo, s10
.LBB46_89:
	v_ashrrev_i32_e32 v5, 31, v4
	s_mov_b32 s0, exec_lo
	s_delay_alu instid0(VALU_DEP_1) | instskip(NEXT) | instid1(VALU_DEP_1)
	v_lshlrev_b64 v[12:13], 2, v[4:5]
	v_add_co_u32 v12, vcc_lo, s8, v12
	s_delay_alu instid0(VALU_DEP_2) | instskip(SKIP_4) | instid1(VALU_DEP_1)
	v_add_co_ci_u32_e32 v13, vcc_lo, s9, v13, vcc_lo
	global_load_b32 v5, v[12:13], off
	global_load_b32 v12, v[2:3], off offset:1024
	s_waitcnt vmcnt(1)
	v_subrev_nc_u32_e32 v5, s20, v5
	v_cmp_gt_i32_e32 vcc_lo, v5, v10
	v_cndmask_b32_e32 v5, v4, v11, vcc_lo
	s_waitcnt vmcnt(0)
	v_subrev_nc_u32_e32 v4, s20, v12
                                        ; implicit-def: $vgpr11
	s_delay_alu instid0(VALU_DEP_1)
	v_cmpx_ne_u32_e64 v4, v5
	s_xor_b32 s10, exec_lo, s0
	s_cbranch_execz .LBB46_97
; %bb.90:
	s_load_b32 s0, s[6:7], 0x0
	ds_load_b32 v11, v7 offset:1024
	s_mov_b32 s11, exec_lo
	s_waitcnt lgkmcnt(0)
	s_sub_i32 s0, s0, s20
	s_delay_alu instid0(SALU_CYCLE_1)
	v_cmpx_gt_i32_e64 s0, v10
	s_cbranch_execz .LBB46_96
; %bb.91:
	v_ashrrev_i32_e32 v10, 31, v5
	v_add_co_u32 v12, vcc_lo, s14, v5
	v_cmp_le_i32_e64 s0, s19, v4
	s_delay_alu instid0(VALU_DEP_3)
	v_add_co_ci_u32_e32 v13, vcc_lo, s15, v10, vcc_lo
	v_cmp_gt_i32_e32 vcc_lo, s12, v4
	global_load_i8 v5, v[12:13], off
	s_or_b32 s0, vcc_lo, s0
	s_waitcnt vmcnt(0)
	v_mul_lo_u32 v10, v11, v5
	s_and_saveexec_b32 s24, s0
	s_delay_alu instid0(SALU_CYCLE_1)
	s_xor_b32 s0, exec_lo, s24
	s_cbranch_execz .LBB46_93
; %bb.92:
	v_ashrrev_i32_e32 v5, 31, v4
	s_delay_alu instid0(VALU_DEP_1) | instskip(NEXT) | instid1(VALU_DEP_1)
	v_lshlrev_b64 v[12:13], 2, v[4:5]
	v_add_co_u32 v12, vcc_lo, s16, v12
	s_delay_alu instid0(VALU_DEP_2)
	v_add_co_ci_u32_e32 v13, vcc_lo, s17, v13, vcc_lo
	global_atomic_add_u32 v[12:13], v10, off
                                        ; implicit-def: $vgpr10
.LBB46_93:
	s_and_not1_saveexec_b32 s0, s0
	s_cbranch_execz .LBB46_95
; %bb.94:
	v_subrev_nc_u32_e32 v5, s12, v4
	s_delay_alu instid0(VALU_DEP_1)
	v_lshl_add_u32 v5, v5, 2, 0x1000
	ds_add_u32 v5, v10
.LBB46_95:
	s_or_b32 exec_lo, exec_lo, s0
.LBB46_96:
	s_delay_alu instid0(SALU_CYCLE_1)
	s_or_b32 exec_lo, exec_lo, s11
.LBB46_97:
	s_and_not1_saveexec_b32 s0, s10
	s_cbranch_execz .LBB46_99
; %bb.98:
	ds_load_b32 v11, v7 offset:1024
.LBB46_99:
	s_or_b32 exec_lo, exec_lo, s0
	v_ashrrev_i32_e32 v5, 31, v4
	v_add_co_u32 v4, vcc_lo, s14, v4
	v_dual_mov_b32 v10, s18 :: v_dual_add_nc_u32 v1, 0x200, v1
	s_delay_alu instid0(VALU_DEP_3)
	v_add_co_ci_u32_e32 v5, vcc_lo, s15, v5, vcc_lo
	v_cmp_ne_u32_e32 vcc_lo, 1, v9
	global_load_i8 v4, v[4:5], off
	s_and_b32 vcc_lo, exec_lo, vcc_lo
	s_waitcnt vmcnt(0) lgkmcnt(0)
	v_mul_lo_u32 v5, v11, v4
	v_mov_b32_e32 v4, s23
	ds_store_b32 v7, v5 offset:1024
	s_cbranch_vccnz .LBB46_103
; %bb.100:
	v_mov_b32_e32 v10, s18
	v_mov_b32_e32 v4, s23
	s_mov_b32 s10, 0
	.p2align	6
.LBB46_101:                             ; =>This Inner Loop Header: Depth=1
	s_delay_alu instid0(VALU_DEP_1) | instskip(NEXT) | instid1(VALU_DEP_1)
	v_add_nc_u32_e32 v5, v4, v10
	v_lshrrev_b32_e32 v11, 31, v5
	s_delay_alu instid0(VALU_DEP_1) | instskip(NEXT) | instid1(VALU_DEP_1)
	v_add_nc_u32_e32 v5, v5, v11
	v_ashrrev_i32_e32 v11, 1, v5
	s_delay_alu instid0(VALU_DEP_1) | instskip(NEXT) | instid1(VALU_DEP_1)
	v_ashrrev_i32_e32 v12, 31, v11
	v_lshlrev_b64 v[12:13], 2, v[11:12]
	s_delay_alu instid0(VALU_DEP_1) | instskip(NEXT) | instid1(VALU_DEP_2)
	v_add_co_u32 v12, vcc_lo, s8, v12
	v_add_co_ci_u32_e32 v13, vcc_lo, s9, v13, vcc_lo
	global_load_b32 v5, v[12:13], off
	s_waitcnt vmcnt(0)
	v_subrev_nc_u32_e32 v5, s20, v5
	s_delay_alu instid0(VALU_DEP_1) | instskip(SKIP_2) | instid1(VALU_DEP_1)
	v_cmp_gt_i32_e32 vcc_lo, v5, v1
	v_cndmask_b32_e32 v10, v11, v10, vcc_lo
	v_cndmask_b32_e32 v4, v4, v11, vcc_lo
	v_add_nc_u32_e32 v5, -1, v4
	s_delay_alu instid0(VALU_DEP_3) | instskip(NEXT) | instid1(VALU_DEP_2)
	v_cmp_ge_i32_e32 vcc_lo, v10, v4
	v_cmp_eq_u32_e64 s0, v10, v5
	s_delay_alu instid0(VALU_DEP_1) | instskip(NEXT) | instid1(SALU_CYCLE_1)
	s_or_b32 s0, vcc_lo, s0
	s_and_b32 s0, exec_lo, s0
	s_delay_alu instid0(SALU_CYCLE_1) | instskip(NEXT) | instid1(SALU_CYCLE_1)
	s_or_b32 s10, s0, s10
	s_and_not1_b32 exec_lo, exec_lo, s10
	s_cbranch_execnz .LBB46_101
; %bb.102:
	s_or_b32 exec_lo, exec_lo, s10
.LBB46_103:
	v_ashrrev_i32_e32 v5, 31, v4
	s_mov_b32 s0, exec_lo
	s_delay_alu instid0(VALU_DEP_1) | instskip(NEXT) | instid1(VALU_DEP_1)
	v_lshlrev_b64 v[11:12], 2, v[4:5]
	v_add_co_u32 v11, vcc_lo, s8, v11
	s_delay_alu instid0(VALU_DEP_2) | instskip(SKIP_4) | instid1(VALU_DEP_1)
	v_add_co_ci_u32_e32 v12, vcc_lo, s9, v12, vcc_lo
	global_load_b32 v5, v[11:12], off
	global_load_b32 v11, v[2:3], off offset:2048
	s_waitcnt vmcnt(1)
	v_subrev_nc_u32_e32 v5, s20, v5
	v_cmp_gt_i32_e32 vcc_lo, v5, v1
	v_cndmask_b32_e32 v5, v4, v10, vcc_lo
	s_waitcnt vmcnt(0)
	v_subrev_nc_u32_e32 v4, s20, v11
                                        ; implicit-def: $vgpr10
	s_delay_alu instid0(VALU_DEP_1)
	v_cmpx_ne_u32_e64 v4, v5
	s_xor_b32 s10, exec_lo, s0
	s_cbranch_execz .LBB46_111
; %bb.104:
	s_load_b32 s0, s[6:7], 0x0
	ds_load_b32 v10, v7 offset:2048
	s_mov_b32 s11, exec_lo
	s_waitcnt lgkmcnt(0)
	s_sub_i32 s0, s0, s20
	s_delay_alu instid0(SALU_CYCLE_1)
	v_cmpx_gt_i32_e64 s0, v1
	s_cbranch_execz .LBB46_110
; %bb.105:
	v_ashrrev_i32_e32 v1, 31, v5
	v_add_co_u32 v11, vcc_lo, s14, v5
	v_cmp_le_i32_e64 s0, s19, v4
	s_delay_alu instid0(VALU_DEP_3)
	v_add_co_ci_u32_e32 v12, vcc_lo, s15, v1, vcc_lo
	v_cmp_gt_i32_e32 vcc_lo, s12, v4
	global_load_i8 v1, v[11:12], off
	s_or_b32 s0, vcc_lo, s0
	s_waitcnt vmcnt(0)
	v_mul_lo_u32 v1, v10, v1
	s_and_saveexec_b32 s24, s0
	s_delay_alu instid0(SALU_CYCLE_1)
	s_xor_b32 s0, exec_lo, s24
	s_cbranch_execz .LBB46_107
; %bb.106:
	v_ashrrev_i32_e32 v5, 31, v4
	s_delay_alu instid0(VALU_DEP_1) | instskip(NEXT) | instid1(VALU_DEP_1)
	v_lshlrev_b64 v[11:12], 2, v[4:5]
	v_add_co_u32 v11, vcc_lo, s16, v11
	s_delay_alu instid0(VALU_DEP_2)
	v_add_co_ci_u32_e32 v12, vcc_lo, s17, v12, vcc_lo
	global_atomic_add_u32 v[11:12], v1, off
                                        ; implicit-def: $vgpr1
.LBB46_107:
	s_and_not1_saveexec_b32 s0, s0
	s_cbranch_execz .LBB46_109
; %bb.108:
	v_subrev_nc_u32_e32 v5, s12, v4
	s_delay_alu instid0(VALU_DEP_1)
	v_lshl_add_u32 v5, v5, 2, 0x1000
	ds_add_u32 v5, v1
.LBB46_109:
	s_or_b32 exec_lo, exec_lo, s0
.LBB46_110:
	s_delay_alu instid0(SALU_CYCLE_1)
	s_or_b32 exec_lo, exec_lo, s11
.LBB46_111:
	s_and_not1_saveexec_b32 s0, s10
	s_cbranch_execz .LBB46_113
; %bb.112:
	ds_load_b32 v10, v7 offset:2048
.LBB46_113:
	s_or_b32 exec_lo, exec_lo, s0
	v_ashrrev_i32_e32 v1, 31, v4
	v_add_co_u32 v4, vcc_lo, s14, v4
	s_delay_alu instid0(VALU_DEP_2)
	v_add_co_ci_u32_e32 v5, vcc_lo, s15, v1, vcc_lo
	v_cmp_ne_u32_e32 vcc_lo, 1, v9
	global_load_i8 v1, v[4:5], off
	v_mov_b32_e32 v4, s23
	s_and_b32 vcc_lo, exec_lo, vcc_lo
	s_waitcnt vmcnt(0) lgkmcnt(0)
	v_mul_lo_u32 v5, v10, v1
	v_mov_b32_e32 v1, s18
	ds_store_b32 v7, v5 offset:2048
	s_cbranch_vccnz .LBB46_117
; %bb.114:
	v_dual_mov_b32 v1, s18 :: v_dual_mov_b32 v4, s23
	s_mov_b32 s10, 0
	.p2align	6
.LBB46_115:                             ; =>This Inner Loop Header: Depth=1
	s_delay_alu instid0(VALU_DEP_1) | instskip(NEXT) | instid1(VALU_DEP_1)
	v_add_nc_u32_e32 v5, v4, v1
	v_lshrrev_b32_e32 v9, 31, v5
	s_delay_alu instid0(VALU_DEP_1) | instskip(NEXT) | instid1(VALU_DEP_1)
	v_add_nc_u32_e32 v5, v5, v9
	v_ashrrev_i32_e32 v9, 1, v5
	s_delay_alu instid0(VALU_DEP_1) | instskip(NEXT) | instid1(VALU_DEP_1)
	v_ashrrev_i32_e32 v10, 31, v9
	v_lshlrev_b64 v[10:11], 2, v[9:10]
	s_delay_alu instid0(VALU_DEP_1) | instskip(NEXT) | instid1(VALU_DEP_2)
	v_add_co_u32 v10, vcc_lo, s8, v10
	v_add_co_ci_u32_e32 v11, vcc_lo, s9, v11, vcc_lo
	global_load_b32 v5, v[10:11], off
	s_waitcnt vmcnt(0)
	v_subrev_nc_u32_e32 v5, s20, v5
	s_delay_alu instid0(VALU_DEP_1) | instskip(SKIP_2) | instid1(VALU_DEP_2)
	v_cmp_gt_i32_e32 vcc_lo, v5, v8
	v_cndmask_b32_e32 v4, v4, v9, vcc_lo
	v_cndmask_b32_e32 v1, v9, v1, vcc_lo
	v_add_nc_u32_e32 v5, -1, v4
	s_delay_alu instid0(VALU_DEP_2) | instskip(NEXT) | instid1(VALU_DEP_2)
	v_cmp_ge_i32_e32 vcc_lo, v1, v4
	v_cmp_eq_u32_e64 s0, v1, v5
	s_delay_alu instid0(VALU_DEP_1) | instskip(NEXT) | instid1(SALU_CYCLE_1)
	s_or_b32 s0, vcc_lo, s0
	s_and_b32 s0, exec_lo, s0
	s_delay_alu instid0(SALU_CYCLE_1) | instskip(NEXT) | instid1(SALU_CYCLE_1)
	s_or_b32 s10, s0, s10
	s_and_not1_b32 exec_lo, exec_lo, s10
	s_cbranch_execnz .LBB46_115
; %bb.116:
	s_or_b32 exec_lo, exec_lo, s10
.LBB46_117:
	v_ashrrev_i32_e32 v5, 31, v4
	s_mov_b32 s0, exec_lo
	s_delay_alu instid0(VALU_DEP_1) | instskip(NEXT) | instid1(VALU_DEP_1)
	v_lshlrev_b64 v[9:10], 2, v[4:5]
	v_add_co_u32 v9, vcc_lo, s8, v9
	s_delay_alu instid0(VALU_DEP_2) | instskip(SKIP_4) | instid1(VALU_DEP_1)
	v_add_co_ci_u32_e32 v10, vcc_lo, s9, v10, vcc_lo
	global_load_b32 v5, v[9:10], off
	global_load_b32 v3, v[2:3], off offset:3072
	s_waitcnt vmcnt(1)
	v_subrev_nc_u32_e32 v2, s20, v5
	v_cmp_gt_i32_e32 vcc_lo, v2, v8
	v_cndmask_b32_e32 v2, v4, v1, vcc_lo
	s_waitcnt vmcnt(0)
	v_subrev_nc_u32_e32 v1, s20, v3
                                        ; implicit-def: $vgpr3
	s_delay_alu instid0(VALU_DEP_1)
	v_cmpx_ne_u32_e64 v1, v2
	s_xor_b32 s10, exec_lo, s0
	s_cbranch_execz .LBB46_125
; %bb.118:
	s_load_b32 s0, s[6:7], 0x0
	ds_load_b32 v3, v7 offset:3072
	s_mov_b32 s6, exec_lo
	s_waitcnt lgkmcnt(0)
	s_sub_i32 s0, s0, s20
	s_delay_alu instid0(SALU_CYCLE_1)
	v_cmpx_gt_i32_e64 s0, v8
	s_cbranch_execz .LBB46_124
; %bb.119:
	v_ashrrev_i32_e32 v5, 31, v2
	v_add_co_u32 v4, vcc_lo, s14, v2
	v_cmp_le_i32_e64 s0, s19, v1
	s_delay_alu instid0(VALU_DEP_3)
	v_add_co_ci_u32_e32 v5, vcc_lo, s15, v5, vcc_lo
	v_cmp_gt_i32_e32 vcc_lo, s12, v1
	global_load_i8 v2, v[4:5], off
	s_or_b32 s0, vcc_lo, s0
	s_waitcnt vmcnt(0)
	v_mul_lo_u32 v4, v3, v2
	s_and_saveexec_b32 s7, s0
	s_delay_alu instid0(SALU_CYCLE_1)
	s_xor_b32 s0, exec_lo, s7
	s_cbranch_execz .LBB46_121
; %bb.120:
	v_ashrrev_i32_e32 v2, 31, v1
	s_delay_alu instid0(VALU_DEP_1) | instskip(NEXT) | instid1(VALU_DEP_1)
	v_lshlrev_b64 v[8:9], 2, v[1:2]
	v_add_co_u32 v8, vcc_lo, s16, v8
	s_delay_alu instid0(VALU_DEP_2)
	v_add_co_ci_u32_e32 v9, vcc_lo, s17, v9, vcc_lo
	global_atomic_add_u32 v[8:9], v4, off
                                        ; implicit-def: $vgpr4
.LBB46_121:
	s_and_not1_saveexec_b32 s0, s0
	s_cbranch_execz .LBB46_123
; %bb.122:
	v_subrev_nc_u32_e32 v2, s12, v1
	s_delay_alu instid0(VALU_DEP_1)
	v_lshl_add_u32 v2, v2, 2, 0x1000
	ds_add_u32 v2, v4
.LBB46_123:
	s_or_b32 exec_lo, exec_lo, s0
.LBB46_124:
	s_delay_alu instid0(SALU_CYCLE_1)
	s_or_b32 exec_lo, exec_lo, s6
.LBB46_125:
	s_and_not1_saveexec_b32 s0, s10
	s_cbranch_execz .LBB46_127
; %bb.126:
	ds_load_b32 v3, v7 offset:3072
.LBB46_127:
	s_or_b32 exec_lo, exec_lo, s0
	v_ashrrev_i32_e32 v2, 31, v1
	v_add_co_u32 v1, vcc_lo, s14, v1
	s_delay_alu instid0(VALU_DEP_2)
	v_add_co_ci_u32_e32 v2, vcc_lo, s15, v2, vcc_lo
	global_load_i8 v1, v[1:2], off
	s_waitcnt vmcnt(0) lgkmcnt(0)
	v_mul_lo_u32 v1, v3, v1
	ds_store_b32 v7, v1 offset:3072
.LBB46_128:
	s_or_b32 exec_lo, exec_lo, s13
	s_min_i32 s7, s19, s5
	s_mov_b32 s5, exec_lo
	s_sub_i32 s0, s7, s21
	s_waitcnt lgkmcnt(0)
	s_waitcnt_vscnt null, 0x0
	s_barrier
	buffer_gl0_inv
	v_cmpx_gt_i32_e64 s0, v0
	s_cbranch_execz .LBB46_131
; %bb.129:
	v_mov_b32_e32 v1, v0
	s_mov_b32 s6, 0
	.p2align	6
.LBB46_130:                             ; =>This Inner Loop Header: Depth=1
	s_delay_alu instid0(VALU_DEP_1) | instskip(SKIP_4) | instid1(VALU_DEP_1)
	v_add_nc_u32_e32 v2, s12, v1
	ds_load_b32 v4, v6
	v_add_nc_u32_e32 v1, 0x100, v1
	v_add_nc_u32_e32 v6, 0x400, v6
	v_ashrrev_i32_e32 v3, 31, v2
	v_lshlrev_b64 v[2:3], 2, v[2:3]
	s_delay_alu instid0(VALU_DEP_1) | instskip(NEXT) | instid1(VALU_DEP_2)
	v_add_co_u32 v2, vcc_lo, s16, v2
	v_add_co_ci_u32_e32 v3, vcc_lo, s17, v3, vcc_lo
	v_cmp_le_i32_e32 vcc_lo, s0, v1
	s_waitcnt lgkmcnt(0)
	global_atomic_add_u32 v[2:3], v4, off
	s_or_b32 s6, vcc_lo, s6
	s_delay_alu instid0(SALU_CYCLE_1)
	s_and_not1_b32 exec_lo, exec_lo, s6
	s_cbranch_execnz .LBB46_130
.LBB46_131:
	s_or_b32 exec_lo, exec_lo, s5
	s_mul_i32 s5, s4, s21
	s_add_i32 s6, s4, 1
	s_sub_i32 s5, s1, s5
	v_add_nc_u32_e32 v1, s18, v0
	s_sub_i32 s10, s5, s21
	s_cmp_ge_u32 s5, s21
	s_waitcnt_vscnt null, 0x0
	s_cselect_b32 s4, s6, s4
	s_cselect_b32 s5, s10, s5
	s_add_i32 s6, s4, 1
	s_cmp_ge_u32 s5, s21
	s_barrier
	s_cselect_b32 s4, s6, s4
	s_mov_b32 s6, -1
	s_add_i32 s4, s4, -1
	buffer_gl0_inv
	s_ashr_i32 s5, s4, 1
	s_delay_alu instid0(SALU_CYCLE_1) | instskip(NEXT) | instid1(SALU_CYCLE_1)
	s_or_b32 s4, s5, s4
	s_ashr_i32 s5, s4, 2
	s_delay_alu instid0(SALU_CYCLE_1) | instskip(NEXT) | instid1(SALU_CYCLE_1)
	s_or_b32 s4, s5, s4
	;; [unrolled: 3-line block ×5, first 2 shown]
	s_add_i32 s4, s4, 1
	s_delay_alu instid0(SALU_CYCLE_1) | instskip(NEXT) | instid1(SALU_CYCLE_1)
	s_ashr_i32 s5, s4, 1
	s_cmp_gt_i32 s5, 1
	s_cbranch_scc1 .LBB46_140
; %bb.132:
	s_mov_b32 s6, exec_lo
	v_cmpx_gt_i32_e64 s19, v1
	s_cbranch_execz .LBB46_139
; %bb.133:
	s_sub_i32 s7, s7, s19
	v_mov_b32_e32 v2, v1
	s_lshl_b32 s11, s22, 2
	s_lshl_b32 s7, s7, 2
	s_mov_b32 s10, 0
	s_addk_i32 s7, 0x1000
	s_sub_i32 s11, 0, s11
	s_set_inst_prefetch_distance 0x1
	s_branch .LBB46_135
	.p2align	6
.LBB46_134:                             ;   in Loop: Header=BB46_135 Depth=1
	s_or_b32 exec_lo, exec_lo, s12
	v_lshl_add_u32 v5, v2, 2, s7
	v_add_co_u32 v3, vcc_lo, s16, v3
	v_add_co_ci_u32_e32 v4, vcc_lo, s17, v4, vcc_lo
	ds_load_b32 v5, v5
	v_add_nc_u32_e32 v2, s1, v2
	s_delay_alu instid0(VALU_DEP_1)
	v_cmp_le_i32_e32 vcc_lo, s19, v2
	s_or_b32 s10, vcc_lo, s10
	s_waitcnt lgkmcnt(0)
	v_add_nc_u32_e32 v5, v5, v8
	global_atomic_add_u32 v[3:4], v5, off
	s_and_not1_b32 exec_lo, exec_lo, s10
	s_cbranch_execz .LBB46_139
.LBB46_135:                             ; =>This Loop Header: Depth=1
                                        ;     Child Loop BB46_137 Depth 2
	v_ashrrev_i32_e32 v3, 31, v2
	v_mov_b32_e32 v8, 0
	s_mov_b32 s12, exec_lo
	s_delay_alu instid0(VALU_DEP_2) | instskip(NEXT) | instid1(VALU_DEP_1)
	v_lshlrev_b64 v[3:4], 2, v[2:3]
	v_add_co_u32 v5, vcc_lo, s8, v3
	s_delay_alu instid0(VALU_DEP_2)
	v_add_co_ci_u32_e32 v6, vcc_lo, s9, v4, vcc_lo
	global_load_b64 v[5:6], v[5:6], off
	s_waitcnt vmcnt(0)
	v_cmpx_lt_i32_e64 v5, v6
	s_cbranch_execz .LBB46_134
; %bb.136:                              ;   in Loop: Header=BB46_135 Depth=1
	v_subrev_nc_u32_e32 v6, s22, v6
	v_subrev_nc_u32_e32 v9, s22, v5
	v_lshl_add_u32 v5, v5, 2, s11
	v_mov_b32_e32 v8, 0
	s_mov_b32 s13, 0
.LBB46_137:                             ;   Parent Loop BB46_135 Depth=1
                                        ; =>  This Inner Loop Header: Depth=2
	ds_load_b32 v10, v5
	v_add_nc_u32_e32 v9, 1, v9
	v_add_nc_u32_e32 v5, 4, v5
	s_delay_alu instid0(VALU_DEP_2)
	v_cmp_ge_i32_e32 vcc_lo, v9, v6
	s_or_b32 s13, vcc_lo, s13
	s_waitcnt lgkmcnt(0)
	v_add_nc_u32_e32 v8, v10, v8
	s_and_not1_b32 exec_lo, exec_lo, s13
	s_cbranch_execnz .LBB46_137
; %bb.138:                              ;   in Loop: Header=BB46_135 Depth=1
	s_or_b32 exec_lo, exec_lo, s13
	s_branch .LBB46_134
.LBB46_139:
	s_set_inst_prefetch_distance 0x2
	s_or_b32 exec_lo, exec_lo, s6
	s_mov_b32 s6, 0
.LBB46_140:
	s_delay_alu instid0(SALU_CYCLE_1)
	s_and_not1_b32 vcc_lo, exec_lo, s6
	s_cbranch_vccnz .LBB46_163
; %bb.141:
	v_cvt_f32_u32_e32 v2, s5
	s_sub_i32 s1, 0, s5
	v_mov_b32_e32 v6, 0
	s_delay_alu instid0(VALU_DEP_2) | instskip(SKIP_2) | instid1(VALU_DEP_1)
	v_rcp_iflag_f32_e32 v2, v2
	s_waitcnt_depctr 0xfff
	v_mul_f32_e32 v2, 0x4f7ffffe, v2
	v_cvt_u32_f32_e32 v2, v2
	s_delay_alu instid0(VALU_DEP_1) | instskip(SKIP_1) | instid1(VALU_DEP_1)
	v_mul_lo_u32 v3, s1, v2
	s_mov_b32 s1, exec_lo
	v_mul_hi_u32 v3, v2, v3
	s_delay_alu instid0(VALU_DEP_1) | instskip(NEXT) | instid1(VALU_DEP_1)
	v_add_nc_u32_e32 v2, v2, v3
	v_mul_hi_u32 v2, v0, v2
	s_delay_alu instid0(VALU_DEP_1) | instskip(SKIP_1) | instid1(VALU_DEP_2)
	v_mul_lo_u32 v3, v2, s5
	v_add_nc_u32_e32 v4, 1, v2
	v_sub_nc_u32_e32 v3, v0, v3
	s_delay_alu instid0(VALU_DEP_1) | instskip(SKIP_1) | instid1(VALU_DEP_2)
	v_subrev_nc_u32_e32 v5, s5, v3
	v_cmp_le_u32_e32 vcc_lo, s5, v3
	v_dual_cndmask_b32 v3, v3, v5 :: v_dual_cndmask_b32 v2, v2, v4
	s_delay_alu instid0(VALU_DEP_1) | instskip(NEXT) | instid1(VALU_DEP_2)
	v_cmp_le_u32_e32 vcc_lo, s5, v3
	v_add_nc_u32_e32 v4, 1, v2
	s_delay_alu instid0(VALU_DEP_1) | instskip(NEXT) | instid1(VALU_DEP_1)
	v_cndmask_b32_e32 v2, v2, v4, vcc_lo
	v_lshlrev_b32_e32 v3, 2, v2
	global_load_b64 v[3:4], v3, s[2:3]
	v_cmpx_gt_i32_e64 s21, v2
	s_cbranch_execz .LBB46_155
; %bb.142:
	s_abs_i32 s2, s5
	s_waitcnt vmcnt(0)
	v_subrev_nc_u32_e32 v5, s22, v4
	v_cvt_f32_u32_e32 v2, s2
	s_sub_i32 s3, 0, s2
	s_delay_alu instid0(VALU_DEP_1) | instskip(SKIP_2) | instid1(VALU_DEP_1)
	v_rcp_iflag_f32_e32 v2, v2
	s_waitcnt_depctr 0xfff
	v_mul_f32_e32 v2, 0x4f7ffffe, v2
	v_cvt_u32_f32_e32 v6, v2
	v_subrev_nc_u32_e32 v2, s22, v3
	s_delay_alu instid0(VALU_DEP_2) | instskip(NEXT) | instid1(VALU_DEP_2)
	v_mul_lo_u32 v8, s3, v6
	v_sub_nc_u32_e32 v4, v5, v2
	s_ashr_i32 s3, s5, 31
	s_delay_alu instid0(VALU_DEP_1) | instskip(NEXT) | instid1(VALU_DEP_3)
	v_sub_nc_u32_e32 v9, 0, v4
	v_mul_hi_u32 v8, v6, v8
	s_delay_alu instid0(VALU_DEP_2) | instskip(SKIP_1) | instid1(VALU_DEP_3)
	v_max_i32_e32 v10, v4, v9
	v_ashrrev_i32_e32 v4, 31, v4
	v_add_nc_u32_e32 v6, v6, v8
	s_delay_alu instid0(VALU_DEP_2) | instskip(NEXT) | instid1(VALU_DEP_2)
	v_xor_b32_e32 v4, s3, v4
	v_mad_u64_u32 v[8:9], null, v10, v6, 0
	s_delay_alu instid0(VALU_DEP_1) | instskip(SKIP_1) | instid1(VALU_DEP_2)
	v_mul_lo_u32 v6, v9, s2
	v_add_nc_u32_e32 v8, 1, v9
	v_sub_nc_u32_e32 v6, v10, v6
	s_delay_alu instid0(VALU_DEP_1) | instskip(SKIP_1) | instid1(VALU_DEP_4)
	v_subrev_nc_u32_e32 v10, s2, v6
	v_cmp_le_u32_e32 vcc_lo, s2, v6
	v_cndmask_b32_e32 v8, v9, v8, vcc_lo
	s_delay_alu instid0(VALU_DEP_1) | instskip(NEXT) | instid1(VALU_DEP_1)
	v_dual_cndmask_b32 v6, v6, v10 :: v_dual_add_nc_u32 v9, 1, v8
	v_cmp_le_u32_e32 vcc_lo, s2, v6
	s_add_i32 s2, s5, -1
	s_delay_alu instid0(VALU_DEP_2) | instskip(SKIP_2) | instid1(VALU_DEP_2)
	v_cndmask_b32_e32 v6, v8, v9, vcc_lo
	v_and_b32_e32 v8, s2, v0
	s_mov_b32 s2, exec_lo
	v_xor_b32_e32 v6, v6, v4
	s_delay_alu instid0(VALU_DEP_1) | instskip(SKIP_1) | instid1(VALU_DEP_2)
	v_sub_nc_u32_e32 v9, v6, v4
	v_mov_b32_e32 v6, 0
	v_cmpx_lt_i32_e32 0, v9
	s_cbranch_execz .LBB46_152
; %bb.143:
	v_mov_b32_e32 v4, 0
	v_mov_b32_e32 v6, 0
	s_mov_b32 s6, 0
	s_mov_b32 s3, exec_lo
	v_cmpx_lt_u32_e32 7, v9
	s_cbranch_execz .LBB46_147
; %bb.144:
	v_add_nc_u32_e32 v4, v3, v8
	s_lshl_b32 s7, s5, 5
	s_lshl_b32 s8, s5, 2
	s_mov_b32 s9, 0
	s_delay_alu instid0(VALU_DEP_1) | instskip(SKIP_1) | instid1(VALU_DEP_2)
	v_subrev_nc_u32_e32 v6, s22, v4
	v_and_b32_e32 v4, 0x7ffffff8, v9
	v_lshlrev_b32_e32 v10, 2, v6
	v_mov_b32_e32 v6, 0
	s_set_inst_prefetch_distance 0x1
	.p2align	6
.LBB46_145:                             ; =>This Inner Loop Header: Depth=1
	s_delay_alu instid0(VALU_DEP_2) | instskip(SKIP_1) | instid1(SALU_CYCLE_1)
	v_add_nc_u32_e32 v11, s8, v10
	s_add_i32 s9, s9, 8
	v_cmp_eq_u32_e32 vcc_lo, s9, v4
	s_delay_alu instid0(VALU_DEP_2)
	v_add_nc_u32_e32 v12, s8, v11
	ds_load_b32 v15, v10
	ds_load_b32 v11, v11
	v_add_nc_u32_e32 v10, s7, v10
	s_or_b32 s6, vcc_lo, s6
	v_add_nc_u32_e32 v13, s8, v12
	s_delay_alu instid0(VALU_DEP_1) | instskip(SKIP_3) | instid1(VALU_DEP_1)
	v_add_nc_u32_e32 v14, s8, v13
	ds_load_b32 v12, v12
	ds_load_b32 v13, v13
	v_add_nc_u32_e32 v16, s8, v14
	v_add_nc_u32_e32 v17, s8, v16
	ds_load_b32 v14, v14
	ds_load_b32 v16, v16
	s_waitcnt lgkmcnt(4)
	v_add3_u32 v6, v15, v6, v11
	v_add_nc_u32_e32 v18, s8, v17
	ds_load_b32 v17, v17
	ds_load_b32 v18, v18
	s_waitcnt lgkmcnt(4)
	v_add3_u32 v6, v12, v6, v13
	s_waitcnt lgkmcnt(2)
	s_delay_alu instid0(VALU_DEP_1) | instskip(SKIP_1) | instid1(VALU_DEP_1)
	v_add3_u32 v6, v14, v6, v16
	s_waitcnt lgkmcnt(0)
	v_add3_u32 v6, v17, v6, v18
	s_and_not1_b32 exec_lo, exec_lo, s6
	s_cbranch_execnz .LBB46_145
; %bb.146:
	s_set_inst_prefetch_distance 0x2
	s_or_b32 exec_lo, exec_lo, s6
.LBB46_147:
	s_delay_alu instid0(SALU_CYCLE_1) | instskip(SKIP_3) | instid1(VALU_DEP_1)
	s_or_b32 exec_lo, exec_lo, s3
	v_and_b32_e32 v10, 7, v9
	s_mov_b32 s6, 0
	s_mov_b32 s3, exec_lo
	v_cmpx_ne_u32_e32 0, v10
	s_cbranch_execz .LBB46_151
; %bb.148:
	v_mul_lo_u32 v4, v4, s5
	s_lshl_b32 s7, s5, 2
	s_delay_alu instid0(VALU_DEP_1) | instskip(NEXT) | instid1(VALU_DEP_1)
	v_add3_u32 v3, v3, v8, v4
	v_subrev_nc_u32_e32 v3, s22, v3
	s_delay_alu instid0(VALU_DEP_1)
	v_lshlrev_b32_e32 v3, 2, v3
.LBB46_149:                             ; =>This Inner Loop Header: Depth=1
	ds_load_b32 v4, v3
	v_add_nc_u32_e32 v10, -1, v10
	v_add_nc_u32_e32 v3, s7, v3
	s_delay_alu instid0(VALU_DEP_2)
	v_cmp_eq_u32_e32 vcc_lo, 0, v10
	s_or_b32 s6, vcc_lo, s6
	s_waitcnt lgkmcnt(0)
	v_add_nc_u32_e32 v6, v4, v6
	s_and_not1_b32 exec_lo, exec_lo, s6
	s_cbranch_execnz .LBB46_149
; %bb.150:
	s_or_b32 exec_lo, exec_lo, s6
.LBB46_151:
	s_delay_alu instid0(SALU_CYCLE_1)
	s_or_b32 exec_lo, exec_lo, s3
.LBB46_152:
	s_delay_alu instid0(SALU_CYCLE_1) | instskip(SKIP_2) | instid1(VALU_DEP_1)
	s_or_b32 exec_lo, exec_lo, s2
	v_mad_u64_u32 v[3:4], null, v9, s5, v[2:3]
	s_mov_b32 s2, exec_lo
	v_sub_nc_u32_e32 v2, v5, v3
	s_delay_alu instid0(VALU_DEP_1)
	v_cmpx_lt_i32_e64 v8, v2
	s_cbranch_execz .LBB46_154
; %bb.153:
	v_add_lshl_u32 v2, v3, v8, 2
	ds_load_b32 v2, v2
	s_waitcnt lgkmcnt(0)
	v_add_nc_u32_e32 v6, v2, v6
.LBB46_154:
	s_or_b32 exec_lo, exec_lo, s2
.LBB46_155:
	s_delay_alu instid0(SALU_CYCLE_1)
	s_or_b32 exec_lo, exec_lo, s1
	s_waitcnt vmcnt(0)
	s_waitcnt_vscnt null, 0x0
	s_barrier
	buffer_gl0_inv
	ds_store_b32 v7, v6
	s_waitcnt lgkmcnt(0)
	s_barrier
	buffer_gl0_inv
	s_mov_b32 s1, exec_lo
	v_cmpx_gt_i32_e64 s21, v0
	s_cbranch_execz .LBB46_163
; %bb.156:
	v_mul_lo_u32 v2, s5, v0
	v_mov_b32_e32 v3, 0
	s_cmp_lt_u32 s5, 8
	s_mov_b32 s1, 0
	s_cbranch_scc1 .LBB46_159
; %bb.157:
	s_delay_alu instid0(VALU_DEP_2)
	v_dual_mov_b32 v3, 0 :: v_dual_lshlrev_b32 v4, 2, v2
	s_and_b32 s1, s5, 0x7ffffff8
	s_mov_b32 s2, 0
	.p2align	6
.LBB46_158:                             ; =>This Inner Loop Header: Depth=1
	ds_load_2addr_b32 v[5:6], v4 offset1:1
	ds_load_2addr_b32 v[7:8], v4 offset0:2 offset1:3
	ds_load_2addr_b32 v[9:10], v4 offset0:4 offset1:5
	ds_load_2addr_b32 v[11:12], v4 offset0:6 offset1:7
	v_add_nc_u32_e32 v4, 32, v4
	s_add_i32 s2, s2, 8
	s_delay_alu instid0(SALU_CYCLE_1) | instskip(SKIP_3) | instid1(VALU_DEP_1)
	s_cmp_eq_u32 s1, s2
	s_waitcnt lgkmcnt(3)
	v_add3_u32 v3, v5, v3, v6
	s_waitcnt lgkmcnt(2)
	v_add3_u32 v3, v7, v3, v8
	s_waitcnt lgkmcnt(1)
	s_delay_alu instid0(VALU_DEP_1) | instskip(SKIP_1) | instid1(VALU_DEP_1)
	v_add3_u32 v3, v9, v3, v10
	s_waitcnt lgkmcnt(0)
	v_add3_u32 v3, v11, v3, v12
	s_cbranch_scc0 .LBB46_158
.LBB46_159:
	s_bfe_u32 s2, s4, 0x30001
	s_delay_alu instid0(SALU_CYCLE_1)
	s_cmp_eq_u32 s2, 0
	s_cbranch_scc1 .LBB46_162
; %bb.160:
	v_add_lshl_u32 v2, s1, v2, 2
.LBB46_161:                             ; =>This Inner Loop Header: Depth=1
	ds_load_b32 v4, v2
	v_add_nc_u32_e32 v2, 4, v2
	s_add_i32 s2, s2, -1
	s_delay_alu instid0(SALU_CYCLE_1)
	s_cmp_lg_u32 s2, 0
	s_waitcnt lgkmcnt(0)
	v_add_nc_u32_e32 v3, v4, v3
	s_cbranch_scc1 .LBB46_161
.LBB46_162:
	v_lshlrev_b32_e32 v0, 2, v0
	s_lshl_b32 s0, s0, 2
	v_ashrrev_i32_e32 v2, 31, v1
	s_delay_alu instid0(VALU_DEP_2) | instskip(SKIP_2) | instid1(VALU_DEP_1)
	v_add3_u32 v0, 0x1000, s0, v0
	ds_load_b32 v4, v0
	v_lshlrev_b64 v[0:1], 2, v[1:2]
	v_add_co_u32 v0, vcc_lo, s16, v0
	s_delay_alu instid0(VALU_DEP_2)
	v_add_co_ci_u32_e32 v1, vcc_lo, s17, v1, vcc_lo
	s_waitcnt lgkmcnt(0)
	v_add_nc_u32_e32 v2, v4, v3
	global_atomic_add_u32 v[0:1], v2, off
.LBB46_163:
	s_nop 0
	s_sendmsg sendmsg(MSG_DEALLOC_VGPRS)
	s_endpgm
	.section	.rodata,"a",@progbits
	.p2align	6, 0x0
	.amdhsa_kernel _ZN9rocsparseL27csrmvn_symm_adaptive_kernelIiiaaiiEEvbT_S1_PKS1_NS_24const_host_device_scalarIT4_EES3_PKT0_PKT1_PKT2_S6_PT3_21rocsparse_index_base_b
		.amdhsa_group_segment_fixed_size 4096
		.amdhsa_private_segment_fixed_size 0
		.amdhsa_kernarg_size 344
		.amdhsa_user_sgpr_count 15
		.amdhsa_user_sgpr_dispatch_ptr 0
		.amdhsa_user_sgpr_queue_ptr 0
		.amdhsa_user_sgpr_kernarg_segment_ptr 1
		.amdhsa_user_sgpr_dispatch_id 0
		.amdhsa_user_sgpr_private_segment_size 0
		.amdhsa_wavefront_size32 1
		.amdhsa_uses_dynamic_stack 0
		.amdhsa_enable_private_segment 0
		.amdhsa_system_sgpr_workgroup_id_x 1
		.amdhsa_system_sgpr_workgroup_id_y 0
		.amdhsa_system_sgpr_workgroup_id_z 0
		.amdhsa_system_sgpr_workgroup_info 0
		.amdhsa_system_vgpr_workitem_id 0
		.amdhsa_next_free_vgpr 19
		.amdhsa_next_free_sgpr 34
		.amdhsa_reserve_vcc 1
		.amdhsa_float_round_mode_32 0
		.amdhsa_float_round_mode_16_64 0
		.amdhsa_float_denorm_mode_32 3
		.amdhsa_float_denorm_mode_16_64 3
		.amdhsa_dx10_clamp 1
		.amdhsa_ieee_mode 1
		.amdhsa_fp16_overflow 0
		.amdhsa_workgroup_processor_mode 1
		.amdhsa_memory_ordered 1
		.amdhsa_forward_progress 0
		.amdhsa_shared_vgpr_count 0
		.amdhsa_exception_fp_ieee_invalid_op 0
		.amdhsa_exception_fp_denorm_src 0
		.amdhsa_exception_fp_ieee_div_zero 0
		.amdhsa_exception_fp_ieee_overflow 0
		.amdhsa_exception_fp_ieee_underflow 0
		.amdhsa_exception_fp_ieee_inexact 0
		.amdhsa_exception_int_div_zero 0
	.end_amdhsa_kernel
	.section	.text._ZN9rocsparseL27csrmvn_symm_adaptive_kernelIiiaaiiEEvbT_S1_PKS1_NS_24const_host_device_scalarIT4_EES3_PKT0_PKT1_PKT2_S6_PT3_21rocsparse_index_base_b,"axG",@progbits,_ZN9rocsparseL27csrmvn_symm_adaptive_kernelIiiaaiiEEvbT_S1_PKS1_NS_24const_host_device_scalarIT4_EES3_PKT0_PKT1_PKT2_S6_PT3_21rocsparse_index_base_b,comdat
.Lfunc_end46:
	.size	_ZN9rocsparseL27csrmvn_symm_adaptive_kernelIiiaaiiEEvbT_S1_PKS1_NS_24const_host_device_scalarIT4_EES3_PKT0_PKT1_PKT2_S6_PT3_21rocsparse_index_base_b, .Lfunc_end46-_ZN9rocsparseL27csrmvn_symm_adaptive_kernelIiiaaiiEEvbT_S1_PKS1_NS_24const_host_device_scalarIT4_EES3_PKT0_PKT1_PKT2_S6_PT3_21rocsparse_index_base_b
                                        ; -- End function
	.section	.AMDGPU.csdata,"",@progbits
; Kernel info:
; codeLenInByte = 7176
; NumSgprs: 36
; NumVgprs: 19
; ScratchSize: 0
; MemoryBound: 0
; FloatMode: 240
; IeeeMode: 1
; LDSByteSize: 4096 bytes/workgroup (compile time only)
; SGPRBlocks: 4
; VGPRBlocks: 2
; NumSGPRsForWavesPerEU: 36
; NumVGPRsForWavesPerEU: 19
; Occupancy: 16
; WaveLimiterHint : 1
; COMPUTE_PGM_RSRC2:SCRATCH_EN: 0
; COMPUTE_PGM_RSRC2:USER_SGPR: 15
; COMPUTE_PGM_RSRC2:TRAP_HANDLER: 0
; COMPUTE_PGM_RSRC2:TGID_X_EN: 1
; COMPUTE_PGM_RSRC2:TGID_Y_EN: 0
; COMPUTE_PGM_RSRC2:TGID_Z_EN: 0
; COMPUTE_PGM_RSRC2:TIDIG_COMP_CNT: 0
	.section	.text._ZL33csrmvn_symm_large_adaptive_kernelIiiaaiiEvbT_PKS0_N9rocsparse24const_host_device_scalarIT4_EES2_PKT0_PKT1_PKT2_S6_PT3_21rocsparse_index_base_b,"axG",@progbits,_ZL33csrmvn_symm_large_adaptive_kernelIiiaaiiEvbT_PKS0_N9rocsparse24const_host_device_scalarIT4_EES2_PKT0_PKT1_PKT2_S6_PT3_21rocsparse_index_base_b,comdat
	.globl	_ZL33csrmvn_symm_large_adaptive_kernelIiiaaiiEvbT_PKS0_N9rocsparse24const_host_device_scalarIT4_EES2_PKT0_PKT1_PKT2_S6_PT3_21rocsparse_index_base_b ; -- Begin function _ZL33csrmvn_symm_large_adaptive_kernelIiiaaiiEvbT_PKS0_N9rocsparse24const_host_device_scalarIT4_EES2_PKT0_PKT1_PKT2_S6_PT3_21rocsparse_index_base_b
	.p2align	8
	.type	_ZL33csrmvn_symm_large_adaptive_kernelIiiaaiiEvbT_PKS0_N9rocsparse24const_host_device_scalarIT4_EES2_PKT0_PKT1_PKT2_S6_PT3_21rocsparse_index_base_b,@function
_ZL33csrmvn_symm_large_adaptive_kernelIiiaaiiEvbT_PKS0_N9rocsparse24const_host_device_scalarIT4_EES2_PKT0_PKT1_PKT2_S6_PT3_21rocsparse_index_base_b: ; @_ZL33csrmvn_symm_large_adaptive_kernelIiiaaiiEvbT_PKS0_N9rocsparse24const_host_device_scalarIT4_EES2_PKT0_PKT1_PKT2_S6_PT3_21rocsparse_index_base_b
; %bb.0:
	s_clause 0x1
	s_load_b64 s[6:7], s[0:1], 0x48
	s_load_b64 s[8:9], s[0:1], 0x10
	s_mov_b32 s2, s15
	s_mov_b32 s10, -1
	s_waitcnt lgkmcnt(0)
	s_bitcmp1_b32 s7, 0
                                        ; implicit-def: $sgpr7
	s_cselect_b32 s3, -1, 0
	s_delay_alu instid0(SALU_CYCLE_1) | instskip(NEXT) | instid1(SALU_CYCLE_1)
	s_xor_b32 s3, s3, -1
	s_and_b32 vcc_lo, exec_lo, s3
	s_cbranch_vccnz .LBB47_4
; %bb.1:
	s_load_b64 s[4:5], s[0:1], 0x38
	s_and_not1_b32 vcc_lo, exec_lo, s10
	s_cbranch_vccz .LBB47_5
.LBB47_2:
	s_and_b32 vcc_lo, exec_lo, s3
	s_cbranch_vccz .LBB47_6
.LBB47_3:
	s_waitcnt lgkmcnt(0)
	s_load_b32 s3, s[4:5], 0x0
	s_cbranch_execz .LBB47_7
	s_branch .LBB47_8
.LBB47_4:
	s_load_b32 s7, s[8:9], 0x0
	s_load_b64 s[4:5], s[0:1], 0x38
	s_cbranch_execnz .LBB47_2
.LBB47_5:
	s_waitcnt lgkmcnt(0)
	s_mov_b32 s7, s8
	s_and_b32 vcc_lo, exec_lo, s3
	s_cbranch_vccnz .LBB47_3
.LBB47_6:
	s_waitcnt lgkmcnt(0)
                                        ; implicit-def: $sgpr3
.LBB47_7:
	s_waitcnt lgkmcnt(0)
	s_mov_b32 s3, s4
.LBB47_8:
	s_cmp_lg_u32 s7, 0
	s_cselect_b32 s4, -1, 0
	s_waitcnt lgkmcnt(0)
	s_cmp_lg_u32 s3, 1
	s_cselect_b32 s3, -1, 0
	s_delay_alu instid0(SALU_CYCLE_1) | instskip(NEXT) | instid1(SALU_CYCLE_1)
	s_or_b32 s3, s4, s3
	s_and_not1_b32 vcc_lo, exec_lo, s3
	s_cbranch_vccnz .LBB47_40
; %bb.9:
	s_load_b64 s[4:5], s[0:1], 0x8
	s_ashr_i32 s3, s2, 31
	v_dual_mov_b32 v1, 0 :: v_dual_lshlrev_b32 v6, 2, v0
	s_lshl_b64 s[2:3], s[2:3], 2
	ds_store_2addr_stride64_b32 v6, v1, v1 offset1:4
	ds_store_2addr_stride64_b32 v6, v1, v1 offset0:8 offset1:12
	s_waitcnt lgkmcnt(0)
	s_barrier
	buffer_gl0_inv
	s_add_u32 s2, s4, s2
	s_addc_u32 s3, s5, s3
	s_load_b64 s[16:17], s[2:3], 0x0
	s_clause 0x1
	s_load_b256 s[8:15], s[0:1], 0x18
	s_load_b64 s[18:19], s[0:1], 0x40
	s_waitcnt lgkmcnt(0)
	s_cmp_lt_i32 s16, s17
	s_cbranch_scc1 .LBB47_11
; %bb.10:
	s_ashr_i32 s1, s16, 31
	s_mov_b32 s0, s16
	s_delay_alu instid0(SALU_CYCLE_1) | instskip(NEXT) | instid1(SALU_CYCLE_1)
	s_lshl_b64 s[0:1], s[0:1], 2
	s_add_u32 s0, s8, s0
	s_addc_u32 s1, s9, s1
	s_load_b32 s24, s[0:1], 0x0
	v_subrev_nc_u32_e32 v7, s6, v0
	s_cbranch_execz .LBB47_12
	s_branch .LBB47_31
.LBB47_11:
                                        ; implicit-def: $sgpr24
	v_subrev_nc_u32_e32 v7, s6, v0
.LBB47_12:
	s_ashr_i32 s1, s16, 31
	s_mov_b32 s0, s16
	v_cmp_gt_u32_e32 vcc_lo, 0x100, v0
	s_lshl_b64 s[0:1], s[0:1], 2
	v_cmp_gt_u32_e64 s2, 4, v0
	s_add_u32 s0, s8, s0
	s_addc_u32 s1, s9, s1
	v_cmp_eq_u32_e64 s3, 0, v0
	s_waitcnt lgkmcnt(0)
	s_load_b32 s24, s[0:1], 0x0
	v_cmp_gt_u32_e64 s0, 64, v0
	v_cmp_gt_u32_e64 s1, 16, v0
	v_mov_b32_e32 v8, 0
	s_add_u32 s25, s8, 4
	s_addc_u32 s26, s9, 0
	s_mov_b32 s20, s16
	s_waitcnt lgkmcnt(0)
	s_mov_b32 s27, s24
	s_branch .LBB47_14
.LBB47_13:                              ;   in Loop: Header=BB47_14 Depth=1
	s_or_b32 exec_lo, exec_lo, s5
	s_add_i32 s20, s20, 1
	s_delay_alu instid0(SALU_CYCLE_1)
	s_cmp_ge_i32 s20, s17
	s_cbranch_scc1 .LBB47_31
.LBB47_14:                              ; =>This Loop Header: Depth=1
                                        ;     Child Loop BB47_16 Depth 2
	s_ashr_i32 s21, s20, 31
	v_mov_b32_e32 v1, 0
	s_lshl_b64 s[22:23], s[20:21], 2
	s_mov_b32 s21, s27
	s_add_u32 s4, s25, s22
	s_addc_u32 s5, s26, s23
	v_add_nc_u32_e32 v0, s21, v7
	s_load_b32 s27, s[4:5], 0x0
	s_mov_b32 s21, exec_lo
	s_waitcnt lgkmcnt(0)
	s_sub_i32 s28, s27, s6
	s_delay_alu instid0(SALU_CYCLE_1)
	v_cmpx_gt_i32_e64 s28, v0
	s_cbranch_execz .LBB47_18
; %bb.15:                               ;   in Loop: Header=BB47_14 Depth=1
	v_ashrrev_i32_e32 v1, 31, v0
	v_add_co_u32 v2, s4, s12, v0
	s_mov_b32 s29, 0
	s_delay_alu instid0(VALU_DEP_2) | instskip(SKIP_2) | instid1(VALU_DEP_3)
	v_lshlrev_b64 v[4:5], 2, v[0:1]
	v_add_co_ci_u32_e64 v3, s4, s13, v1, s4
	v_mov_b32_e32 v1, 0
	v_add_co_u32 v4, s4, s10, v4
	s_delay_alu instid0(VALU_DEP_1)
	v_add_co_ci_u32_e64 v5, s4, s11, v5, s4
	.p2align	6
.LBB47_16:                              ;   Parent Loop BB47_14 Depth=1
                                        ; =>  This Inner Loop Header: Depth=2
	global_load_b32 v9, v[4:5], off
	v_add_nc_u32_e32 v0, 0x100, v0
	s_delay_alu instid0(VALU_DEP_1) | instskip(NEXT) | instid1(VALU_DEP_1)
	v_cmp_le_i32_e64 s5, s28, v0
	s_or_b32 s29, s5, s29
	s_waitcnt vmcnt(0)
	v_subrev_nc_u32_e32 v9, s6, v9
	s_delay_alu instid0(VALU_DEP_1) | instskip(SKIP_1) | instid1(VALU_DEP_1)
	v_ashrrev_i32_e32 v10, 31, v9
	v_add_co_u32 v9, s4, s14, v9
	v_add_co_ci_u32_e64 v10, s4, s15, v10, s4
	v_add_co_u32 v4, s4, 0x400, v4
	global_load_i8 v11, v[2:3], off
	global_load_i8 v9, v[9:10], off
	v_add_co_ci_u32_e64 v5, s4, 0, v5, s4
	v_add_co_u32 v2, s4, 0x100, v2
	s_delay_alu instid0(VALU_DEP_1)
	v_add_co_ci_u32_e64 v3, s4, 0, v3, s4
	s_waitcnt vmcnt(0)
	v_mad_i32_i24 v1, v9, v11, v1
	s_and_not1_b32 exec_lo, exec_lo, s29
	s_cbranch_execnz .LBB47_16
; %bb.17:                               ;   in Loop: Header=BB47_14 Depth=1
	s_or_b32 exec_lo, exec_lo, s29
.LBB47_18:                              ;   in Loop: Header=BB47_14 Depth=1
	s_delay_alu instid0(SALU_CYCLE_1)
	s_or_b32 exec_lo, exec_lo, s21
	ds_store_b32 v6, v1
	s_waitcnt lgkmcnt(0)
	s_waitcnt_vscnt null, 0x0
	s_barrier
	buffer_gl0_inv
	s_and_saveexec_b32 s4, vcc_lo
	s_cbranch_execz .LBB47_20
; %bb.19:                               ;   in Loop: Header=BB47_14 Depth=1
	ds_load_2addr_stride64_b32 v[0:1], v6 offset1:4
	ds_load_2addr_stride64_b32 v[2:3], v6 offset0:8 offset1:12
	s_waitcnt lgkmcnt(0)
	v_add_nc_u32_e32 v1, v2, v1
	s_delay_alu instid0(VALU_DEP_1)
	v_add3_u32 v0, v1, v3, v0
	ds_store_b32 v6, v0
.LBB47_20:                              ;   in Loop: Header=BB47_14 Depth=1
	s_or_b32 exec_lo, exec_lo, s4
	s_waitcnt lgkmcnt(0)
	s_barrier
	buffer_gl0_inv
	s_and_saveexec_b32 s4, s0
	s_cbranch_execz .LBB47_22
; %bb.21:                               ;   in Loop: Header=BB47_14 Depth=1
	ds_load_2addr_stride64_b32 v[0:1], v6 offset1:1
	ds_load_2addr_stride64_b32 v[2:3], v6 offset0:2 offset1:3
	s_waitcnt lgkmcnt(0)
	v_add_nc_u32_e32 v1, v2, v1
	s_delay_alu instid0(VALU_DEP_1)
	v_add3_u32 v0, v1, v3, v0
	ds_store_b32 v6, v0
.LBB47_22:                              ;   in Loop: Header=BB47_14 Depth=1
	s_or_b32 exec_lo, exec_lo, s4
	s_waitcnt lgkmcnt(0)
	s_barrier
	buffer_gl0_inv
	s_and_saveexec_b32 s4, s1
	s_cbranch_execz .LBB47_24
; %bb.23:                               ;   in Loop: Header=BB47_14 Depth=1
	ds_load_2addr_b32 v[0:1], v6 offset1:16
	ds_load_2addr_b32 v[2:3], v6 offset0:32 offset1:48
	s_waitcnt lgkmcnt(0)
	v_add_nc_u32_e32 v1, v2, v1
	s_delay_alu instid0(VALU_DEP_1)
	v_add3_u32 v0, v1, v3, v0
	ds_store_b32 v6, v0
.LBB47_24:                              ;   in Loop: Header=BB47_14 Depth=1
	s_or_b32 exec_lo, exec_lo, s4
	s_waitcnt lgkmcnt(0)
	s_barrier
	buffer_gl0_inv
	s_and_saveexec_b32 s4, s2
	s_cbranch_execz .LBB47_26
; %bb.25:                               ;   in Loop: Header=BB47_14 Depth=1
	ds_load_2addr_b32 v[0:1], v6 offset1:4
	ds_load_2addr_b32 v[2:3], v6 offset0:8 offset1:12
	s_waitcnt lgkmcnt(0)
	v_add_nc_u32_e32 v1, v2, v1
	s_delay_alu instid0(VALU_DEP_1)
	v_add3_u32 v0, v1, v3, v0
	ds_store_b32 v6, v0
.LBB47_26:                              ;   in Loop: Header=BB47_14 Depth=1
	s_or_b32 exec_lo, exec_lo, s4
	s_waitcnt lgkmcnt(0)
	s_barrier
	buffer_gl0_inv
	s_and_saveexec_b32 s4, s3
	s_cbranch_execz .LBB47_28
; %bb.27:                               ;   in Loop: Header=BB47_14 Depth=1
	ds_load_2addr_b32 v[0:1], v8 offset0:1 offset1:2
	ds_load_b32 v2, v8 offset:12
	ds_load_b32 v3, v6
	s_waitcnt lgkmcnt(2)
	v_add_nc_u32_e32 v0, v1, v0
	s_waitcnt lgkmcnt(0)
	s_delay_alu instid0(VALU_DEP_1)
	v_add3_u32 v0, v0, v2, v3
	ds_store_b32 v6, v0
.LBB47_28:                              ;   in Loop: Header=BB47_14 Depth=1
	s_or_b32 exec_lo, exec_lo, s4
	s_waitcnt lgkmcnt(0)
	s_barrier
	buffer_gl0_inv
	s_and_saveexec_b32 s5, s3
	s_cbranch_execz .LBB47_13
; %bb.29:                               ;   in Loop: Header=BB47_14 Depth=1
	s_mov_b32 s21, exec_lo
	s_delay_alu instid0(SALU_CYCLE_1) | instskip(NEXT) | instid1(VALU_DEP_1)
	v_mbcnt_lo_u32_b32 v0, s21, 0
	v_cmp_eq_u32_e64 s4, 0, v0
	s_delay_alu instid0(VALU_DEP_1) | instskip(NEXT) | instid1(SALU_CYCLE_1)
	s_and_b32 s4, exec_lo, s4
	s_mov_b32 exec_lo, s4
	s_cbranch_execz .LBB47_13
; %bb.30:                               ;   in Loop: Header=BB47_14 Depth=1
	ds_load_b32 v0, v8
	s_add_u32 s22, s18, s22
	s_addc_u32 s23, s19, s23
	s_bcnt1_i32_b32 s4, s21
	s_waitcnt lgkmcnt(0)
	v_mul_lo_u32 v0, v0, s7
	s_delay_alu instid0(VALU_DEP_1)
	v_mul_lo_u32 v0, v0, s4
	global_atomic_add_u32 v8, v0, s[22:23]
	s_branch .LBB47_13
.LBB47_31:
	s_ashr_i32 s1, s17, 31
	s_mov_b32 s0, s17
	s_waitcnt lgkmcnt(0)
	v_add_nc_u32_e32 v0, s24, v7
	s_lshl_b64 s[0:1], s[0:1], 2
	s_delay_alu instid0(SALU_CYCLE_1)
	s_add_u32 s0, s8, s0
	s_addc_u32 s1, s9, s1
	s_load_b32 s0, s[0:1], 0x0
	s_waitcnt lgkmcnt(0)
	s_sub_i32 s1, s0, s6
	s_mov_b32 s0, exec_lo
	v_cmpx_gt_i32_e64 s1, v0
	s_cbranch_execz .LBB47_40
; %bb.32:
	s_add_i32 s2, s17, -1
	s_mov_b32 s4, 0
	s_cmp_gt_i32 s2, s16
	s_cselect_b32 s0, -1, 0
	s_add_i32 s3, s17, -2
	s_delay_alu instid0(SALU_CYCLE_1) | instskip(SKIP_1) | instid1(SALU_CYCLE_1)
	s_cmp_lg_u32 s3, s16
	s_cselect_b32 s3, -1, 0
	s_and_b32 s3, s0, s3
	s_branch .LBB47_34
.LBB47_33:                              ;   in Loop: Header=BB47_34 Depth=1
	s_or_b32 exec_lo, exec_lo, s0
	v_add_nc_u32_e32 v0, 0x100, v0
	s_delay_alu instid0(VALU_DEP_1) | instskip(SKIP_1) | instid1(SALU_CYCLE_1)
	v_cmp_le_i32_e32 vcc_lo, s1, v0
	s_or_b32 s4, vcc_lo, s4
	s_and_not1_b32 exec_lo, exec_lo, s4
	s_cbranch_execz .LBB47_40
.LBB47_34:                              ; =>This Loop Header: Depth=1
                                        ;     Child Loop BB47_36 Depth 2
	v_mov_b32_e32 v4, s16
	v_mov_b32_e32 v2, s2
	s_and_not1_b32 vcc_lo, exec_lo, s3
	s_cbranch_vccnz .LBB47_38
; %bb.35:                               ;   in Loop: Header=BB47_34 Depth=1
	v_mov_b32_e32 v4, s16
	v_mov_b32_e32 v2, s2
	s_mov_b32 s5, 0
	.p2align	6
.LBB47_36:                              ;   Parent Loop BB47_34 Depth=1
                                        ; =>  This Inner Loop Header: Depth=2
	s_delay_alu instid0(VALU_DEP_1) | instskip(NEXT) | instid1(VALU_DEP_1)
	v_add_nc_u32_e32 v1, v2, v4
	v_lshrrev_b32_e32 v3, 31, v1
	s_delay_alu instid0(VALU_DEP_1) | instskip(NEXT) | instid1(VALU_DEP_1)
	v_add_nc_u32_e32 v1, v1, v3
	v_ashrrev_i32_e32 v5, 1, v1
	s_delay_alu instid0(VALU_DEP_1) | instskip(NEXT) | instid1(VALU_DEP_1)
	v_ashrrev_i32_e32 v6, 31, v5
	v_lshlrev_b64 v[6:7], 2, v[5:6]
	s_delay_alu instid0(VALU_DEP_1) | instskip(NEXT) | instid1(VALU_DEP_2)
	v_add_co_u32 v6, vcc_lo, s8, v6
	v_add_co_ci_u32_e32 v7, vcc_lo, s9, v7, vcc_lo
	global_load_b32 v1, v[6:7], off
	s_waitcnt vmcnt(0)
	v_subrev_nc_u32_e32 v1, s6, v1
	s_delay_alu instid0(VALU_DEP_1) | instskip(SKIP_1) | instid1(VALU_DEP_1)
	v_cmp_gt_i32_e32 vcc_lo, v1, v0
	v_cndmask_b32_e32 v2, v2, v5, vcc_lo
	v_dual_cndmask_b32 v4, v5, v4 :: v_dual_add_nc_u32 v1, -1, v2
	s_delay_alu instid0(VALU_DEP_1) | instskip(NEXT) | instid1(VALU_DEP_2)
	v_cmp_ge_i32_e32 vcc_lo, v4, v2
	v_cmp_eq_u32_e64 s0, v4, v1
	s_delay_alu instid0(VALU_DEP_1) | instskip(NEXT) | instid1(SALU_CYCLE_1)
	s_or_b32 s0, vcc_lo, s0
	s_and_b32 s0, exec_lo, s0
	s_delay_alu instid0(SALU_CYCLE_1) | instskip(NEXT) | instid1(SALU_CYCLE_1)
	s_or_b32 s5, s0, s5
	s_and_not1_b32 exec_lo, exec_lo, s5
	s_cbranch_execnz .LBB47_36
; %bb.37:                               ;   in Loop: Header=BB47_34 Depth=1
	s_or_b32 exec_lo, exec_lo, s5
.LBB47_38:                              ;   in Loop: Header=BB47_34 Depth=1
	s_delay_alu instid0(VALU_DEP_1) | instskip(SKIP_2) | instid1(VALU_DEP_2)
	v_ashrrev_i32_e32 v3, 31, v2
	v_ashrrev_i32_e32 v1, 31, v0
	s_mov_b32 s0, exec_lo
	v_lshlrev_b64 v[5:6], 2, v[2:3]
	s_delay_alu instid0(VALU_DEP_2) | instskip(NEXT) | instid1(VALU_DEP_2)
	v_lshlrev_b64 v[7:8], 2, v[0:1]
	v_add_co_u32 v5, vcc_lo, s8, v5
	s_delay_alu instid0(VALU_DEP_3)
	v_add_co_ci_u32_e32 v6, vcc_lo, s9, v6, vcc_lo
	global_load_b32 v3, v[5:6], off
	v_add_co_u32 v5, vcc_lo, s10, v7
	v_add_co_ci_u32_e32 v6, vcc_lo, s11, v8, vcc_lo
	global_load_b32 v5, v[5:6], off
	s_waitcnt vmcnt(1)
	v_subrev_nc_u32_e32 v3, s6, v3
	s_delay_alu instid0(VALU_DEP_1) | instskip(SKIP_3) | instid1(VALU_DEP_1)
	v_cmp_gt_i32_e32 vcc_lo, v3, v0
	v_cndmask_b32_e32 v3, v2, v4, vcc_lo
	s_waitcnt vmcnt(0)
	v_subrev_nc_u32_e32 v2, s6, v5
	v_cmpx_ne_u32_e64 v2, v3
	s_cbranch_execz .LBB47_33
; %bb.39:                               ;   in Loop: Header=BB47_34 Depth=1
	v_add_co_u32 v4, vcc_lo, s12, v0
	v_add_co_ci_u32_e32 v5, vcc_lo, s13, v1, vcc_lo
	v_ashrrev_i32_e32 v1, 31, v3
	v_add_co_u32 v3, vcc_lo, s14, v3
	global_load_i8 v5, v[4:5], off
	v_add_co_ci_u32_e32 v4, vcc_lo, s15, v1, vcc_lo
	global_load_i8 v4, v[3:4], off
	v_ashrrev_i32_e32 v3, 31, v2
	s_delay_alu instid0(VALU_DEP_1) | instskip(NEXT) | instid1(VALU_DEP_1)
	v_lshlrev_b64 v[1:2], 2, v[2:3]
	v_add_co_u32 v1, vcc_lo, s18, v1
	s_delay_alu instid0(VALU_DEP_2) | instskip(SKIP_3) | instid1(VALU_DEP_1)
	v_add_co_ci_u32_e32 v2, vcc_lo, s19, v2, vcc_lo
	s_waitcnt vmcnt(1)
	v_mul_lo_u32 v5, s7, v5
	s_waitcnt vmcnt(0)
	v_mul_lo_u32 v3, v5, v4
	global_atomic_add_u32 v[1:2], v3, off
	s_branch .LBB47_33
.LBB47_40:
	s_nop 0
	s_sendmsg sendmsg(MSG_DEALLOC_VGPRS)
	s_endpgm
	.section	.rodata,"a",@progbits
	.p2align	6, 0x0
	.amdhsa_kernel _ZL33csrmvn_symm_large_adaptive_kernelIiiaaiiEvbT_PKS0_N9rocsparse24const_host_device_scalarIT4_EES2_PKT0_PKT1_PKT2_S6_PT3_21rocsparse_index_base_b
		.amdhsa_group_segment_fixed_size 4096
		.amdhsa_private_segment_fixed_size 0
		.amdhsa_kernarg_size 80
		.amdhsa_user_sgpr_count 15
		.amdhsa_user_sgpr_dispatch_ptr 0
		.amdhsa_user_sgpr_queue_ptr 0
		.amdhsa_user_sgpr_kernarg_segment_ptr 1
		.amdhsa_user_sgpr_dispatch_id 0
		.amdhsa_user_sgpr_private_segment_size 0
		.amdhsa_wavefront_size32 1
		.amdhsa_uses_dynamic_stack 0
		.amdhsa_enable_private_segment 0
		.amdhsa_system_sgpr_workgroup_id_x 1
		.amdhsa_system_sgpr_workgroup_id_y 0
		.amdhsa_system_sgpr_workgroup_id_z 0
		.amdhsa_system_sgpr_workgroup_info 0
		.amdhsa_system_vgpr_workitem_id 0
		.amdhsa_next_free_vgpr 12
		.amdhsa_next_free_sgpr 30
		.amdhsa_reserve_vcc 1
		.amdhsa_float_round_mode_32 0
		.amdhsa_float_round_mode_16_64 0
		.amdhsa_float_denorm_mode_32 3
		.amdhsa_float_denorm_mode_16_64 3
		.amdhsa_dx10_clamp 1
		.amdhsa_ieee_mode 1
		.amdhsa_fp16_overflow 0
		.amdhsa_workgroup_processor_mode 1
		.amdhsa_memory_ordered 1
		.amdhsa_forward_progress 0
		.amdhsa_shared_vgpr_count 0
		.amdhsa_exception_fp_ieee_invalid_op 0
		.amdhsa_exception_fp_denorm_src 0
		.amdhsa_exception_fp_ieee_div_zero 0
		.amdhsa_exception_fp_ieee_overflow 0
		.amdhsa_exception_fp_ieee_underflow 0
		.amdhsa_exception_fp_ieee_inexact 0
		.amdhsa_exception_int_div_zero 0
	.end_amdhsa_kernel
	.section	.text._ZL33csrmvn_symm_large_adaptive_kernelIiiaaiiEvbT_PKS0_N9rocsparse24const_host_device_scalarIT4_EES2_PKT0_PKT1_PKT2_S6_PT3_21rocsparse_index_base_b,"axG",@progbits,_ZL33csrmvn_symm_large_adaptive_kernelIiiaaiiEvbT_PKS0_N9rocsparse24const_host_device_scalarIT4_EES2_PKT0_PKT1_PKT2_S6_PT3_21rocsparse_index_base_b,comdat
.Lfunc_end47:
	.size	_ZL33csrmvn_symm_large_adaptive_kernelIiiaaiiEvbT_PKS0_N9rocsparse24const_host_device_scalarIT4_EES2_PKT0_PKT1_PKT2_S6_PT3_21rocsparse_index_base_b, .Lfunc_end47-_ZL33csrmvn_symm_large_adaptive_kernelIiiaaiiEvbT_PKS0_N9rocsparse24const_host_device_scalarIT4_EES2_PKT0_PKT1_PKT2_S6_PT3_21rocsparse_index_base_b
                                        ; -- End function
	.section	.AMDGPU.csdata,"",@progbits
; Kernel info:
; codeLenInByte = 1788
; NumSgprs: 32
; NumVgprs: 12
; ScratchSize: 0
; MemoryBound: 0
; FloatMode: 240
; IeeeMode: 1
; LDSByteSize: 4096 bytes/workgroup (compile time only)
; SGPRBlocks: 3
; VGPRBlocks: 1
; NumSGPRsForWavesPerEU: 32
; NumVGPRsForWavesPerEU: 12
; Occupancy: 16
; WaveLimiterHint : 1
; COMPUTE_PGM_RSRC2:SCRATCH_EN: 0
; COMPUTE_PGM_RSRC2:USER_SGPR: 15
; COMPUTE_PGM_RSRC2:TRAP_HANDLER: 0
; COMPUTE_PGM_RSRC2:TGID_X_EN: 1
; COMPUTE_PGM_RSRC2:TGID_Y_EN: 0
; COMPUTE_PGM_RSRC2:TGID_Z_EN: 0
; COMPUTE_PGM_RSRC2:TIDIG_COMP_CNT: 0
	.section	.text._ZN9rocsparseL22csrmvn_adaptive_kernelIliaaiiEEvbT_PKS1_PjPKT0_NS_24const_host_device_scalarIT4_EES3_S7_PKT1_PKT2_SA_PT3_21rocsparse_index_base_b,"axG",@progbits,_ZN9rocsparseL22csrmvn_adaptive_kernelIliaaiiEEvbT_PKS1_PjPKT0_NS_24const_host_device_scalarIT4_EES3_S7_PKT1_PKT2_SA_PT3_21rocsparse_index_base_b,comdat
	.globl	_ZN9rocsparseL22csrmvn_adaptive_kernelIliaaiiEEvbT_PKS1_PjPKT0_NS_24const_host_device_scalarIT4_EES3_S7_PKT1_PKT2_SA_PT3_21rocsparse_index_base_b ; -- Begin function _ZN9rocsparseL22csrmvn_adaptive_kernelIliaaiiEEvbT_PKS1_PjPKT0_NS_24const_host_device_scalarIT4_EES3_S7_PKT1_PKT2_SA_PT3_21rocsparse_index_base_b
	.p2align	8
	.type	_ZN9rocsparseL22csrmvn_adaptive_kernelIliaaiiEEvbT_PKS1_PjPKT0_NS_24const_host_device_scalarIT4_EES3_S7_PKT1_PKT2_SA_PT3_21rocsparse_index_base_b,@function
_ZN9rocsparseL22csrmvn_adaptive_kernelIliaaiiEEvbT_PKS1_PjPKT0_NS_24const_host_device_scalarIT4_EES3_S7_PKT1_PKT2_SA_PT3_21rocsparse_index_base_b: ; @_ZN9rocsparseL22csrmvn_adaptive_kernelIliaaiiEEvbT_PKS1_PjPKT0_NS_24const_host_device_scalarIT4_EES3_S7_PKT1_PKT2_SA_PT3_21rocsparse_index_base_b
; %bb.0:
	s_clause 0x1
	s_load_b64 s[30:31], s[0:1], 0x60
	s_load_b64 s[4:5], s[0:1], 0x28
	s_mov_b32 s34, s15
	s_mov_b32 s7, -1
                                        ; implicit-def: $sgpr44
	s_waitcnt lgkmcnt(0)
	s_bitcmp1_b32 s31, 0
	s_cselect_b32 s2, -1, 0
	s_delay_alu instid0(SALU_CYCLE_1) | instskip(NEXT) | instid1(SALU_CYCLE_1)
	s_xor_b32 s6, s2, -1
	s_and_b32 vcc_lo, exec_lo, s6
	s_cbranch_vccnz .LBB48_4
; %bb.1:
	s_load_b64 s[2:3], s[0:1], 0x50
	s_and_not1_b32 vcc_lo, exec_lo, s7
	s_cbranch_vccz .LBB48_5
.LBB48_2:
	s_and_b32 vcc_lo, exec_lo, s6
	s_cbranch_vccz .LBB48_6
.LBB48_3:
	s_waitcnt lgkmcnt(0)
	s_load_b32 s31, s[2:3], 0x0
	s_cbranch_execz .LBB48_7
	s_branch .LBB48_8
.LBB48_4:
	s_load_b32 s44, s[4:5], 0x0
	s_load_b64 s[2:3], s[0:1], 0x50
	s_cbranch_execnz .LBB48_2
.LBB48_5:
	s_waitcnt lgkmcnt(0)
	s_mov_b32 s44, s4
	s_and_b32 vcc_lo, exec_lo, s6
	s_cbranch_vccnz .LBB48_3
.LBB48_6:
	s_waitcnt lgkmcnt(0)
                                        ; implicit-def: $sgpr31
.LBB48_7:
	s_waitcnt lgkmcnt(0)
	s_mov_b32 s31, s2
.LBB48_8:
	s_cmp_lg_u32 s44, 0
	s_cselect_b32 s2, -1, 0
	s_waitcnt lgkmcnt(0)
	s_cmp_lg_u32 s31, 1
	s_cselect_b32 s3, -1, 0
	s_delay_alu instid0(SALU_CYCLE_1) | instskip(NEXT) | instid1(SALU_CYCLE_1)
	s_or_b32 s2, s2, s3
	s_and_not1_b32 vcc_lo, exec_lo, s2
	s_cbranch_vccnz .LBB48_119
; %bb.9:
	s_clause 0x2
	s_load_b64 s[2:3], s[0:1], 0x10
	s_load_b64 s[6:7], s[0:1], 0x20
	;; [unrolled: 1-line block ×3, first 2 shown]
	s_ashr_i32 s35, s34, 31
	s_delay_alu instid0(SALU_CYCLE_1)
	s_lshl_b64 s[4:5], s[34:35], 3
	s_waitcnt lgkmcnt(0)
	s_add_u32 s2, s2, s4
	s_addc_u32 s3, s3, s5
	s_lshl_b64 s[36:37], s[34:35], 2
	s_load_b128 s[20:23], s[2:3], 0x0
	s_load_b256 s[12:19], s[0:1], 0x30
	s_mov_b32 s3, -1
	s_waitcnt lgkmcnt(0)
	s_sub_i32 s2, s22, s20
	s_add_u32 s4, s6, s36
	s_addc_u32 s5, s7, s37
	s_lshl_b64 s[6:7], s[20:21], 3
	s_delay_alu instid0(SALU_CYCLE_1)
	s_add_u32 s26, s12, s6
	s_addc_u32 s27, s13, s7
	s_load_b32 s33, s[4:5], 0x0
	s_load_b64 s[28:29], s[26:27], 0x0
	s_cmp_lt_i32 s2, 2
	s_cbranch_scc0 .LBB48_75
; %bb.10:
	s_cmp_lg_u32 s2, 1
	s_cselect_b32 s2, -1, 0
	s_waitcnt lgkmcnt(0)
	s_cmp_lg_u32 s33, 0
	s_cselect_b32 s3, -1, 0
	s_delay_alu instid0(SALU_CYCLE_1) | instskip(NEXT) | instid1(SALU_CYCLE_1)
	s_or_b32 s2, s2, s3
	s_and_b32 vcc_lo, exec_lo, s2
	s_mov_b32 s2, -1
	s_cbranch_vccnz .LBB48_39
; %bb.11:
	v_cmp_le_i64_e64 s2, s[22:23], s[20:21]
	s_delay_alu instid0(VALU_DEP_1)
	s_and_b32 vcc_lo, exec_lo, s2
	s_cbranch_vccnz .LBB48_38
; %bb.12:
	v_sub_co_u32 v6, s2, v0, s30
	s_delay_alu instid0(VALU_DEP_1)
	v_sub_co_ci_u32_e64 v7, null, 0, 0, s2
	v_dual_mov_b32 v9, 0 :: v_dual_lshlrev_b32 v8, 2, v0
	v_cmp_gt_u32_e64 s2, 0x80, v0
	v_cmp_gt_u32_e64 s3, 64, v0
	;; [unrolled: 1-line block ×7, first 2 shown]
	s_cmp_lg_u32 s31, 0
	v_cmp_eq_u32_e64 s9, 0, v0
	s_cselect_b32 s11, -1, 0
	s_add_u32 s35, s12, 8
	s_addc_u32 s45, s13, 0
	s_mov_b64 s[40:41], s[28:29]
	s_mov_b64 s[38:39], s[20:21]
	s_branch .LBB48_15
.LBB48_13:                              ;   in Loop: Header=BB48_15 Depth=1
	s_lshl_b64 s[42:43], s[38:39], 2
	s_delay_alu instid0(SALU_CYCLE_1)
	s_add_u32 s42, s24, s42
	s_addc_u32 s43, s25, s43
	s_waitcnt lgkmcnt(0)
	global_store_b32 v9, v1, s[42:43]
.LBB48_14:                              ;   in Loop: Header=BB48_15 Depth=1
	s_or_b32 exec_lo, exec_lo, s10
	s_add_u32 s38, s38, 1
	s_addc_u32 s39, s39, 0
	s_delay_alu instid0(SALU_CYCLE_1) | instskip(NEXT) | instid1(VALU_DEP_1)
	v_cmp_ge_i64_e64 s10, s[38:39], s[22:23]
	s_and_b32 vcc_lo, exec_lo, s10
	s_cbranch_vccnz .LBB48_38
.LBB48_15:                              ; =>This Loop Header: Depth=1
                                        ;     Child Loop BB48_17 Depth 2
	s_lshl_b64 s[42:43], s[38:39], 3
	s_mov_b64 s[46:47], s[40:41]
	s_add_u32 s42, s35, s42
	s_addc_u32 s43, s45, s43
	v_add_co_u32 v1, vcc_lo, s46, v6
	s_load_b64 s[40:41], s[42:43], 0x0
	v_add_co_ci_u32_e32 v2, vcc_lo, s47, v7, vcc_lo
	v_mov_b32_e32 v3, 0
	s_mov_b32 s46, exec_lo
	s_waitcnt lgkmcnt(0)
	s_sub_u32 s42, s40, s30
	s_subb_u32 s43, s41, 0
	s_delay_alu instid0(SALU_CYCLE_1)
	v_cmpx_gt_i64_e64 s[42:43], v[1:2]
	s_cbranch_execz .LBB48_19
; %bb.16:                               ;   in Loop: Header=BB48_15 Depth=1
	v_lshlrev_b64 v[4:5], 2, v[1:2]
	v_mov_b32_e32 v3, 0
	s_mov_b32 s47, 0
	s_delay_alu instid0(VALU_DEP_2) | instskip(NEXT) | instid1(VALU_DEP_3)
	v_add_co_u32 v4, vcc_lo, s14, v4
	v_add_co_ci_u32_e32 v5, vcc_lo, s15, v5, vcc_lo
	.p2align	6
.LBB48_17:                              ;   Parent Loop BB48_15 Depth=1
                                        ; =>  This Inner Loop Header: Depth=2
	global_load_b32 v11, v[4:5], off
	v_add_co_u32 v10, vcc_lo, s16, v1
	s_waitcnt vmcnt(0)
	v_subrev_nc_u32_e32 v12, s30, v11
	v_add_co_ci_u32_e32 v11, vcc_lo, s17, v2, vcc_lo
	s_delay_alu instid0(VALU_DEP_2)
	v_ashrrev_i32_e32 v13, 31, v12
	global_load_i8 v14, v[10:11], off
	v_add_co_u32 v10, vcc_lo, s18, v12
	v_add_co_ci_u32_e32 v11, vcc_lo, s19, v13, vcc_lo
	v_add_co_u32 v1, vcc_lo, 0x100, v1
	v_add_co_ci_u32_e32 v2, vcc_lo, 0, v2, vcc_lo
	global_load_i8 v12, v[10:11], off
	v_cmp_le_i64_e32 vcc_lo, s[42:43], v[1:2]
	s_or_b32 s47, vcc_lo, s47
	s_waitcnt vmcnt(1)
	v_mul_lo_u32 v13, s44, v14
	s_waitcnt vmcnt(0)
	s_delay_alu instid0(VALU_DEP_1) | instskip(SKIP_1) | instid1(VALU_DEP_1)
	v_mad_u64_u32 v[10:11], null, v13, v12, v[3:4]
	v_add_co_u32 v4, s10, 0x400, v4
	v_add_co_ci_u32_e64 v5, s10, 0, v5, s10
	s_delay_alu instid0(VALU_DEP_3)
	v_mov_b32_e32 v3, v10
	s_and_not1_b32 exec_lo, exec_lo, s47
	s_cbranch_execnz .LBB48_17
; %bb.18:                               ;   in Loop: Header=BB48_15 Depth=1
	s_or_b32 exec_lo, exec_lo, s47
.LBB48_19:                              ;   in Loop: Header=BB48_15 Depth=1
	s_delay_alu instid0(SALU_CYCLE_1)
	s_or_b32 exec_lo, exec_lo, s46
	ds_store_b32 v8, v3
	s_waitcnt lgkmcnt(0)
	s_waitcnt_vscnt null, 0x0
	s_barrier
	buffer_gl0_inv
	s_and_saveexec_b32 s10, s2
	s_cbranch_execz .LBB48_21
; %bb.20:                               ;   in Loop: Header=BB48_15 Depth=1
	ds_load_2addr_stride64_b32 v[1:2], v8 offset1:2
	s_waitcnt lgkmcnt(0)
	v_add_nc_u32_e32 v1, v2, v1
	ds_store_b32 v8, v1
.LBB48_21:                              ;   in Loop: Header=BB48_15 Depth=1
	s_or_b32 exec_lo, exec_lo, s10
	s_waitcnt lgkmcnt(0)
	s_barrier
	buffer_gl0_inv
	s_and_saveexec_b32 s10, s3
	s_cbranch_execz .LBB48_23
; %bb.22:                               ;   in Loop: Header=BB48_15 Depth=1
	ds_load_2addr_stride64_b32 v[1:2], v8 offset1:1
	s_waitcnt lgkmcnt(0)
	v_add_nc_u32_e32 v1, v2, v1
	ds_store_b32 v8, v1
.LBB48_23:                              ;   in Loop: Header=BB48_15 Depth=1
	s_or_b32 exec_lo, exec_lo, s10
	s_waitcnt lgkmcnt(0)
	s_barrier
	buffer_gl0_inv
	s_and_saveexec_b32 s10, s4
	s_cbranch_execz .LBB48_25
; %bb.24:                               ;   in Loop: Header=BB48_15 Depth=1
	ds_load_2addr_b32 v[1:2], v8 offset1:32
	s_waitcnt lgkmcnt(0)
	v_add_nc_u32_e32 v1, v2, v1
	ds_store_b32 v8, v1
.LBB48_25:                              ;   in Loop: Header=BB48_15 Depth=1
	s_or_b32 exec_lo, exec_lo, s10
	s_waitcnt lgkmcnt(0)
	s_barrier
	buffer_gl0_inv
	s_and_saveexec_b32 s10, s5
	s_cbranch_execz .LBB48_27
; %bb.26:                               ;   in Loop: Header=BB48_15 Depth=1
	ds_load_2addr_b32 v[1:2], v8 offset1:16
	s_waitcnt lgkmcnt(0)
	v_add_nc_u32_e32 v1, v2, v1
	ds_store_b32 v8, v1
.LBB48_27:                              ;   in Loop: Header=BB48_15 Depth=1
	;; [unrolled: 12-line block ×5, first 2 shown]
	s_or_b32 exec_lo, exec_lo, s10
	s_waitcnt lgkmcnt(0)
	s_barrier
	buffer_gl0_inv
	s_and_saveexec_b32 s10, s9
	s_cbranch_execz .LBB48_35
; %bb.34:                               ;   in Loop: Header=BB48_15 Depth=1
	ds_load_b64 v[1:2], v9
	s_waitcnt lgkmcnt(0)
	v_add_nc_u32_e32 v1, v2, v1
	ds_store_b32 v9, v1
.LBB48_35:                              ;   in Loop: Header=BB48_15 Depth=1
	s_or_b32 exec_lo, exec_lo, s10
	s_waitcnt lgkmcnt(0)
	s_barrier
	buffer_gl0_inv
	s_and_saveexec_b32 s10, s9
	s_cbranch_execz .LBB48_14
; %bb.36:                               ;   in Loop: Header=BB48_15 Depth=1
	ds_load_b32 v1, v9
	s_and_not1_b32 vcc_lo, exec_lo, s11
	s_cbranch_vccnz .LBB48_13
; %bb.37:                               ;   in Loop: Header=BB48_15 Depth=1
	s_lshl_b64 s[42:43], s[38:39], 2
	s_delay_alu instid0(SALU_CYCLE_1)
	s_add_u32 s42, s24, s42
	s_addc_u32 s43, s25, s43
	global_load_b32 v2, v9, s[42:43]
	s_waitcnt vmcnt(0)
	v_mul_lo_u32 v2, v2, s31
	s_waitcnt lgkmcnt(0)
	s_delay_alu instid0(VALU_DEP_1)
	v_add_nc_u32_e32 v1, v2, v1
	s_branch .LBB48_13
.LBB48_38:
	s_mov_b32 s2, 0
.LBB48_39:
	s_delay_alu instid0(SALU_CYCLE_1)
	s_and_not1_b32 vcc_lo, exec_lo, s2
	s_cbranch_vccnz .LBB48_74
; %bb.40:
	s_load_b64 s[6:7], s[0:1], 0x18
	s_sub_i32 s8, s34, s33
	v_or_b32_e32 v1, s33, v0
	s_delay_alu instid0(VALU_DEP_1)
	v_cmp_eq_u32_e32 vcc_lo, 0, v1
	v_mov_b32_e32 v1, 0
	s_waitcnt lgkmcnt(0)
	s_add_u32 s4, s6, s36
	s_addc_u32 s5, s7, s37
	s_load_b32 s34, s[4:5], 0x0
	s_and_saveexec_b32 s2, vcc_lo
	s_cbranch_execz .LBB48_44
; %bb.41:
	s_lshl_b64 s[10:11], s[20:21], 2
	s_mov_b32 s3, exec_lo
	s_add_u32 s10, s24, s10
	s_addc_u32 s11, s25, s11
	v_mbcnt_lo_u32_b32 v1, s3, 0
	s_load_b32 s10, s[10:11], 0x0
	s_add_i32 s9, s31, -1
	s_mov_b32 s11, exec_lo
	s_waitcnt vmcnt(0) expcnt(0) lgkmcnt(0)
	s_waitcnt_vscnt null, 0x0
	s_mul_i32 s10, s10, s9
	v_cmpx_eq_u32_e32 0, v1
	s_cbranch_execz .LBB48_43
; %bb.42:
	s_ashr_i32 s9, s8, 31
	s_delay_alu instid0(SALU_CYCLE_1) | instskip(NEXT) | instid1(SALU_CYCLE_1)
	s_lshl_b64 s[36:37], s[8:9], 2
	s_add_u32 s36, s6, s36
	s_addc_u32 s37, s7, s37
	s_bcnt1_i32_b32 s3, s3
	s_delay_alu instid0(SALU_CYCLE_1) | instskip(NEXT) | instid1(SALU_CYCLE_1)
	s_and_b32 s3, s3, 1
	v_dual_mov_b32 v1, 0 :: v_dual_mov_b32 v2, s3
	global_atomic_xor_b32 v1, v2, s[36:37]
.LBB48_43:
	s_or_b32 exec_lo, exec_lo, s11
	v_mov_b32_e32 v1, s10
.LBB48_44:
	s_or_b32 exec_lo, exec_lo, s2
	s_load_b64 s[2:3], s[26:27], 0x8
	s_mul_i32 s10, s33, 0xc00
	s_sub_u32 s11, s28, s30
	s_subb_u32 s35, s29, 0
	s_mul_hi_i32 s9, s33, 0xc00
	s_add_u32 s11, s11, s10
	s_addc_u32 s10, s35, s9
	v_add_co_u32 v2, s9, s11, v0
	s_delay_alu instid0(VALU_DEP_1) | instskip(SKIP_4) | instid1(SALU_CYCLE_1)
	v_add_co_ci_u32_e64 v3, null, s10, 0, s9
	s_mov_b32 s9, exec_lo
	s_waitcnt lgkmcnt(0)
	s_sub_u32 s2, s2, s30
	s_subb_u32 s3, s3, 0
	v_cmpx_gt_i64_e64 s[2:3], v[2:3]
	s_cbranch_execz .LBB48_48
; %bb.45:
	v_lshlrev_b64 v[4:5], 2, v[2:3]
	s_add_u32 s36, s11, 0xc00
	s_addc_u32 s37, s10, 0
	s_delay_alu instid0(SALU_CYCLE_1) | instskip(NEXT) | instid1(VALU_DEP_2)
	v_cmp_lt_i64_e64 s10, s[36:37], s[2:3]
	v_add_co_u32 v4, vcc_lo, s14, v4
	s_delay_alu instid0(VALU_DEP_3) | instskip(NEXT) | instid1(VALU_DEP_3)
	v_add_co_ci_u32_e32 v5, vcc_lo, s15, v5, vcc_lo
	s_and_b32 s10, s10, exec_lo
	s_cselect_b32 s11, s37, s3
	s_cselect_b32 s10, s36, s2
	s_mov_b32 s3, 0
	.p2align	6
.LBB48_46:                              ; =>This Inner Loop Header: Depth=1
	global_load_b32 v7, v[4:5], off
	v_add_co_u32 v6, vcc_lo, s16, v2
	v_add_co_u32 v4, s2, 0x400, v4
	s_delay_alu instid0(VALU_DEP_1) | instskip(SKIP_3) | instid1(VALU_DEP_2)
	v_add_co_ci_u32_e64 v5, s2, 0, v5, s2
	s_waitcnt vmcnt(0)
	v_subrev_nc_u32_e32 v8, s30, v7
	v_add_co_ci_u32_e32 v7, vcc_lo, s17, v3, vcc_lo
	v_ashrrev_i32_e32 v9, 31, v8
	global_load_i8 v10, v[6:7], off
	v_add_co_u32 v6, vcc_lo, s18, v8
	v_add_co_ci_u32_e32 v7, vcc_lo, s19, v9, vcc_lo
	v_add_co_u32 v2, vcc_lo, 0x100, v2
	v_add_co_ci_u32_e32 v3, vcc_lo, 0, v3, vcc_lo
	global_load_i8 v8, v[6:7], off
	v_cmp_le_i64_e32 vcc_lo, s[10:11], v[2:3]
	s_or_b32 s3, vcc_lo, s3
	s_waitcnt vmcnt(1)
	v_mul_lo_u32 v9, s44, v10
	s_waitcnt vmcnt(0)
	s_delay_alu instid0(VALU_DEP_1) | instskip(NEXT) | instid1(VALU_DEP_1)
	v_mad_u64_u32 v[6:7], null, v9, v8, v[1:2]
	v_mov_b32_e32 v1, v6
	s_and_not1_b32 exec_lo, exec_lo, s3
	s_cbranch_execnz .LBB48_46
; %bb.47:
	s_or_b32 exec_lo, exec_lo, s3
.LBB48_48:
	s_delay_alu instid0(SALU_CYCLE_1)
	s_or_b32 exec_lo, exec_lo, s9
	v_lshlrev_b32_e32 v2, 2, v0
	s_mov_b32 s2, exec_lo
	ds_store_b32 v2, v1
	s_waitcnt lgkmcnt(0)
	s_waitcnt_vscnt null, 0x0
	s_barrier
	buffer_gl0_inv
	v_cmpx_gt_u32_e32 0x80, v0
	s_cbranch_execz .LBB48_50
; %bb.49:
	ds_load_2addr_stride64_b32 v[3:4], v2 offset1:2
	s_waitcnt lgkmcnt(0)
	v_add_nc_u32_e32 v1, v4, v3
	ds_store_b32 v2, v1
.LBB48_50:
	s_or_b32 exec_lo, exec_lo, s2
	s_delay_alu instid0(SALU_CYCLE_1)
	s_mov_b32 s2, exec_lo
	s_waitcnt lgkmcnt(0)
	s_barrier
	buffer_gl0_inv
	v_cmpx_gt_u32_e32 64, v0
	s_cbranch_execz .LBB48_52
; %bb.51:
	ds_load_2addr_stride64_b32 v[3:4], v2 offset1:1
	s_waitcnt lgkmcnt(0)
	v_add_nc_u32_e32 v1, v4, v3
	ds_store_b32 v2, v1
.LBB48_52:
	s_or_b32 exec_lo, exec_lo, s2
	s_delay_alu instid0(SALU_CYCLE_1)
	s_mov_b32 s2, exec_lo
	s_waitcnt lgkmcnt(0)
	s_barrier
	buffer_gl0_inv
	v_cmpx_gt_u32_e32 32, v0
	s_cbranch_execz .LBB48_54
; %bb.53:
	ds_load_2addr_b32 v[3:4], v2 offset1:32
	s_waitcnt lgkmcnt(0)
	v_add_nc_u32_e32 v1, v4, v3
	ds_store_b32 v2, v1
.LBB48_54:
	s_or_b32 exec_lo, exec_lo, s2
	s_delay_alu instid0(SALU_CYCLE_1)
	s_mov_b32 s2, exec_lo
	s_waitcnt lgkmcnt(0)
	s_barrier
	buffer_gl0_inv
	v_cmpx_gt_u32_e32 16, v0
	s_cbranch_execz .LBB48_56
; %bb.55:
	ds_load_2addr_b32 v[3:4], v2 offset1:16
	s_waitcnt lgkmcnt(0)
	v_add_nc_u32_e32 v1, v4, v3
	ds_store_b32 v2, v1
.LBB48_56:
	;; [unrolled: 14-line block ×5, first 2 shown]
	s_or_b32 exec_lo, exec_lo, s2
	v_cmp_eq_u32_e32 vcc_lo, 0, v0
	s_waitcnt lgkmcnt(0)
	s_barrier
	buffer_gl0_inv
	s_and_saveexec_b32 s2, vcc_lo
	s_cbranch_execz .LBB48_64
; %bb.63:
	v_mov_b32_e32 v3, 0
	ds_load_b64 v[1:2], v3
	s_waitcnt lgkmcnt(0)
	v_add_nc_u32_e32 v1, v2, v1
	ds_store_b32 v3, v1
.LBB48_64:
	s_or_b32 exec_lo, exec_lo, s2
	s_waitcnt lgkmcnt(0)
	s_barrier
	buffer_gl0_inv
	s_and_saveexec_b32 s10, vcc_lo
	s_cbranch_execz .LBB48_73
; %bb.65:
	s_cmp_eq_u32 s33, 0
	s_cbranch_scc1 .LBB48_71
; %bb.66:
	s_ashr_i32 s9, s8, 31
	v_mov_b32_e32 v1, 0
	s_lshl_b64 s[2:3], s[8:9], 2
	s_delay_alu instid0(SALU_CYCLE_1)
	s_add_u32 s2, s6, s2
	s_addc_u32 s3, s7, s3
	s_branch .LBB48_68
.LBB48_67:                              ;   in Loop: Header=BB48_68 Depth=1
	s_or_b32 exec_lo, exec_lo, s6
	s_waitcnt vmcnt(0)
	v_readfirstlane_b32 s6, v2
	s_delay_alu instid0(VALU_DEP_1)
	s_cmp_eq_u32 s6, s34
	s_cbranch_scc0 .LBB48_70
.LBB48_68:                              ; =>This Inner Loop Header: Depth=1
	v_mbcnt_lo_u32_b32 v2, exec_lo, 0
	s_delay_alu instid0(VALU_DEP_1)
	v_cmp_eq_u32_e32 vcc_lo, 0, v2
                                        ; implicit-def: $vgpr2
	s_and_saveexec_b32 s6, vcc_lo
	s_cbranch_execz .LBB48_67
; %bb.69:                               ;   in Loop: Header=BB48_68 Depth=1
	global_load_b32 v2, v1, s[2:3] glc
	s_branch .LBB48_67
.LBB48_70:
	v_mov_b32_e32 v1, 0
	global_load_b32 v2, v1, s[4:5]
	s_waitcnt vmcnt(0)
	v_xor_b32_e32 v2, 1, v2
	global_store_b32 v1, v2, s[4:5]
.LBB48_71:
	s_mov_b32 s2, exec_lo
	s_delay_alu instid0(SALU_CYCLE_1) | instskip(NEXT) | instid1(VALU_DEP_1)
	v_mbcnt_lo_u32_b32 v1, s2, 0
	v_cmp_eq_u32_e32 vcc_lo, 0, v1
	s_and_b32 s3, exec_lo, vcc_lo
	s_delay_alu instid0(SALU_CYCLE_1)
	s_mov_b32 exec_lo, s3
	s_cbranch_execz .LBB48_73
; %bb.72:
	v_mov_b32_e32 v1, 0
	s_lshl_b64 s[4:5], s[20:21], 2
	s_delay_alu instid0(SALU_CYCLE_1)
	s_add_u32 s4, s24, s4
	s_addc_u32 s5, s25, s5
	ds_load_b32 v2, v1
	s_bcnt1_i32_b32 s2, s2
	s_waitcnt lgkmcnt(0)
	v_mul_lo_u32 v2, v2, s2
	global_atomic_add_u32 v1, v2, s[4:5]
.LBB48_73:
	s_or_b32 exec_lo, exec_lo, s10
.LBB48_74:
	s_mov_b32 s3, 0
.LBB48_75:
	s_delay_alu instid0(SALU_CYCLE_1)
	s_and_not1_b32 vcc_lo, exec_lo, s3
	s_cbranch_vccnz .LBB48_119
; %bb.76:
	s_load_b64 s[0:1], s[0:1], 0x8
	v_sub_co_u32 v1, s2, v0, s30
	s_delay_alu instid0(VALU_DEP_1) | instskip(SKIP_1) | instid1(VALU_DEP_2)
	v_sub_co_ci_u32_e64 v2, null, 0, 0, s2
	s_waitcnt lgkmcnt(0)
	v_add_co_u32 v1, vcc_lo, s28, v1
	s_delay_alu instid0(VALU_DEP_2) | instskip(NEXT) | instid1(VALU_DEP_2)
	v_add_co_ci_u32_e32 v2, vcc_lo, s29, v2, vcc_lo
	v_add_co_u32 v3, vcc_lo, 0x300, v1
	s_delay_alu instid0(VALU_DEP_2) | instskip(NEXT) | instid1(VALU_DEP_1)
	v_add_co_ci_u32_e32 v4, vcc_lo, 0, v2, vcc_lo
	v_cmp_le_i64_e32 vcc_lo, s[0:1], v[3:4]
	s_and_saveexec_b32 s0, vcc_lo
	s_delay_alu instid0(SALU_CYCLE_1)
	s_xor_b32 s1, exec_lo, s0
	s_cbranch_execz .LBB48_81
; %bb.77:
	s_lshl_b64 s[2:3], s[22:23], 3
	s_mov_b32 s4, exec_lo
	s_add_u32 s2, s12, s2
	s_addc_u32 s3, s13, s3
	s_load_b64 s[2:3], s[2:3], 0x0
	s_waitcnt lgkmcnt(0)
	s_sub_u32 s2, s2, s30
	s_subb_u32 s3, s3, 0
	s_delay_alu instid0(SALU_CYCLE_1)
	v_cmpx_gt_i64_e64 s[2:3], v[1:2]
	s_cbranch_execz .LBB48_80
; %bb.78:
	v_lshlrev_b64 v[3:4], 2, v[1:2]
	v_lshlrev_b32_e32 v5, 2, v0
	s_mov_b32 s5, 0
	s_delay_alu instid0(VALU_DEP_2) | instskip(NEXT) | instid1(VALU_DEP_3)
	v_add_co_u32 v3, vcc_lo, s14, v3
	v_add_co_ci_u32_e32 v4, vcc_lo, s15, v4, vcc_lo
	s_set_inst_prefetch_distance 0x1
	.p2align	6
.LBB48_79:                              ; =>This Inner Loop Header: Depth=1
	global_load_b32 v7, v[3:4], off
	v_add_co_u32 v6, vcc_lo, s16, v1
	s_waitcnt vmcnt(0)
	v_subrev_nc_u32_e32 v8, s30, v7
	v_add_co_ci_u32_e32 v7, vcc_lo, s17, v2, vcc_lo
	global_load_i8 v9, v[6:7], off
	v_ashrrev_i32_e32 v7, 31, v8
	v_add_co_u32 v6, vcc_lo, s18, v8
	s_delay_alu instid0(VALU_DEP_2)
	v_add_co_ci_u32_e32 v7, vcc_lo, s19, v7, vcc_lo
	v_add_co_u32 v1, vcc_lo, 0x100, v1
	v_add_co_ci_u32_e32 v2, vcc_lo, 0, v2, vcc_lo
	global_load_i8 v6, v[6:7], off
	v_add_co_u32 v3, vcc_lo, 0x400, v3
	v_cmp_le_i64_e64 s0, s[2:3], v[1:2]
	v_add_co_ci_u32_e32 v4, vcc_lo, 0, v4, vcc_lo
	s_delay_alu instid0(VALU_DEP_2) | instskip(SKIP_3) | instid1(VALU_DEP_1)
	s_or_b32 s5, s0, s5
	s_waitcnt vmcnt(1)
	v_mul_lo_u32 v7, s44, v9
	s_waitcnt vmcnt(0)
	v_mul_lo_u32 v6, v7, v6
	ds_store_b32 v5, v6
	v_add_nc_u32_e32 v5, 0x400, v5
	s_and_not1_b32 exec_lo, exec_lo, s5
	s_cbranch_execnz .LBB48_79
.LBB48_80:
	s_set_inst_prefetch_distance 0x2
	s_or_b32 exec_lo, exec_lo, s4
                                        ; implicit-def: $vgpr1
.LBB48_81:
	s_or_saveexec_b32 s0, s1
	v_lshlrev_b32_e32 v7, 2, v0
	s_xor_b32 exec_lo, exec_lo, s0
	s_cbranch_execz .LBB48_83
; %bb.82:
	v_lshlrev_b64 v[3:4], 2, v[1:2]
	s_delay_alu instid0(VALU_DEP_1) | instskip(NEXT) | instid1(VALU_DEP_2)
	v_add_co_u32 v3, vcc_lo, s14, v3
	v_add_co_ci_u32_e32 v4, vcc_lo, s15, v4, vcc_lo
	v_add_co_u32 v1, vcc_lo, s16, v1
	v_add_co_ci_u32_e32 v2, vcc_lo, s17, v2, vcc_lo
	s_clause 0x3
	global_load_b32 v5, v[3:4], off
	global_load_b32 v6, v[3:4], off offset:1024
	global_load_b32 v8, v[3:4], off offset:2048
	;; [unrolled: 1-line block ×3, first 2 shown]
	s_clause 0x3
	global_load_i8 v10, v[1:2], off
	global_load_i8 v11, v[1:2], off offset:256
	global_load_i8 v12, v[1:2], off offset:512
	;; [unrolled: 1-line block ×3, first 2 shown]
	s_waitcnt vmcnt(7)
	v_subrev_nc_u32_e32 v4, s30, v5
	s_waitcnt vmcnt(6)
	v_subrev_nc_u32_e32 v5, s30, v6
	;; [unrolled: 2-line block ×4, first 2 shown]
	v_ashrrev_i32_e32 v2, 31, v4
	v_ashrrev_i32_e32 v9, 31, v5
	v_add_co_u32 v1, vcc_lo, s18, v4
	v_ashrrev_i32_e32 v14, 31, v6
	s_delay_alu instid0(VALU_DEP_4)
	v_add_co_ci_u32_e32 v2, vcc_lo, s19, v2, vcc_lo
	v_add_co_u32 v3, vcc_lo, s18, v5
	v_add_co_ci_u32_e32 v4, vcc_lo, s19, v9, vcc_lo
	v_ashrrev_i32_e32 v15, 31, v8
	v_add_co_u32 v5, vcc_lo, s18, v6
	v_add_co_ci_u32_e32 v6, vcc_lo, s19, v14, vcc_lo
	v_add_co_u32 v8, vcc_lo, s18, v8
	s_delay_alu instid0(VALU_DEP_4)
	v_add_co_ci_u32_e32 v9, vcc_lo, s19, v15, vcc_lo
	s_clause 0x3
	global_load_i8 v1, v[1:2], off
	global_load_i8 v2, v[3:4], off
	;; [unrolled: 1-line block ×4, first 2 shown]
	s_waitcnt vmcnt(7)
	v_mul_lo_u32 v5, s44, v10
	s_waitcnt vmcnt(6)
	v_mul_lo_u32 v6, s44, v11
	;; [unrolled: 2-line block ×8, first 2 shown]
	ds_store_2addr_stride64_b32 v7, v1, v2 offset1:4
	ds_store_2addr_stride64_b32 v7, v3, v4 offset0:8 offset1:12
.LBB48_83:
	s_or_b32 exec_lo, exec_lo, s0
	s_cmp_lt_i32 s33, 2
	s_mov_b32 s0, -1
	s_waitcnt lgkmcnt(0)
	s_waitcnt_vscnt null, 0x0
	s_barrier
	buffer_gl0_inv
	s_cbranch_scc0 .LBB48_94
; %bb.84:
	v_add_co_u32 v5, s0, s20, v0
	s_delay_alu instid0(VALU_DEP_1) | instskip(SKIP_1) | instid1(VALU_DEP_1)
	v_add_co_ci_u32_e64 v6, null, s21, 0, s0
	s_mov_b32 s1, exec_lo
	v_cmpx_gt_i64_e64 s[22:23], v[5:6]
	s_cbranch_execz .LBB48_93
; %bb.85:
	s_cmp_lg_u32 s31, 0
	s_mov_b32 s3, 0
	s_cselect_b32 s2, -1, 0
	s_lshl_b32 s0, s28, 2
	s_delay_alu instid0(SALU_CYCLE_1)
	s_sub_i32 s4, 0, s0
	s_branch .LBB48_87
.LBB48_86:                              ;   in Loop: Header=BB48_87 Depth=1
	v_add_co_u32 v5, vcc_lo, 0x100, v5
	v_add_co_ci_u32_e32 v6, vcc_lo, 0, v6, vcc_lo
	s_delay_alu instid0(VALU_DEP_3) | instskip(NEXT) | instid1(VALU_DEP_1)
	v_add_co_u32 v3, s0, s24, v3
	v_add_co_ci_u32_e64 v4, s0, s25, v4, s0
	s_delay_alu instid0(VALU_DEP_3) | instskip(SKIP_2) | instid1(SALU_CYCLE_1)
	v_cmp_le_i64_e32 vcc_lo, s[22:23], v[5:6]
	global_store_b32 v[3:4], v2, off
	s_or_b32 s3, vcc_lo, s3
	s_and_not1_b32 exec_lo, exec_lo, s3
	s_cbranch_execz .LBB48_93
.LBB48_87:                              ; =>This Loop Header: Depth=1
                                        ;     Child Loop BB48_89 Depth 2
	v_lshlrev_b64 v[1:2], 3, v[5:6]
	s_mov_b32 s0, exec_lo
	s_delay_alu instid0(VALU_DEP_1) | instskip(NEXT) | instid1(VALU_DEP_2)
	v_add_co_u32 v1, vcc_lo, s12, v1
	v_add_co_ci_u32_e32 v2, vcc_lo, s13, v2, vcc_lo
	global_load_b128 v[1:4], v[1:2], off
	s_waitcnt vmcnt(0)
	v_mov_b32_e32 v2, 0
	v_subrev_nc_u32_e32 v4, s28, v1
	v_subrev_nc_u32_e32 v3, s28, v3
	s_delay_alu instid0(VALU_DEP_1)
	v_cmpx_lt_i32_e64 v4, v3
	s_cbranch_execz .LBB48_91
; %bb.88:                               ;   in Loop: Header=BB48_87 Depth=1
	v_lshl_add_u32 v1, v1, 2, s4
	v_mov_b32_e32 v2, 0
	s_mov_b32 s5, 0
.LBB48_89:                              ;   Parent Loop BB48_87 Depth=1
                                        ; =>  This Inner Loop Header: Depth=2
	ds_load_b32 v8, v1
	v_add_nc_u32_e32 v4, 1, v4
	v_add_nc_u32_e32 v1, 4, v1
	s_delay_alu instid0(VALU_DEP_2)
	v_cmp_ge_i32_e32 vcc_lo, v4, v3
	s_or_b32 s5, vcc_lo, s5
	s_waitcnt lgkmcnt(0)
	v_add_nc_u32_e32 v2, v8, v2
	s_and_not1_b32 exec_lo, exec_lo, s5
	s_cbranch_execnz .LBB48_89
; %bb.90:                               ;   in Loop: Header=BB48_87 Depth=1
	s_or_b32 exec_lo, exec_lo, s5
.LBB48_91:                              ;   in Loop: Header=BB48_87 Depth=1
	s_delay_alu instid0(SALU_CYCLE_1)
	s_or_b32 exec_lo, exec_lo, s0
	v_lshlrev_b64 v[3:4], 2, v[5:6]
	s_and_b32 vcc_lo, exec_lo, s2
	s_cbranch_vccz .LBB48_86
; %bb.92:                               ;   in Loop: Header=BB48_87 Depth=1
	s_delay_alu instid0(VALU_DEP_1) | instskip(NEXT) | instid1(VALU_DEP_2)
	v_add_co_u32 v8, vcc_lo, s24, v3
	v_add_co_ci_u32_e32 v9, vcc_lo, s25, v4, vcc_lo
	global_load_b32 v1, v[8:9], off
	s_waitcnt vmcnt(0)
	v_mad_u64_u32 v[8:9], null, v1, s31, v[2:3]
	s_delay_alu instid0(VALU_DEP_1)
	v_mov_b32_e32 v2, v8
	s_branch .LBB48_86
.LBB48_93:
	s_or_b32 exec_lo, exec_lo, s1
	s_mov_b32 s0, 0
.LBB48_94:
	s_delay_alu instid0(SALU_CYCLE_1)
	s_and_not1_b32 vcc_lo, exec_lo, s0
	s_cbranch_vccnz .LBB48_119
; %bb.95:
	s_clz_i32_u32 s0, s33
	s_add_i32 s1, s33, -1
	s_xor_b32 s0, s0, 31
	v_mov_b32_e32 v3, 0
	v_lshrrev_b32_e32 v4, s0, v0
	v_and_b32_e32 v0, s1, v0
	s_mov_b32 s1, exec_lo
	s_delay_alu instid0(VALU_DEP_2) | instskip(NEXT) | instid1(VALU_DEP_1)
	v_add_co_u32 v1, s0, s20, v4
	v_add_co_ci_u32_e64 v2, null, s21, 0, s0
	s_delay_alu instid0(VALU_DEP_1)
	v_cmp_le_i64_e32 vcc_lo, s[22:23], v[1:2]
	v_cmpx_gt_i64_e64 s[22:23], v[1:2]
	s_cbranch_execz .LBB48_101
; %bb.96:
	v_lshlrev_b32_e32 v3, 3, v4
	s_mov_b32 s2, exec_lo
	s_clause 0x1
	global_load_b32 v4, v3, s[26:27]
	global_load_b32 v3, v3, s[26:27] offset:8
	s_waitcnt vmcnt(1)
	v_subrev_nc_u32_e32 v5, s28, v4
	s_waitcnt vmcnt(0)
	v_subrev_nc_u32_e32 v4, s28, v3
	v_mov_b32_e32 v3, 0
	s_delay_alu instid0(VALU_DEP_3) | instskip(NEXT) | instid1(VALU_DEP_1)
	v_add_nc_u32_e32 v5, v0, v5
	v_cmpx_lt_i32_e64 v5, v4
	s_cbranch_execz .LBB48_100
; %bb.97:
	v_dual_mov_b32 v3, 0 :: v_dual_lshlrev_b32 v6, 2, v5
	s_lshl_b32 s4, s33, 2
	s_mov_b32 s3, 0
.LBB48_98:                              ; =>This Inner Loop Header: Depth=1
	ds_load_b32 v8, v6
	v_add_nc_u32_e32 v5, s33, v5
	v_add_nc_u32_e32 v6, s4, v6
	s_delay_alu instid0(VALU_DEP_2) | instskip(NEXT) | instid1(VALU_DEP_1)
	v_cmp_ge_i32_e64 s0, v5, v4
	s_or_b32 s3, s0, s3
	s_waitcnt lgkmcnt(0)
	v_add_nc_u32_e32 v3, v8, v3
	s_and_not1_b32 exec_lo, exec_lo, s3
	s_cbranch_execnz .LBB48_98
; %bb.99:
	s_or_b32 exec_lo, exec_lo, s3
.LBB48_100:
	s_delay_alu instid0(SALU_CYCLE_1)
	s_or_b32 exec_lo, exec_lo, s2
.LBB48_101:
	s_delay_alu instid0(SALU_CYCLE_1)
	s_or_b32 exec_lo, exec_lo, s1
	s_cmpk_lt_i32 s33, 0x81
	s_waitcnt_vscnt null, 0x0
	s_barrier
	buffer_gl0_inv
	ds_store_b32 v7, v3
	s_waitcnt lgkmcnt(0)
	s_barrier
	buffer_gl0_inv
	s_cbranch_scc1 .LBB48_103
; %bb.102:
	ds_load_b32 v4, v7 offset:512
	s_waitcnt lgkmcnt(0)
	s_barrier
	buffer_gl0_inv
	v_add_nc_u32_e32 v3, v4, v3
	ds_store_b32 v7, v3
.LBB48_103:
	s_cmpk_lt_i32 s33, 0x41
	s_waitcnt lgkmcnt(0)
	s_barrier
	buffer_gl0_inv
	s_cbranch_scc1 .LBB48_105
; %bb.104:
	ds_load_b32 v4, v7 offset:256
	s_waitcnt lgkmcnt(0)
	s_barrier
	buffer_gl0_inv
	v_add_nc_u32_e32 v3, v4, v3
	ds_store_b32 v7, v3
.LBB48_105:
	s_cmp_lt_i32 s33, 33
	s_waitcnt lgkmcnt(0)
	s_barrier
	buffer_gl0_inv
	s_cbranch_scc1 .LBB48_107
; %bb.106:
	ds_load_b32 v4, v7 offset:128
	s_waitcnt lgkmcnt(0)
	s_barrier
	buffer_gl0_inv
	v_add_nc_u32_e32 v3, v4, v3
	ds_store_b32 v7, v3
.LBB48_107:
	s_cmp_lt_i32 s33, 17
	;; [unrolled: 13-line block ×4, first 2 shown]
	s_waitcnt lgkmcnt(0)
	s_barrier
	buffer_gl0_inv
	s_cbranch_scc1 .LBB48_113
; %bb.112:
	ds_load_b32 v4, v7 offset:16
	s_waitcnt lgkmcnt(0)
	s_barrier
	buffer_gl0_inv
	v_add_nc_u32_e32 v3, v4, v3
	ds_store_b32 v7, v3
.LBB48_113:
	s_cmp_eq_u32 s33, 2
	s_waitcnt lgkmcnt(0)
	s_barrier
	buffer_gl0_inv
	s_cbranch_scc1 .LBB48_115
; %bb.114:
	ds_load_b32 v4, v7 offset:8
	s_waitcnt lgkmcnt(0)
	s_barrier
	buffer_gl0_inv
	v_add_nc_u32_e32 v3, v4, v3
	ds_store_b32 v7, v3
.LBB48_115:
	s_waitcnt lgkmcnt(0)
	s_barrier
	buffer_gl0_inv
	ds_load_b32 v4, v7 offset:4
	v_cmp_eq_u32_e64 s0, 0, v0
	s_xor_b32 s1, vcc_lo, -1
	s_waitcnt lgkmcnt(0)
	s_barrier
	buffer_gl0_inv
	s_and_b32 s0, s0, s1
	v_add_nc_u32_e32 v0, v4, v3
	ds_store_b32 v7, v0
	s_and_saveexec_b32 s1, s0
	s_cbranch_execz .LBB48_119
; %bb.116:
	v_lshlrev_b64 v[1:2], 2, v[1:2]
	s_cmp_eq_u32 s31, 0
	s_cbranch_scc1 .LBB48_118
; %bb.117:
	s_delay_alu instid0(VALU_DEP_1) | instskip(NEXT) | instid1(VALU_DEP_2)
	v_add_co_u32 v3, vcc_lo, s24, v1
	v_add_co_ci_u32_e32 v4, vcc_lo, s25, v2, vcc_lo
	global_load_b32 v5, v[3:4], off
	s_waitcnt vmcnt(0)
	v_mad_u64_u32 v[3:4], null, v5, s31, v[0:1]
	s_delay_alu instid0(VALU_DEP_1)
	v_mov_b32_e32 v0, v3
.LBB48_118:
	s_delay_alu instid0(VALU_DEP_1) | instskip(NEXT) | instid1(VALU_DEP_2)
	v_add_co_u32 v1, vcc_lo, s24, v1
	v_add_co_ci_u32_e32 v2, vcc_lo, s25, v2, vcc_lo
	global_store_b32 v[1:2], v0, off
.LBB48_119:
	s_nop 0
	s_sendmsg sendmsg(MSG_DEALLOC_VGPRS)
	s_endpgm
	.section	.rodata,"a",@progbits
	.p2align	6, 0x0
	.amdhsa_kernel _ZN9rocsparseL22csrmvn_adaptive_kernelIliaaiiEEvbT_PKS1_PjPKT0_NS_24const_host_device_scalarIT4_EES3_S7_PKT1_PKT2_SA_PT3_21rocsparse_index_base_b
		.amdhsa_group_segment_fixed_size 4096
		.amdhsa_private_segment_fixed_size 0
		.amdhsa_kernarg_size 104
		.amdhsa_user_sgpr_count 15
		.amdhsa_user_sgpr_dispatch_ptr 0
		.amdhsa_user_sgpr_queue_ptr 0
		.amdhsa_user_sgpr_kernarg_segment_ptr 1
		.amdhsa_user_sgpr_dispatch_id 0
		.amdhsa_user_sgpr_private_segment_size 0
		.amdhsa_wavefront_size32 1
		.amdhsa_uses_dynamic_stack 0
		.amdhsa_enable_private_segment 0
		.amdhsa_system_sgpr_workgroup_id_x 1
		.amdhsa_system_sgpr_workgroup_id_y 0
		.amdhsa_system_sgpr_workgroup_id_z 0
		.amdhsa_system_sgpr_workgroup_info 0
		.amdhsa_system_vgpr_workitem_id 0
		.amdhsa_next_free_vgpr 16
		.amdhsa_next_free_sgpr 48
		.amdhsa_reserve_vcc 1
		.amdhsa_float_round_mode_32 0
		.amdhsa_float_round_mode_16_64 0
		.amdhsa_float_denorm_mode_32 3
		.amdhsa_float_denorm_mode_16_64 3
		.amdhsa_dx10_clamp 1
		.amdhsa_ieee_mode 1
		.amdhsa_fp16_overflow 0
		.amdhsa_workgroup_processor_mode 1
		.amdhsa_memory_ordered 1
		.amdhsa_forward_progress 0
		.amdhsa_shared_vgpr_count 0
		.amdhsa_exception_fp_ieee_invalid_op 0
		.amdhsa_exception_fp_denorm_src 0
		.amdhsa_exception_fp_ieee_div_zero 0
		.amdhsa_exception_fp_ieee_overflow 0
		.amdhsa_exception_fp_ieee_underflow 0
		.amdhsa_exception_fp_ieee_inexact 0
		.amdhsa_exception_int_div_zero 0
	.end_amdhsa_kernel
	.section	.text._ZN9rocsparseL22csrmvn_adaptive_kernelIliaaiiEEvbT_PKS1_PjPKT0_NS_24const_host_device_scalarIT4_EES3_S7_PKT1_PKT2_SA_PT3_21rocsparse_index_base_b,"axG",@progbits,_ZN9rocsparseL22csrmvn_adaptive_kernelIliaaiiEEvbT_PKS1_PjPKT0_NS_24const_host_device_scalarIT4_EES3_S7_PKT1_PKT2_SA_PT3_21rocsparse_index_base_b,comdat
.Lfunc_end48:
	.size	_ZN9rocsparseL22csrmvn_adaptive_kernelIliaaiiEEvbT_PKS1_PjPKT0_NS_24const_host_device_scalarIT4_EES3_S7_PKT1_PKT2_SA_PT3_21rocsparse_index_base_b, .Lfunc_end48-_ZN9rocsparseL22csrmvn_adaptive_kernelIliaaiiEEvbT_PKS1_PjPKT0_NS_24const_host_device_scalarIT4_EES3_S7_PKT1_PKT2_SA_PT3_21rocsparse_index_base_b
                                        ; -- End function
	.section	.AMDGPU.csdata,"",@progbits
; Kernel info:
; codeLenInByte = 4548
; NumSgprs: 50
; NumVgprs: 16
; ScratchSize: 0
; MemoryBound: 0
; FloatMode: 240
; IeeeMode: 1
; LDSByteSize: 4096 bytes/workgroup (compile time only)
; SGPRBlocks: 6
; VGPRBlocks: 1
; NumSGPRsForWavesPerEU: 50
; NumVGPRsForWavesPerEU: 16
; Occupancy: 16
; WaveLimiterHint : 1
; COMPUTE_PGM_RSRC2:SCRATCH_EN: 0
; COMPUTE_PGM_RSRC2:USER_SGPR: 15
; COMPUTE_PGM_RSRC2:TRAP_HANDLER: 0
; COMPUTE_PGM_RSRC2:TGID_X_EN: 1
; COMPUTE_PGM_RSRC2:TGID_Y_EN: 0
; COMPUTE_PGM_RSRC2:TGID_Z_EN: 0
; COMPUTE_PGM_RSRC2:TIDIG_COMP_CNT: 0
	.section	.text._ZN9rocsparseL27csrmvn_symm_adaptive_kernelIliaaiiEEvbT_S1_PKS1_NS_24const_host_device_scalarIT4_EES3_PKT0_PKT1_PKT2_S6_PT3_21rocsparse_index_base_b,"axG",@progbits,_ZN9rocsparseL27csrmvn_symm_adaptive_kernelIliaaiiEEvbT_S1_PKS1_NS_24const_host_device_scalarIT4_EES3_PKT0_PKT1_PKT2_S6_PT3_21rocsparse_index_base_b,comdat
	.globl	_ZN9rocsparseL27csrmvn_symm_adaptive_kernelIliaaiiEEvbT_S1_PKS1_NS_24const_host_device_scalarIT4_EES3_PKT0_PKT1_PKT2_S6_PT3_21rocsparse_index_base_b ; -- Begin function _ZN9rocsparseL27csrmvn_symm_adaptive_kernelIliaaiiEEvbT_S1_PKS1_NS_24const_host_device_scalarIT4_EES3_PKT0_PKT1_PKT2_S6_PT3_21rocsparse_index_base_b
	.p2align	8
	.type	_ZN9rocsparseL27csrmvn_symm_adaptive_kernelIliaaiiEEvbT_S1_PKS1_NS_24const_host_device_scalarIT4_EES3_PKT0_PKT1_PKT2_S6_PT3_21rocsparse_index_base_b,@function
_ZN9rocsparseL27csrmvn_symm_adaptive_kernelIliaaiiEEvbT_S1_PKS1_NS_24const_host_device_scalarIT4_EES3_PKT0_PKT1_PKT2_S6_PT3_21rocsparse_index_base_b: ; @_ZN9rocsparseL27csrmvn_symm_adaptive_kernelIliaaiiEEvbT_S1_PKS1_NS_24const_host_device_scalarIT4_EES3_PKT0_PKT1_PKT2_S6_PT3_21rocsparse_index_base_b
; %bb.0:
	s_clause 0x1
	s_load_b64 s[24:25], s[0:1], 0x58
	s_load_b64 s[6:7], s[0:1], 0x20
	s_mov_b32 s2, s15
	s_mov_b32 s8, -1
	s_waitcnt lgkmcnt(0)
	s_bitcmp1_b32 s25, 0
                                        ; implicit-def: $sgpr25
	s_cselect_b32 s3, -1, 0
	s_delay_alu instid0(SALU_CYCLE_1) | instskip(NEXT) | instid1(SALU_CYCLE_1)
	s_xor_b32 s3, s3, -1
	s_and_b32 vcc_lo, exec_lo, s3
	s_cbranch_vccnz .LBB49_4
; %bb.1:
	s_load_b64 s[4:5], s[0:1], 0x48
	s_and_not1_b32 vcc_lo, exec_lo, s8
	s_cbranch_vccz .LBB49_5
.LBB49_2:
	s_and_b32 vcc_lo, exec_lo, s3
	s_cbranch_vccz .LBB49_6
.LBB49_3:
	s_waitcnt lgkmcnt(0)
	s_load_b32 s3, s[4:5], 0x0
	s_cbranch_execz .LBB49_7
	s_branch .LBB49_8
.LBB49_4:
	s_load_b32 s25, s[6:7], 0x0
	s_load_b64 s[4:5], s[0:1], 0x48
	s_cbranch_execnz .LBB49_2
.LBB49_5:
	s_waitcnt lgkmcnt(0)
	s_mov_b32 s25, s6
	s_and_b32 vcc_lo, exec_lo, s3
	s_cbranch_vccnz .LBB49_3
.LBB49_6:
	s_waitcnt lgkmcnt(0)
                                        ; implicit-def: $sgpr3
.LBB49_7:
	s_waitcnt lgkmcnt(0)
	s_mov_b32 s3, s4
.LBB49_8:
	s_cmp_lg_u32 s25, 0
	s_cselect_b32 s4, -1, 0
	s_waitcnt lgkmcnt(0)
	s_cmp_lg_u32 s3, 1
	s_cselect_b32 s3, -1, 0
	s_delay_alu instid0(SALU_CYCLE_1) | instskip(NEXT) | instid1(SALU_CYCLE_1)
	s_or_b32 s3, s4, s3
	s_and_not1_b32 vcc_lo, exec_lo, s3
	s_cbranch_vccnz .LBB49_153
; %bb.9:
	s_load_b64 s[4:5], s[0:1], 0x18
	s_ashr_i32 s3, s2, 31
	v_dual_mov_b32 v1, 0 :: v_dual_lshlrev_b32 v16, 2, v0
	s_lshl_b64 s[2:3], s[2:3], 3
	ds_store_2addr_stride64_b32 v16, v1, v1 offset1:4
	ds_store_2addr_stride64_b32 v16, v1, v1 offset0:8 offset1:12
	s_waitcnt lgkmcnt(0)
	s_barrier
	buffer_gl0_inv
	s_add_u32 s2, s4, s2
	s_addc_u32 s3, s5, s3
	s_load_b128 s[16:19], s[2:3], 0x0
	s_clause 0x1
	s_load_b256 s[8:15], s[0:1], 0x28
	s_load_b64 s[20:21], s[0:1], 0x50
	s_waitcnt lgkmcnt(0)
	s_sub_u32 s22, s18, s16
	s_subb_u32 s23, s19, s17
	s_delay_alu instid0(SALU_CYCLE_1) | instskip(NEXT) | instid1(VALU_DEP_1)
	v_cmp_gt_i64_e64 s2, s[22:23], 2
	s_and_b32 vcc_lo, exec_lo, s2
	s_mov_b32 s2, -1
	s_cbranch_vccnz .LBB49_42
; %bb.10:
	v_cmp_gt_i64_e64 s2, s[18:19], s[16:17]
	v_sub_co_u32 v5, s3, v0, s24
	s_delay_alu instid0(VALU_DEP_1) | instskip(NEXT) | instid1(VALU_DEP_3)
	v_sub_co_ci_u32_e64 v6, null, 0, 0, s3
	s_and_b32 vcc_lo, exec_lo, s2
	s_mov_b32 s2, 0
	s_cbranch_vccnz .LBB49_12
; %bb.11:
	s_lshl_b64 s[4:5], s[16:17], 3
	s_delay_alu instid0(SALU_CYCLE_1)
	s_add_u32 s4, s8, s4
	s_addc_u32 s5, s9, s5
	s_load_b64 s[26:27], s[4:5], 0x0
	s_and_not1_b32 vcc_lo, exec_lo, s2
	s_cbranch_vccz .LBB49_13
	s_branch .LBB49_32
.LBB49_12:
                                        ; implicit-def: $sgpr26_sgpr27
.LBB49_13:
	s_lshl_b64 s[2:3], s[16:17], 3
	v_cmp_gt_u32_e64 s4, 16, v0
	s_add_u32 s2, s8, s2
	s_addc_u32 s3, s9, s3
	v_cmp_gt_u32_e64 s5, 4, v0
	s_waitcnt lgkmcnt(0)
	s_load_b64 s[26:27], s[2:3], 0x0
	v_cmp_gt_u32_e64 s2, 0x100, v0
	v_cmp_gt_u32_e64 s3, 64, v0
	v_cmp_eq_u32_e64 s6, 0, v0
	v_mov_b32_e32 v7, 0
	s_add_u32 s33, s8, 8
	s_addc_u32 s36, s9, 0
	s_mov_b64 s[28:29], s[16:17]
	s_waitcnt lgkmcnt(0)
	s_mov_b64 s[30:31], s[26:27]
	s_branch .LBB49_15
.LBB49_14:                              ;   in Loop: Header=BB49_15 Depth=1
	s_or_b32 exec_lo, exec_lo, s7
	s_add_u32 s28, s28, 1
	s_addc_u32 s29, s29, 0
	s_delay_alu instid0(SALU_CYCLE_1) | instskip(NEXT) | instid1(VALU_DEP_1)
	v_cmp_ge_i64_e64 s7, s[28:29], s[18:19]
	s_and_b32 vcc_lo, exec_lo, s7
	s_cbranch_vccnz .LBB49_32
.LBB49_15:                              ; =>This Loop Header: Depth=1
                                        ;     Child Loop BB49_17 Depth 2
	s_lshl_b64 s[34:35], s[28:29], 3
	s_mov_b64 s[38:39], s[30:31]
	s_add_u32 s34, s33, s34
	s_addc_u32 s35, s36, s35
	v_add_co_u32 v1, vcc_lo, s38, v5
	s_load_b64 s[30:31], s[34:35], 0x0
	v_add_co_ci_u32_e32 v2, vcc_lo, s39, v6, vcc_lo
	v_mov_b32_e32 v8, 0
	s_mov_b32 s37, exec_lo
	s_waitcnt lgkmcnt(0)
	s_sub_u32 s34, s30, s24
	s_subb_u32 s35, s31, 0
	s_delay_alu instid0(SALU_CYCLE_1)
	v_cmpx_gt_i64_e64 s[34:35], v[1:2]
	s_cbranch_execz .LBB49_19
; %bb.16:                               ;   in Loop: Header=BB49_15 Depth=1
	v_lshlrev_b64 v[3:4], 2, v[1:2]
	v_mov_b32_e32 v8, 0
	s_mov_b32 s38, 0
	s_delay_alu instid0(VALU_DEP_2) | instskip(NEXT) | instid1(VALU_DEP_3)
	v_add_co_u32 v3, vcc_lo, s10, v3
	v_add_co_ci_u32_e32 v4, vcc_lo, s11, v4, vcc_lo
	.p2align	6
.LBB49_17:                              ;   Parent Loop BB49_15 Depth=1
                                        ; =>  This Inner Loop Header: Depth=2
	global_load_b32 v9, v[3:4], off
	v_add_co_u32 v3, s7, 0x400, v3
	s_delay_alu instid0(VALU_DEP_1) | instskip(SKIP_4) | instid1(VALU_DEP_3)
	v_add_co_ci_u32_e64 v4, s7, 0, v4, s7
	s_waitcnt vmcnt(0)
	v_subrev_nc_u32_e32 v11, s24, v9
	v_add_co_u32 v9, vcc_lo, s12, v1
	v_add_co_ci_u32_e32 v10, vcc_lo, s13, v2, vcc_lo
	v_ashrrev_i32_e32 v12, 31, v11
	v_add_co_u32 v11, vcc_lo, s14, v11
	s_delay_alu instid0(VALU_DEP_2) | instskip(SKIP_4) | instid1(VALU_DEP_1)
	v_add_co_ci_u32_e32 v12, vcc_lo, s15, v12, vcc_lo
	v_add_co_u32 v1, vcc_lo, 0x100, v1
	global_load_i8 v9, v[9:10], off
	global_load_i8 v10, v[11:12], off
	v_add_co_ci_u32_e32 v2, vcc_lo, 0, v2, vcc_lo
	v_cmp_le_i64_e32 vcc_lo, s[34:35], v[1:2]
	s_or_b32 s38, vcc_lo, s38
	s_waitcnt vmcnt(0)
	v_mad_i32_i24 v8, v10, v9, v8
	s_and_not1_b32 exec_lo, exec_lo, s38
	s_cbranch_execnz .LBB49_17
; %bb.18:                               ;   in Loop: Header=BB49_15 Depth=1
	s_or_b32 exec_lo, exec_lo, s38
.LBB49_19:                              ;   in Loop: Header=BB49_15 Depth=1
	s_delay_alu instid0(SALU_CYCLE_1)
	s_or_b32 exec_lo, exec_lo, s37
	ds_store_b32 v16, v8
	s_waitcnt lgkmcnt(0)
	s_waitcnt_vscnt null, 0x0
	s_barrier
	buffer_gl0_inv
	s_and_saveexec_b32 s7, s2
	s_cbranch_execz .LBB49_21
; %bb.20:                               ;   in Loop: Header=BB49_15 Depth=1
	ds_load_2addr_stride64_b32 v[1:2], v16 offset1:4
	ds_load_2addr_stride64_b32 v[3:4], v16 offset0:8 offset1:12
	s_waitcnt lgkmcnt(0)
	v_add_nc_u32_e32 v2, v3, v2
	s_delay_alu instid0(VALU_DEP_1)
	v_add3_u32 v1, v2, v4, v1
	ds_store_b32 v16, v1
.LBB49_21:                              ;   in Loop: Header=BB49_15 Depth=1
	s_or_b32 exec_lo, exec_lo, s7
	s_waitcnt lgkmcnt(0)
	s_barrier
	buffer_gl0_inv
	s_and_saveexec_b32 s7, s3
	s_cbranch_execz .LBB49_23
; %bb.22:                               ;   in Loop: Header=BB49_15 Depth=1
	ds_load_2addr_stride64_b32 v[1:2], v16 offset1:1
	ds_load_2addr_stride64_b32 v[3:4], v16 offset0:2 offset1:3
	s_waitcnt lgkmcnt(0)
	v_add_nc_u32_e32 v2, v3, v2
	s_delay_alu instid0(VALU_DEP_1)
	v_add3_u32 v1, v2, v4, v1
	ds_store_b32 v16, v1
.LBB49_23:                              ;   in Loop: Header=BB49_15 Depth=1
	s_or_b32 exec_lo, exec_lo, s7
	s_waitcnt lgkmcnt(0)
	s_barrier
	buffer_gl0_inv
	s_and_saveexec_b32 s7, s4
	s_cbranch_execz .LBB49_25
; %bb.24:                               ;   in Loop: Header=BB49_15 Depth=1
	ds_load_2addr_b32 v[1:2], v16 offset1:16
	ds_load_2addr_b32 v[3:4], v16 offset0:32 offset1:48
	s_waitcnt lgkmcnt(0)
	v_add_nc_u32_e32 v2, v3, v2
	s_delay_alu instid0(VALU_DEP_1)
	v_add3_u32 v1, v2, v4, v1
	ds_store_b32 v16, v1
.LBB49_25:                              ;   in Loop: Header=BB49_15 Depth=1
	s_or_b32 exec_lo, exec_lo, s7
	s_waitcnt lgkmcnt(0)
	s_barrier
	buffer_gl0_inv
	s_and_saveexec_b32 s7, s5
	s_cbranch_execz .LBB49_27
; %bb.26:                               ;   in Loop: Header=BB49_15 Depth=1
	ds_load_2addr_b32 v[1:2], v16 offset1:4
	ds_load_2addr_b32 v[3:4], v16 offset0:8 offset1:12
	s_waitcnt lgkmcnt(0)
	v_add_nc_u32_e32 v2, v3, v2
	s_delay_alu instid0(VALU_DEP_1)
	v_add3_u32 v1, v2, v4, v1
	ds_store_b32 v16, v1
.LBB49_27:                              ;   in Loop: Header=BB49_15 Depth=1
	s_or_b32 exec_lo, exec_lo, s7
	s_waitcnt lgkmcnt(0)
	s_barrier
	buffer_gl0_inv
	s_and_saveexec_b32 s7, s6
	s_cbranch_execz .LBB49_29
; %bb.28:                               ;   in Loop: Header=BB49_15 Depth=1
	ds_load_2addr_b32 v[1:2], v7 offset0:1 offset1:2
	ds_load_b32 v3, v7 offset:12
	ds_load_b32 v4, v16
	s_waitcnt lgkmcnt(2)
	v_add_nc_u32_e32 v1, v2, v1
	s_waitcnt lgkmcnt(0)
	s_delay_alu instid0(VALU_DEP_1)
	v_add3_u32 v1, v1, v3, v4
	ds_store_b32 v16, v1
.LBB49_29:                              ;   in Loop: Header=BB49_15 Depth=1
	s_or_b32 exec_lo, exec_lo, s7
	s_waitcnt lgkmcnt(0)
	s_barrier
	buffer_gl0_inv
	s_and_saveexec_b32 s7, s6
	s_cbranch_execz .LBB49_14
; %bb.30:                               ;   in Loop: Header=BB49_15 Depth=1
	s_mov_b32 s34, exec_lo
	s_delay_alu instid0(SALU_CYCLE_1) | instskip(NEXT) | instid1(VALU_DEP_1)
	v_mbcnt_lo_u32_b32 v1, s34, 0
	v_cmp_eq_u32_e32 vcc_lo, 0, v1
	s_and_b32 s35, exec_lo, vcc_lo
	s_delay_alu instid0(SALU_CYCLE_1)
	s_mov_b32 exec_lo, s35
	s_cbranch_execz .LBB49_14
; %bb.31:                               ;   in Loop: Header=BB49_15 Depth=1
	ds_load_b32 v1, v7
	s_lshl_b64 s[38:39], s[28:29], 2
	s_delay_alu instid0(SALU_CYCLE_1) | instskip(SKIP_4) | instid1(VALU_DEP_1)
	s_add_u32 s38, s20, s38
	s_addc_u32 s39, s21, s39
	s_bcnt1_i32_b32 s34, s34
	s_waitcnt lgkmcnt(0)
	v_mul_lo_u32 v1, v1, s25
	v_mul_lo_u32 v1, v1, s34
	global_atomic_add_u32 v7, v1, s[38:39]
	s_branch .LBB49_14
.LBB49_32:
	s_lshl_b64 s[2:3], s[18:19], 3
	s_waitcnt lgkmcnt(0)
	v_add_co_u32 v1, vcc_lo, s26, v5
	s_add_u32 s2, s8, s2
	s_addc_u32 s3, s9, s3
	v_add_co_ci_u32_e32 v2, vcc_lo, s27, v6, vcc_lo
	s_load_b64 s[2:3], s[2:3], 0x0
	s_waitcnt lgkmcnt(0)
	s_sub_u32 s4, s2, s24
	s_subb_u32 s5, s3, 0
	s_mov_b32 s3, exec_lo
	v_cmpx_gt_i64_e64 s[4:5], v[1:2]
	s_cbranch_execz .LBB49_41
; %bb.33:
	s_add_u32 s6, s18, -1
	s_addc_u32 s7, s19, -1
	s_add_u32 s26, s18, -2
	v_cmp_gt_i64_e64 s2, s[6:7], s[16:17]
	s_addc_u32 s27, s19, -1
	s_delay_alu instid0(SALU_CYCLE_1)
	s_cmp_lg_u64 s[26:27], s[16:17]
	s_mov_b32 s27, 0
	s_cselect_b32 s26, -1, 0
	s_delay_alu instid0(VALU_DEP_1) | instid1(SALU_CYCLE_1)
	s_and_b32 s26, s2, s26
	s_branch .LBB49_35
.LBB49_34:                              ;   in Loop: Header=BB49_35 Depth=1
	s_or_b32 exec_lo, exec_lo, s2
	v_add_co_u32 v1, vcc_lo, 0x100, v1
	v_add_co_ci_u32_e32 v2, vcc_lo, 0, v2, vcc_lo
	s_delay_alu instid0(VALU_DEP_1) | instskip(SKIP_1) | instid1(SALU_CYCLE_1)
	v_cmp_le_i64_e32 vcc_lo, s[4:5], v[1:2]
	s_or_b32 s27, vcc_lo, s27
	s_and_not1_b32 exec_lo, exec_lo, s27
	s_cbranch_execz .LBB49_41
.LBB49_35:                              ; =>This Loop Header: Depth=1
                                        ;     Child Loop BB49_37 Depth 2
	v_dual_mov_b32 v3, s16 :: v_dual_mov_b32 v4, s17
	v_dual_mov_b32 v5, s6 :: v_dual_mov_b32 v6, s7
	s_and_not1_b32 vcc_lo, exec_lo, s26
	s_cbranch_vccnz .LBB49_39
; %bb.36:                               ;   in Loop: Header=BB49_35 Depth=1
	v_dual_mov_b32 v3, s16 :: v_dual_mov_b32 v4, s17
	v_dual_mov_b32 v5, s6 :: v_dual_mov_b32 v6, s7
	s_mov_b32 s28, 0
	s_set_inst_prefetch_distance 0x1
	.p2align	6
.LBB49_37:                              ;   Parent Loop BB49_35 Depth=1
                                        ; =>  This Inner Loop Header: Depth=2
	s_delay_alu instid0(VALU_DEP_1) | instskip(NEXT) | instid1(VALU_DEP_2)
	v_add_co_u32 v7, vcc_lo, v5, v3
	v_add_co_ci_u32_e32 v8, vcc_lo, v6, v4, vcc_lo
	s_delay_alu instid0(VALU_DEP_1) | instskip(NEXT) | instid1(VALU_DEP_1)
	v_lshrrev_b32_e32 v9, 31, v8
	v_add_co_u32 v7, vcc_lo, v7, v9
	v_add_co_ci_u32_e32 v8, vcc_lo, 0, v8, vcc_lo
	s_delay_alu instid0(VALU_DEP_1) | instskip(NEXT) | instid1(VALU_DEP_1)
	v_ashrrev_i64 v[7:8], 1, v[7:8]
	v_lshlrev_b64 v[9:10], 3, v[7:8]
	s_delay_alu instid0(VALU_DEP_1) | instskip(NEXT) | instid1(VALU_DEP_2)
	v_add_co_u32 v9, vcc_lo, s8, v9
	v_add_co_ci_u32_e32 v10, vcc_lo, s9, v10, vcc_lo
	global_load_b64 v[9:10], v[9:10], off
	s_waitcnt vmcnt(0)
	v_sub_co_u32 v9, vcc_lo, v9, s24
	v_subrev_co_ci_u32_e32 v10, vcc_lo, 0, v10, vcc_lo
	s_delay_alu instid0(VALU_DEP_1) | instskip(SKIP_2) | instid1(VALU_DEP_2)
	v_cmp_gt_i64_e32 vcc_lo, v[9:10], v[1:2]
	v_dual_cndmask_b32 v6, v6, v8 :: v_dual_cndmask_b32 v5, v5, v7
	v_dual_cndmask_b32 v4, v8, v4 :: v_dual_cndmask_b32 v3, v7, v3
	v_add_co_u32 v7, vcc_lo, v5, -1
	s_delay_alu instid0(VALU_DEP_3) | instskip(NEXT) | instid1(VALU_DEP_3)
	v_add_co_ci_u32_e32 v8, vcc_lo, -1, v6, vcc_lo
	v_cmp_ge_i64_e32 vcc_lo, v[3:4], v[5:6]
	s_delay_alu instid0(VALU_DEP_2) | instskip(NEXT) | instid1(VALU_DEP_1)
	v_cmp_eq_u64_e64 s2, v[3:4], v[7:8]
	s_or_b32 s2, vcc_lo, s2
	s_delay_alu instid0(SALU_CYCLE_1) | instskip(NEXT) | instid1(SALU_CYCLE_1)
	s_and_b32 s2, exec_lo, s2
	s_or_b32 s28, s2, s28
	s_delay_alu instid0(SALU_CYCLE_1)
	s_and_not1_b32 exec_lo, exec_lo, s28
	s_cbranch_execnz .LBB49_37
; %bb.38:                               ;   in Loop: Header=BB49_35 Depth=1
	s_set_inst_prefetch_distance 0x2
	s_or_b32 exec_lo, exec_lo, s28
.LBB49_39:                              ;   in Loop: Header=BB49_35 Depth=1
	s_delay_alu instid0(VALU_DEP_1) | instskip(SKIP_2) | instid1(VALU_DEP_2)
	v_lshlrev_b64 v[7:8], 3, v[5:6]
	v_lshlrev_b64 v[9:10], 2, v[1:2]
	s_mov_b32 s2, exec_lo
	v_add_co_u32 v7, vcc_lo, s8, v7
	s_delay_alu instid0(VALU_DEP_3) | instskip(NEXT) | instid1(VALU_DEP_3)
	v_add_co_ci_u32_e32 v8, vcc_lo, s9, v8, vcc_lo
	v_add_co_u32 v9, vcc_lo, s10, v9
	s_delay_alu instid0(VALU_DEP_4)
	v_add_co_ci_u32_e32 v10, vcc_lo, s11, v10, vcc_lo
	global_load_b64 v[7:8], v[7:8], off
	global_load_b32 v9, v[9:10], off
	s_waitcnt vmcnt(1)
	v_sub_co_u32 v7, vcc_lo, v7, s24
	v_subrev_co_ci_u32_e32 v8, vcc_lo, 0, v8, vcc_lo
	s_delay_alu instid0(VALU_DEP_1) | instskip(SKIP_2) | instid1(VALU_DEP_1)
	v_cmp_gt_i64_e32 vcc_lo, v[7:8], v[1:2]
	s_waitcnt vmcnt(0)
	v_subrev_nc_u32_e32 v7, s24, v9
	v_ashrrev_i32_e32 v8, 31, v7
	v_dual_cndmask_b32 v4, v6, v4 :: v_dual_cndmask_b32 v3, v5, v3
	s_delay_alu instid0(VALU_DEP_1)
	v_cmpx_ne_u64_e64 v[3:4], v[7:8]
	s_cbranch_execz .LBB49_34
; %bb.40:                               ;   in Loop: Header=BB49_35 Depth=1
	v_add_co_u32 v5, vcc_lo, s12, v1
	v_add_co_ci_u32_e32 v6, vcc_lo, s13, v2, vcc_lo
	v_add_co_u32 v3, vcc_lo, s14, v3
	v_add_co_ci_u32_e32 v4, vcc_lo, s15, v4, vcc_lo
	global_load_i8 v5, v[5:6], off
	global_load_i8 v6, v[3:4], off
	v_lshlrev_b64 v[3:4], 2, v[7:8]
	s_delay_alu instid0(VALU_DEP_1) | instskip(NEXT) | instid1(VALU_DEP_2)
	v_add_co_u32 v3, vcc_lo, s20, v3
	v_add_co_ci_u32_e32 v4, vcc_lo, s21, v4, vcc_lo
	s_waitcnt vmcnt(1)
	v_mul_lo_u32 v5, s25, v5
	s_waitcnt vmcnt(0)
	s_delay_alu instid0(VALU_DEP_1)
	v_mul_lo_u32 v5, v5, v6
	global_atomic_add_u32 v[3:4], v5, off
	s_branch .LBB49_34
.LBB49_41:
	s_or_b32 exec_lo, exec_lo, s3
	s_mov_b32 s2, 0
.LBB49_42:
	s_delay_alu instid0(SALU_CYCLE_1)
	s_and_b32 vcc_lo, exec_lo, s2
	s_cbranch_vccz .LBB49_153
; %bb.43:
	s_load_b32 s2, s[0:1], 0x6c
	s_mov_b32 s7, 0
	s_mov_b64 s[28:29], 0
	s_waitcnt lgkmcnt(0)
	s_and_b32 s6, s2, 0xffff
	s_delay_alu instid0(SALU_CYCLE_1) | instskip(NEXT) | instid1(VALU_DEP_1)
	v_cmp_lt_u64_e64 s2, s[6:7], s[22:23]
	s_and_b32 vcc_lo, exec_lo, s2
	s_cbranch_vccnz .LBB49_45
; %bb.44:
	v_cvt_f32_u32_e32 v1, s22
	s_sub_i32 s3, 0, s22
	s_delay_alu instid0(VALU_DEP_1) | instskip(SKIP_2) | instid1(VALU_DEP_1)
	v_rcp_iflag_f32_e32 v1, v1
	s_waitcnt_depctr 0xfff
	v_mul_f32_e32 v1, 0x4f7ffffe, v1
	v_cvt_u32_f32_e32 v1, v1
	s_delay_alu instid0(VALU_DEP_1) | instskip(NEXT) | instid1(VALU_DEP_1)
	v_readfirstlane_b32 s2, v1
	s_mul_i32 s3, s3, s2
	s_delay_alu instid0(SALU_CYCLE_1) | instskip(NEXT) | instid1(SALU_CYCLE_1)
	s_mul_hi_u32 s3, s2, s3
	s_add_i32 s2, s2, s3
	s_delay_alu instid0(SALU_CYCLE_1) | instskip(NEXT) | instid1(SALU_CYCLE_1)
	s_mul_hi_u32 s2, s6, s2
	s_mul_i32 s3, s2, s22
	s_add_i32 s4, s2, 1
	s_sub_i32 s3, s6, s3
	s_delay_alu instid0(SALU_CYCLE_1)
	s_sub_i32 s5, s3, s22
	s_cmp_ge_u32 s3, s22
	s_cselect_b32 s2, s4, s2
	s_cselect_b32 s3, s5, s3
	s_add_i32 s4, s2, 1
	s_cmp_ge_u32 s3, s22
	s_cselect_b32 s28, s4, s2
.LBB49_45:
	s_lshl_b64 s[2:3], s[16:17], 3
	v_sub_co_u32 v1, s7, v0, s24
	s_add_u32 s26, s8, s2
	s_addc_u32 s27, s9, s3
	s_load_b64 s[4:5], s[26:27], 0x0
	s_load_b128 s[0:3], s[0:1], 0x8
	v_sub_co_ci_u32_e64 v3, null, 0, 0, s7
	s_waitcnt lgkmcnt(0)
	v_add_co_u32 v2, vcc_lo, s4, v1
	s_delay_alu instid0(VALU_DEP_2) | instskip(SKIP_1) | instid1(VALU_DEP_3)
	v_add_co_ci_u32_e32 v3, vcc_lo, s5, v3, vcc_lo
	v_mov_b32_e32 v1, 0
	v_add_co_u32 v4, vcc_lo, 0x300, v2
	s_delay_alu instid0(VALU_DEP_3) | instskip(NEXT) | instid1(VALU_DEP_1)
	v_add_co_ci_u32_e32 v5, vcc_lo, 0, v3, vcc_lo
	v_cmp_le_i64_e32 vcc_lo, s[0:1], v[4:5]
	s_and_saveexec_b32 s0, vcc_lo
	s_delay_alu instid0(SALU_CYCLE_1)
	s_xor_b32 s1, exec_lo, s0
	s_cbranch_execz .LBB49_50
; %bb.46:
	s_lshl_b64 s[30:31], s[18:19], 3
	s_mov_b32 s7, exec_lo
	s_add_u32 s30, s8, s30
	s_addc_u32 s31, s9, s31
	s_load_b64 s[30:31], s[30:31], 0x0
	s_waitcnt lgkmcnt(0)
	s_sub_u32 s30, s30, s4
	s_subb_u32 s31, s31, s5
	s_delay_alu instid0(SALU_CYCLE_1)
	v_cmpx_gt_i64_e64 s[30:31], v[0:1]
	s_cbranch_execz .LBB49_49
; %bb.47:
	v_dual_mov_b32 v8, v16 :: v_dual_mov_b32 v7, v1
	s_sub_u32 s0, s4, s24
	v_mov_b32_e32 v6, v0
	s_subb_u32 s33, s5, 0
	s_add_u32 s29, s12, s0
	s_addc_u32 s33, s13, s33
	s_mov_b32 s34, 0
	.p2align	6
.LBB49_48:                              ; =>This Inner Loop Header: Depth=1
	v_add_co_u32 v9, s0, s29, v6
	s_delay_alu instid0(VALU_DEP_1) | instskip(SKIP_1) | instid1(VALU_DEP_1)
	v_add_co_ci_u32_e64 v10, s0, s33, v7, s0
	v_add_co_u32 v6, s0, 0x100, v6
	v_add_co_ci_u32_e64 v7, s0, 0, v7, s0
	global_load_i8 v9, v[9:10], off
	v_cmp_le_i64_e64 s0, s[30:31], v[6:7]
	s_delay_alu instid0(VALU_DEP_1)
	s_or_b32 s34, s0, s34
	s_waitcnt vmcnt(0)
	v_mul_lo_u32 v9, s25, v9
	ds_store_b32 v8, v9
	v_add_nc_u32_e32 v8, 0x400, v8
	s_and_not1_b32 exec_lo, exec_lo, s34
	s_cbranch_execnz .LBB49_48
.LBB49_49:
	s_or_b32 exec_lo, exec_lo, s7
.LBB49_50:
	s_and_not1_saveexec_b32 s1, s1
	s_cbranch_execz .LBB49_52
; %bb.51:
	v_add_co_u32 v6, s0, s12, v2
	s_delay_alu instid0(VALU_DEP_1)
	v_add_co_ci_u32_e64 v7, s0, s13, v3, s0
	s_clause 0x3
	global_load_i8 v8, v[6:7], off
	global_load_i8 v9, v[6:7], off offset:256
	global_load_i8 v10, v[6:7], off offset:512
	;; [unrolled: 1-line block ×3, first 2 shown]
	s_waitcnt vmcnt(3)
	v_mul_lo_u32 v7, s25, v8
	s_waitcnt vmcnt(2)
	v_mul_lo_u32 v8, s25, v9
	s_waitcnt vmcnt(1)
	v_mul_lo_u32 v9, s25, v10
	s_waitcnt vmcnt(0)
	v_mul_lo_u32 v6, s25, v6
	ds_store_2addr_stride64_b32 v16, v7, v8 offset1:4
	ds_store_2addr_stride64_b32 v16, v9, v6 offset0:8 offset1:12
.LBB49_52:
	s_or_b32 exec_lo, exec_lo, s1
	v_lshl_add_u32 v17, v0, 2, 0x1000
	s_mov_b32 s1, exec_lo
	v_cmpx_gt_i64_e64 s[2:3], v[0:1]
	s_cbranch_execz .LBB49_55
; %bb.53:
	v_mov_b32_e32 v7, v1
	v_lshl_add_u32 v8, v0, 2, 0x1000
	v_dual_mov_b32 v9, 0 :: v_dual_mov_b32 v6, v0
	s_mov_b32 s7, 0
.LBB49_54:                              ; =>This Inner Loop Header: Depth=1
	s_delay_alu instid0(VALU_DEP_1) | instskip(NEXT) | instid1(VALU_DEP_1)
	v_add_co_u32 v6, s0, 0x100, v6
	v_add_co_ci_u32_e64 v7, s0, 0, v7, s0
	ds_store_b32 v8, v9
	v_add_nc_u32_e32 v8, 0x400, v8
	v_cmp_le_i64_e64 s0, s[2:3], v[6:7]
	s_delay_alu instid0(VALU_DEP_1) | instskip(NEXT) | instid1(SALU_CYCLE_1)
	s_or_b32 s7, s0, s7
	s_and_not1_b32 exec_lo, exec_lo, s7
	s_cbranch_execnz .LBB49_54
.LBB49_55:
	s_or_b32 exec_lo, exec_lo, s1
	v_cmp_ge_i64_e64 s0, s[18:19], s[2:3]
	s_sub_u32 s1, s18, s2
	s_subb_u32 s7, s19, s3
	s_waitcnt lgkmcnt(0)
	s_waitcnt_vscnt null, 0x0
	s_barrier
	buffer_gl0_inv
	s_and_b32 s0, s0, exec_lo
	s_cselect_b32 s13, s7, 0
	s_cselect_b32 s12, s1, 0
	s_and_saveexec_b32 s0, vcc_lo
	s_delay_alu instid0(SALU_CYCLE_1)
	s_xor_b32 s7, exec_lo, s0
	s_cbranch_execz .LBB49_72
; %bb.56:
	s_lshl_b64 s[0:1], s[18:19], 3
	s_mov_b32 s25, exec_lo
	s_add_u32 s0, s8, s0
	s_addc_u32 s1, s9, s1
	s_load_b64 s[0:1], s[0:1], 0x0
	s_waitcnt lgkmcnt(0)
	s_sub_u32 s30, s0, s4
	s_subb_u32 s31, s1, s5
	s_delay_alu instid0(SALU_CYCLE_1)
	v_cmpx_gt_i64_e64 s[30:31], v[0:1]
	s_cbranch_execz .LBB49_71
; %bb.57:
	s_add_u32 s34, s18, -1
	s_addc_u32 s35, s19, -1
	s_add_u32 s36, s18, -2
	v_cmp_gt_i64_e64 s29, s[34:35], s[16:17]
	s_addc_u32 s37, s19, -1
	s_mov_b64 s[38:39], 0
	s_cmp_lg_u64 s[36:37], s[16:17]
	s_cselect_b32 s33, -1, 0
	s_delay_alu instid0(VALU_DEP_1) | instid1(SALU_CYCLE_1)
	s_and_b32 s29, s29, s33
	s_sub_u32 s36, s0, s24
	s_subb_u32 s37, s1, 0
	s_mov_b32 s1, 0
	s_branch .LBB49_60
.LBB49_58:                              ;   in Loop: Header=BB49_60 Depth=1
	s_or_b32 exec_lo, exec_lo, s0
.LBB49_59:                              ;   in Loop: Header=BB49_60 Depth=1
	s_delay_alu instid0(SALU_CYCLE_1)
	s_or_b32 exec_lo, exec_lo, s33
	v_add_co_u32 v4, vcc_lo, s14, v4
	v_add_co_ci_u32_e32 v5, vcc_lo, s15, v5, vcc_lo
	s_add_u32 s38, s38, 0x100
	s_addc_u32 s39, s39, 0
	global_load_i8 v7, v[4:5], off
	v_add_co_u32 v4, s0, s38, v0
	s_delay_alu instid0(VALU_DEP_1) | instskip(NEXT) | instid1(VALU_DEP_1)
	v_add_co_ci_u32_e64 v5, null, s39, 0, s0
	v_cmp_le_i64_e32 vcc_lo, s[30:31], v[4:5]
	v_lshlrev_b32_e32 v4, 2, v10
	s_or_b32 s1, vcc_lo, s1
	s_waitcnt vmcnt(0) lgkmcnt(0)
	v_mul_lo_u32 v6, v6, v7
	ds_store_b32 v4, v6
	s_and_not1_b32 exec_lo, exec_lo, s1
	s_cbranch_execz .LBB49_71
.LBB49_60:                              ; =>This Loop Header: Depth=1
                                        ;     Child Loop BB49_62 Depth 2
	v_add_co_u32 v6, vcc_lo, s38, v2
	v_add_co_ci_u32_e32 v7, vcc_lo, s39, v3, vcc_lo
	v_dual_mov_b32 v8, s16 :: v_dual_mov_b32 v9, s17
	v_dual_mov_b32 v10, s34 :: v_dual_mov_b32 v11, s35
	s_and_not1_b32 vcc_lo, exec_lo, s29
	s_cbranch_vccnz .LBB49_64
; %bb.61:                               ;   in Loop: Header=BB49_60 Depth=1
	v_dual_mov_b32 v8, s16 :: v_dual_mov_b32 v9, s17
	v_dual_mov_b32 v10, s34 :: v_dual_mov_b32 v11, s35
	s_mov_b32 s33, 0
	s_set_inst_prefetch_distance 0x1
	.p2align	6
.LBB49_62:                              ;   Parent Loop BB49_60 Depth=1
                                        ; =>  This Inner Loop Header: Depth=2
	s_delay_alu instid0(VALU_DEP_1) | instskip(NEXT) | instid1(VALU_DEP_2)
	v_add_co_u32 v4, vcc_lo, v10, v8
	v_add_co_ci_u32_e32 v5, vcc_lo, v11, v9, vcc_lo
	s_delay_alu instid0(VALU_DEP_1) | instskip(NEXT) | instid1(VALU_DEP_1)
	v_lshrrev_b32_e32 v12, 31, v5
	v_add_co_u32 v4, vcc_lo, v4, v12
	v_add_co_ci_u32_e32 v5, vcc_lo, 0, v5, vcc_lo
	s_delay_alu instid0(VALU_DEP_1) | instskip(NEXT) | instid1(VALU_DEP_1)
	v_ashrrev_i64 v[4:5], 1, v[4:5]
	v_lshlrev_b64 v[12:13], 3, v[4:5]
	s_delay_alu instid0(VALU_DEP_1) | instskip(NEXT) | instid1(VALU_DEP_2)
	v_add_co_u32 v12, vcc_lo, s8, v12
	v_add_co_ci_u32_e32 v13, vcc_lo, s9, v13, vcc_lo
	global_load_b64 v[12:13], v[12:13], off
	s_waitcnt vmcnt(0)
	v_sub_co_u32 v12, vcc_lo, v12, s24
	v_subrev_co_ci_u32_e32 v13, vcc_lo, 0, v13, vcc_lo
	s_delay_alu instid0(VALU_DEP_1) | instskip(SKIP_2) | instid1(VALU_DEP_2)
	v_cmp_gt_i64_e32 vcc_lo, v[12:13], v[6:7]
	v_dual_cndmask_b32 v11, v11, v5 :: v_dual_cndmask_b32 v10, v10, v4
	v_dual_cndmask_b32 v9, v5, v9 :: v_dual_cndmask_b32 v8, v4, v8
	v_add_co_u32 v4, vcc_lo, v10, -1
	s_delay_alu instid0(VALU_DEP_3) | instskip(NEXT) | instid1(VALU_DEP_3)
	v_add_co_ci_u32_e32 v5, vcc_lo, -1, v11, vcc_lo
	v_cmp_ge_i64_e32 vcc_lo, v[8:9], v[10:11]
	s_delay_alu instid0(VALU_DEP_2) | instskip(NEXT) | instid1(VALU_DEP_1)
	v_cmp_eq_u64_e64 s0, v[8:9], v[4:5]
	s_or_b32 s0, vcc_lo, s0
	s_delay_alu instid0(SALU_CYCLE_1) | instskip(NEXT) | instid1(SALU_CYCLE_1)
	s_and_b32 s0, exec_lo, s0
	s_or_b32 s33, s0, s33
	s_delay_alu instid0(SALU_CYCLE_1)
	s_and_not1_b32 exec_lo, exec_lo, s33
	s_cbranch_execnz .LBB49_62
; %bb.63:                               ;   in Loop: Header=BB49_60 Depth=1
	s_set_inst_prefetch_distance 0x2
	s_or_b32 exec_lo, exec_lo, s33
.LBB49_64:                              ;   in Loop: Header=BB49_60 Depth=1
	s_delay_alu instid0(VALU_DEP_1) | instskip(SKIP_2) | instid1(VALU_DEP_3)
	v_lshlrev_b64 v[4:5], 3, v[10:11]
	v_lshlrev_b64 v[12:13], 2, v[6:7]
	v_cmp_le_i64_e64 s0, s[36:37], v[6:7]
	v_add_co_u32 v4, vcc_lo, s8, v4
	s_delay_alu instid0(VALU_DEP_4) | instskip(NEXT) | instid1(VALU_DEP_4)
	v_add_co_ci_u32_e32 v5, vcc_lo, s9, v5, vcc_lo
	v_add_co_u32 v12, vcc_lo, s10, v12
	v_add_co_ci_u32_e32 v13, vcc_lo, s11, v13, vcc_lo
	global_load_b64 v[4:5], v[4:5], off
	global_load_b32 v14, v[12:13], off
	s_waitcnt vmcnt(1)
	v_sub_co_u32 v12, vcc_lo, v4, s24
	v_subrev_co_ci_u32_e32 v13, vcc_lo, 0, v5, vcc_lo
	s_waitcnt vmcnt(0)
	v_subrev_nc_u32_e32 v4, s24, v14
	s_delay_alu instid0(VALU_DEP_2) | instskip(NEXT) | instid1(VALU_DEP_2)
	v_cmp_gt_i64_e32 vcc_lo, v[12:13], v[6:7]
                                        ; implicit-def: $vgpr6
	v_ashrrev_i32_e32 v5, 31, v4
	v_dual_cndmask_b32 v9, v11, v9 :: v_dual_cndmask_b32 v8, v10, v8
	v_add_co_u32 v10, null, s38, v0
	s_delay_alu instid0(VALU_DEP_2) | instskip(NEXT) | instid1(VALU_DEP_2)
	v_cmp_eq_u64_e32 vcc_lo, v[8:9], v[4:5]
	v_lshlrev_b32_e32 v7, 2, v10
	s_or_b32 s0, vcc_lo, s0
	s_delay_alu instid0(SALU_CYCLE_1) | instskip(NEXT) | instid1(SALU_CYCLE_1)
	s_and_saveexec_b32 s33, s0
	s_xor_b32 s0, exec_lo, s33
	s_cbranch_execz .LBB49_66
; %bb.65:                               ;   in Loop: Header=BB49_60 Depth=1
	ds_load_b32 v6, v7
                                        ; implicit-def: $vgpr7
                                        ; implicit-def: $vgpr8_vgpr9
.LBB49_66:                              ;   in Loop: Header=BB49_60 Depth=1
	s_and_not1_saveexec_b32 s33, s0
	s_cbranch_execz .LBB49_59
; %bb.67:                               ;   in Loop: Header=BB49_60 Depth=1
	v_cmp_gt_i64_e32 vcc_lo, s[12:13], v[4:5]
	v_cmp_le_i64_e64 s0, s[18:19], v[4:5]
                                        ; implicit-def: $vgpr6
	s_delay_alu instid0(VALU_DEP_1) | instskip(NEXT) | instid1(SALU_CYCLE_1)
	s_or_b32 s0, vcc_lo, s0
	s_and_saveexec_b32 s40, s0
	s_delay_alu instid0(SALU_CYCLE_1)
	s_xor_b32 s0, exec_lo, s40
	s_cbranch_execz .LBB49_69
; %bb.68:                               ;   in Loop: Header=BB49_60 Depth=1
	v_add_co_u32 v8, vcc_lo, s14, v8
	v_add_co_ci_u32_e32 v9, vcc_lo, s15, v9, vcc_lo
	s_waitcnt lgkmcnt(0)
	ds_load_b32 v6, v7
	global_load_i8 v9, v[8:9], off
	v_lshlrev_b64 v[7:8], 2, v[4:5]
	s_delay_alu instid0(VALU_DEP_1) | instskip(NEXT) | instid1(VALU_DEP_2)
	v_add_co_u32 v7, vcc_lo, s20, v7
	v_add_co_ci_u32_e32 v8, vcc_lo, s21, v8, vcc_lo
	s_waitcnt vmcnt(0) lgkmcnt(0)
	v_mul_lo_u32 v9, v6, v9
	global_atomic_add_u32 v[7:8], v9, off
                                        ; implicit-def: $vgpr7
                                        ; implicit-def: $vgpr8_vgpr9
.LBB49_69:                              ;   in Loop: Header=BB49_60 Depth=1
	s_and_not1_saveexec_b32 s0, s0
	s_cbranch_execz .LBB49_58
; %bb.70:                               ;   in Loop: Header=BB49_60 Depth=1
	v_add_co_u32 v8, vcc_lo, s14, v8
	v_add_co_ci_u32_e32 v9, vcc_lo, s15, v9, vcc_lo
	s_waitcnt lgkmcnt(0)
	ds_load_b32 v6, v7
	v_subrev_nc_u32_e32 v7, s12, v4
	global_load_i8 v8, v[8:9], off
	v_lshl_add_u32 v7, v7, 2, 0x1000
	s_waitcnt vmcnt(0) lgkmcnt(0)
	v_mul_lo_u32 v8, v6, v8
	ds_add_u32 v7, v8
	s_branch .LBB49_58
.LBB49_71:
	s_or_b32 exec_lo, exec_lo, s25
                                        ; implicit-def: $vgpr4_vgpr5
                                        ; implicit-def: $vgpr2
.LBB49_72:
	s_and_not1_saveexec_b32 s1, s7
	s_cbranch_execz .LBB49_114
; %bb.73:
	s_add_u32 s30, s18, -1
	s_addc_u32 s31, s19, -1
	s_add_u32 s34, s18, -2
	v_cmp_le_i64_e64 s0, s[30:31], s[16:17]
	s_addc_u32 s35, s19, -1
	v_dual_mov_b32 v8, s16 :: v_dual_mov_b32 v9, s17
	s_cmp_eq_u64 s[34:35], s[16:17]
	v_dual_mov_b32 v10, s30 :: v_dual_mov_b32 v11, s31
	s_cselect_b32 s7, -1, 0
	s_delay_alu instid0(SALU_CYCLE_1) | instskip(NEXT) | instid1(SALU_CYCLE_1)
	s_or_b32 s7, s0, s7
	s_and_b32 vcc_lo, exec_lo, s7
	s_cbranch_vccnz .LBB49_77
; %bb.74:
	v_dual_mov_b32 v8, s16 :: v_dual_mov_b32 v9, s17
	v_dual_mov_b32 v10, s30 :: v_dual_mov_b32 v11, s31
	s_mov_b32 s25, 0
	s_set_inst_prefetch_distance 0x1
	.p2align	6
.LBB49_75:                              ; =>This Inner Loop Header: Depth=1
	s_delay_alu instid0(VALU_DEP_1) | instskip(NEXT) | instid1(VALU_DEP_2)
	v_add_co_u32 v6, vcc_lo, v10, v8
	v_add_co_ci_u32_e32 v7, vcc_lo, v11, v9, vcc_lo
	s_delay_alu instid0(VALU_DEP_1) | instskip(NEXT) | instid1(VALU_DEP_1)
	v_lshrrev_b32_e32 v12, 31, v7
	v_add_co_u32 v6, vcc_lo, v6, v12
	v_add_co_ci_u32_e32 v7, vcc_lo, 0, v7, vcc_lo
	s_delay_alu instid0(VALU_DEP_1) | instskip(NEXT) | instid1(VALU_DEP_1)
	v_ashrrev_i64 v[6:7], 1, v[6:7]
	v_lshlrev_b64 v[12:13], 3, v[6:7]
	s_delay_alu instid0(VALU_DEP_1) | instskip(NEXT) | instid1(VALU_DEP_2)
	v_add_co_u32 v12, vcc_lo, s8, v12
	v_add_co_ci_u32_e32 v13, vcc_lo, s9, v13, vcc_lo
	global_load_b64 v[12:13], v[12:13], off
	s_waitcnt vmcnt(0)
	v_sub_co_u32 v12, vcc_lo, v12, s24
	v_subrev_co_ci_u32_e32 v13, vcc_lo, 0, v13, vcc_lo
	s_delay_alu instid0(VALU_DEP_1) | instskip(SKIP_2) | instid1(VALU_DEP_2)
	v_cmp_gt_i64_e32 vcc_lo, v[12:13], v[2:3]
	v_dual_cndmask_b32 v11, v11, v7 :: v_dual_cndmask_b32 v10, v10, v6
	v_dual_cndmask_b32 v9, v7, v9 :: v_dual_cndmask_b32 v8, v6, v8
	v_add_co_u32 v6, vcc_lo, v10, -1
	s_delay_alu instid0(VALU_DEP_3) | instskip(NEXT) | instid1(VALU_DEP_3)
	v_add_co_ci_u32_e32 v7, vcc_lo, -1, v11, vcc_lo
	v_cmp_ge_i64_e32 vcc_lo, v[8:9], v[10:11]
	s_delay_alu instid0(VALU_DEP_2) | instskip(NEXT) | instid1(VALU_DEP_1)
	v_cmp_eq_u64_e64 s0, v[8:9], v[6:7]
	s_or_b32 s0, vcc_lo, s0
	s_delay_alu instid0(SALU_CYCLE_1) | instskip(NEXT) | instid1(SALU_CYCLE_1)
	s_and_b32 s0, exec_lo, s0
	s_or_b32 s25, s0, s25
	s_delay_alu instid0(SALU_CYCLE_1)
	s_and_not1_b32 exec_lo, exec_lo, s25
	s_cbranch_execnz .LBB49_75
; %bb.76:
	s_set_inst_prefetch_distance 0x2
	s_or_b32 exec_lo, exec_lo, s25
.LBB49_77:
	v_lshlrev_b64 v[6:7], 3, v[10:11]
	v_lshlrev_b64 v[12:13], 2, v[2:3]
	s_xor_b32 s7, s7, -1
	s_mov_b32 s25, exec_lo
	s_delay_alu instid0(VALU_DEP_2) | instskip(NEXT) | instid1(VALU_DEP_3)
	v_add_co_u32 v6, vcc_lo, s8, v6
	v_add_co_ci_u32_e32 v7, vcc_lo, s9, v7, vcc_lo
	global_load_b64 v[14:15], v[6:7], off
	v_add_co_u32 v6, vcc_lo, s10, v12
	v_add_co_ci_u32_e32 v7, vcc_lo, s11, v13, vcc_lo
	s_lshl_b64 s[10:11], s[18:19], 3
	s_delay_alu instid0(SALU_CYCLE_1)
	s_add_u32 s10, s8, s10
	global_load_b32 v18, v[6:7], off
	s_addc_u32 s11, s9, s11
	s_waitcnt vmcnt(1)
	v_sub_co_u32 v12, vcc_lo, v14, s24
	v_subrev_co_ci_u32_e32 v13, vcc_lo, 0, v15, vcc_lo
	s_delay_alu instid0(VALU_DEP_1) | instskip(SKIP_2) | instid1(VALU_DEP_1)
	v_cmp_gt_i64_e32 vcc_lo, v[12:13], v[2:3]
	s_waitcnt vmcnt(0)
	v_subrev_nc_u32_e32 v12, s24, v18
	v_ashrrev_i32_e32 v13, 31, v12
	v_dual_cndmask_b32 v9, v11, v9 :: v_dual_cndmask_b32 v8, v10, v8
	s_delay_alu instid0(VALU_DEP_1)
	v_cmpx_ne_u64_e64 v[8:9], v[12:13]
	s_cbranch_execz .LBB49_83
; %bb.78:
	s_load_b64 s[34:35], s[10:11], 0x0
	s_waitcnt lgkmcnt(0)
	s_sub_u32 s34, s34, s24
	s_subb_u32 s35, s35, 0
	s_delay_alu instid0(SALU_CYCLE_1)
	v_cmp_gt_i64_e32 vcc_lo, s[34:35], v[2:3]
	s_and_b32 exec_lo, exec_lo, vcc_lo
	s_cbranch_execz .LBB49_83
; %bb.79:
	v_cmp_gt_i64_e32 vcc_lo, s[12:13], v[12:13]
	v_cmp_le_i64_e64 s0, s[18:19], v[12:13]
	s_delay_alu instid0(VALU_DEP_1) | instskip(NEXT) | instid1(SALU_CYCLE_1)
	s_or_b32 s0, vcc_lo, s0
	s_and_saveexec_b32 s29, s0
	s_delay_alu instid0(SALU_CYCLE_1)
	s_xor_b32 s0, exec_lo, s29
	s_cbranch_execz .LBB49_81
; %bb.80:
	v_add_co_u32 v8, vcc_lo, s14, v8
	v_add_co_ci_u32_e32 v9, vcc_lo, s15, v9, vcc_lo
	ds_load_b32 v11, v16
	global_load_i8 v10, v[8:9], off
	v_lshlrev_b64 v[8:9], 2, v[12:13]
	s_delay_alu instid0(VALU_DEP_1) | instskip(NEXT) | instid1(VALU_DEP_2)
	v_add_co_u32 v8, vcc_lo, s20, v8
	v_add_co_ci_u32_e32 v9, vcc_lo, s21, v9, vcc_lo
	s_waitcnt vmcnt(0) lgkmcnt(0)
	v_mul_lo_u32 v10, v11, v10
	global_atomic_add_u32 v[8:9], v10, off
                                        ; implicit-def: $vgpr8_vgpr9
.LBB49_81:
	s_and_not1_saveexec_b32 s0, s0
	s_cbranch_execz .LBB49_83
; %bb.82:
	v_add_co_u32 v8, vcc_lo, s14, v8
	v_add_co_ci_u32_e32 v9, vcc_lo, s15, v9, vcc_lo
	v_subrev_nc_u32_e32 v10, s12, v12
	global_load_i8 v8, v[8:9], off
	ds_load_b32 v9, v16
	s_waitcnt vmcnt(0) lgkmcnt(0)
	v_mul_lo_u32 v8, v9, v8
	v_lshl_add_u32 v9, v10, 2, 0x1000
	ds_add_u32 v9, v8
.LBB49_83:
	s_or_b32 exec_lo, exec_lo, s25
	v_add_co_u32 v8, vcc_lo, s14, v12
	v_add_co_ci_u32_e32 v9, vcc_lo, s15, v13, vcc_lo
	v_cndmask_b32_e64 v18, 0, 1, s7
	v_dual_mov_b32 v10, s16 :: v_dual_mov_b32 v11, s17
	global_load_i8 v8, v[8:9], off
	ds_load_b32 v9, v16
	v_dual_mov_b32 v12, s30 :: v_dual_mov_b32 v13, s31
	s_waitcnt vmcnt(0) lgkmcnt(0)
	v_mul_lo_u32 v14, v9, v8
	v_add_co_u32 v8, vcc_lo, 0x100, v2
	v_add_co_ci_u32_e32 v9, vcc_lo, 0, v3, vcc_lo
	s_and_not1_b32 vcc_lo, exec_lo, s7
	ds_store_b32 v16, v14
	s_cbranch_vccnz .LBB49_87
; %bb.84:
	v_dual_mov_b32 v10, s16 :: v_dual_mov_b32 v11, s17
	v_dual_mov_b32 v12, s30 :: v_dual_mov_b32 v13, s31
	s_mov_b32 s7, 0
	s_set_inst_prefetch_distance 0x1
	.p2align	6
.LBB49_85:                              ; =>This Inner Loop Header: Depth=1
	s_delay_alu instid0(VALU_DEP_1) | instskip(NEXT) | instid1(VALU_DEP_2)
	v_add_co_u32 v14, vcc_lo, v12, v10
	v_add_co_ci_u32_e32 v15, vcc_lo, v13, v11, vcc_lo
	s_delay_alu instid0(VALU_DEP_1) | instskip(NEXT) | instid1(VALU_DEP_1)
	v_lshrrev_b32_e32 v19, 31, v15
	v_add_co_u32 v14, vcc_lo, v14, v19
	v_add_co_ci_u32_e32 v15, vcc_lo, 0, v15, vcc_lo
	s_delay_alu instid0(VALU_DEP_1) | instskip(NEXT) | instid1(VALU_DEP_1)
	v_ashrrev_i64 v[14:15], 1, v[14:15]
	v_lshlrev_b64 v[19:20], 3, v[14:15]
	s_delay_alu instid0(VALU_DEP_1) | instskip(NEXT) | instid1(VALU_DEP_2)
	v_add_co_u32 v19, vcc_lo, s8, v19
	v_add_co_ci_u32_e32 v20, vcc_lo, s9, v20, vcc_lo
	global_load_b64 v[19:20], v[19:20], off
	s_waitcnt vmcnt(0)
	v_sub_co_u32 v19, vcc_lo, v19, s24
	v_subrev_co_ci_u32_e32 v20, vcc_lo, 0, v20, vcc_lo
	s_delay_alu instid0(VALU_DEP_1) | instskip(SKIP_2) | instid1(VALU_DEP_2)
	v_cmp_gt_i64_e32 vcc_lo, v[19:20], v[8:9]
	v_dual_cndmask_b32 v13, v13, v15 :: v_dual_cndmask_b32 v12, v12, v14
	v_dual_cndmask_b32 v11, v15, v11 :: v_dual_cndmask_b32 v10, v14, v10
	v_add_co_u32 v14, vcc_lo, v12, -1
	s_delay_alu instid0(VALU_DEP_3) | instskip(NEXT) | instid1(VALU_DEP_3)
	v_add_co_ci_u32_e32 v15, vcc_lo, -1, v13, vcc_lo
	v_cmp_ge_i64_e32 vcc_lo, v[10:11], v[12:13]
	s_delay_alu instid0(VALU_DEP_2) | instskip(NEXT) | instid1(VALU_DEP_1)
	v_cmp_eq_u64_e64 s0, v[10:11], v[14:15]
	s_or_b32 s0, vcc_lo, s0
	s_delay_alu instid0(SALU_CYCLE_1) | instskip(NEXT) | instid1(SALU_CYCLE_1)
	s_and_b32 s0, exec_lo, s0
	s_or_b32 s7, s0, s7
	s_delay_alu instid0(SALU_CYCLE_1)
	s_and_not1_b32 exec_lo, exec_lo, s7
	s_cbranch_execnz .LBB49_85
; %bb.86:
	s_set_inst_prefetch_distance 0x2
	s_or_b32 exec_lo, exec_lo, s7
.LBB49_87:
	v_lshlrev_b64 v[14:15], 3, v[12:13]
	s_mov_b32 s7, exec_lo
	s_delay_alu instid0(VALU_DEP_1) | instskip(NEXT) | instid1(VALU_DEP_2)
	v_add_co_u32 v14, vcc_lo, s8, v14
	v_add_co_ci_u32_e32 v15, vcc_lo, s9, v15, vcc_lo
	global_load_b64 v[14:15], v[14:15], off
	global_load_b32 v19, v[6:7], off offset:1024
	s_waitcnt vmcnt(1)
	v_sub_co_u32 v14, vcc_lo, v14, s24
	v_subrev_co_ci_u32_e32 v15, vcc_lo, 0, v15, vcc_lo
	s_delay_alu instid0(VALU_DEP_1) | instskip(SKIP_2) | instid1(VALU_DEP_1)
	v_cmp_gt_i64_e32 vcc_lo, v[14:15], v[8:9]
	s_waitcnt vmcnt(0)
	v_subrev_nc_u32_e32 v14, s24, v19
	v_ashrrev_i32_e32 v15, 31, v14
	v_dual_cndmask_b32 v11, v13, v11 :: v_dual_cndmask_b32 v10, v12, v10
	s_delay_alu instid0(VALU_DEP_1)
	v_cmpx_ne_u64_e64 v[10:11], v[14:15]
	s_cbranch_execz .LBB49_93
; %bb.88:
	s_load_b64 s[34:35], s[10:11], 0x0
	s_waitcnt lgkmcnt(0)
	s_sub_u32 s34, s34, s24
	s_subb_u32 s35, s35, 0
	s_delay_alu instid0(SALU_CYCLE_1)
	v_cmp_gt_i64_e32 vcc_lo, s[34:35], v[8:9]
	s_and_b32 exec_lo, exec_lo, vcc_lo
	s_cbranch_execz .LBB49_93
; %bb.89:
	v_cmp_gt_i64_e32 vcc_lo, s[12:13], v[14:15]
	v_cmp_le_i64_e64 s0, s[18:19], v[14:15]
	s_delay_alu instid0(VALU_DEP_1) | instskip(NEXT) | instid1(SALU_CYCLE_1)
	s_or_b32 s0, vcc_lo, s0
	s_and_saveexec_b32 s25, s0
	s_delay_alu instid0(SALU_CYCLE_1)
	s_xor_b32 s0, exec_lo, s25
	s_cbranch_execz .LBB49_91
; %bb.90:
	v_add_co_u32 v8, vcc_lo, s14, v10
	v_add_co_ci_u32_e32 v9, vcc_lo, s15, v11, vcc_lo
	ds_load_b32 v11, v16 offset:1024
	global_load_i8 v10, v[8:9], off
	v_lshlrev_b64 v[8:9], 2, v[14:15]
	s_delay_alu instid0(VALU_DEP_1) | instskip(NEXT) | instid1(VALU_DEP_2)
	v_add_co_u32 v8, vcc_lo, s20, v8
	v_add_co_ci_u32_e32 v9, vcc_lo, s21, v9, vcc_lo
	s_waitcnt vmcnt(0) lgkmcnt(0)
	v_mul_lo_u32 v10, v11, v10
	global_atomic_add_u32 v[8:9], v10, off
                                        ; implicit-def: $vgpr10_vgpr11
.LBB49_91:
	s_and_not1_saveexec_b32 s0, s0
	s_cbranch_execz .LBB49_93
; %bb.92:
	v_add_co_u32 v8, vcc_lo, s14, v10
	v_add_co_ci_u32_e32 v9, vcc_lo, s15, v11, vcc_lo
	v_subrev_nc_u32_e32 v10, s12, v14
	global_load_i8 v8, v[8:9], off
	ds_load_b32 v9, v16 offset:1024
	s_waitcnt vmcnt(0) lgkmcnt(0)
	v_mul_lo_u32 v8, v9, v8
	v_lshl_add_u32 v9, v10, 2, 0x1000
	ds_add_u32 v9, v8
.LBB49_93:
	s_or_b32 exec_lo, exec_lo, s7
	v_add_co_u32 v8, vcc_lo, s14, v14
	v_add_co_ci_u32_e32 v9, vcc_lo, s15, v15, vcc_lo
	v_cmp_ne_u32_e32 vcc_lo, 1, v18
	v_add_co_u32 v2, s0, 0x200, v2
	global_load_i8 v8, v[8:9], off
	ds_load_b32 v9, v16 offset:1024
	v_add_co_ci_u32_e64 v3, s0, 0, v3, s0
	v_dual_mov_b32 v10, s30 :: v_dual_mov_b32 v11, s31
	s_and_b32 vcc_lo, exec_lo, vcc_lo
	s_waitcnt vmcnt(0) lgkmcnt(0)
	v_mul_lo_u32 v12, v9, v8
	v_dual_mov_b32 v8, s16 :: v_dual_mov_b32 v9, s17
	ds_store_b32 v16, v12 offset:1024
	s_cbranch_vccnz .LBB49_97
; %bb.94:
	v_dual_mov_b32 v8, s16 :: v_dual_mov_b32 v9, s17
	v_dual_mov_b32 v10, s30 :: v_dual_mov_b32 v11, s31
	s_mov_b32 s7, 0
	s_set_inst_prefetch_distance 0x1
	.p2align	6
.LBB49_95:                              ; =>This Inner Loop Header: Depth=1
	s_delay_alu instid0(VALU_DEP_1) | instskip(NEXT) | instid1(VALU_DEP_2)
	v_add_co_u32 v12, vcc_lo, v10, v8
	v_add_co_ci_u32_e32 v13, vcc_lo, v11, v9, vcc_lo
	s_delay_alu instid0(VALU_DEP_1) | instskip(NEXT) | instid1(VALU_DEP_1)
	v_lshrrev_b32_e32 v14, 31, v13
	v_add_co_u32 v12, vcc_lo, v12, v14
	v_add_co_ci_u32_e32 v13, vcc_lo, 0, v13, vcc_lo
	s_delay_alu instid0(VALU_DEP_1) | instskip(NEXT) | instid1(VALU_DEP_1)
	v_ashrrev_i64 v[12:13], 1, v[12:13]
	v_lshlrev_b64 v[14:15], 3, v[12:13]
	s_delay_alu instid0(VALU_DEP_1) | instskip(NEXT) | instid1(VALU_DEP_2)
	v_add_co_u32 v14, vcc_lo, s8, v14
	v_add_co_ci_u32_e32 v15, vcc_lo, s9, v15, vcc_lo
	global_load_b64 v[14:15], v[14:15], off
	s_waitcnt vmcnt(0)
	v_sub_co_u32 v14, vcc_lo, v14, s24
	v_subrev_co_ci_u32_e32 v15, vcc_lo, 0, v15, vcc_lo
	s_delay_alu instid0(VALU_DEP_1) | instskip(SKIP_2) | instid1(VALU_DEP_2)
	v_cmp_gt_i64_e32 vcc_lo, v[14:15], v[2:3]
	v_dual_cndmask_b32 v11, v11, v13 :: v_dual_cndmask_b32 v10, v10, v12
	v_dual_cndmask_b32 v9, v13, v9 :: v_dual_cndmask_b32 v8, v12, v8
	v_add_co_u32 v12, vcc_lo, v10, -1
	s_delay_alu instid0(VALU_DEP_3) | instskip(NEXT) | instid1(VALU_DEP_3)
	v_add_co_ci_u32_e32 v13, vcc_lo, -1, v11, vcc_lo
	v_cmp_ge_i64_e32 vcc_lo, v[8:9], v[10:11]
	s_delay_alu instid0(VALU_DEP_2) | instskip(NEXT) | instid1(VALU_DEP_1)
	v_cmp_eq_u64_e64 s0, v[8:9], v[12:13]
	s_or_b32 s0, vcc_lo, s0
	s_delay_alu instid0(SALU_CYCLE_1) | instskip(NEXT) | instid1(SALU_CYCLE_1)
	s_and_b32 s0, exec_lo, s0
	s_or_b32 s7, s0, s7
	s_delay_alu instid0(SALU_CYCLE_1)
	s_and_not1_b32 exec_lo, exec_lo, s7
	s_cbranch_execnz .LBB49_95
; %bb.96:
	s_set_inst_prefetch_distance 0x2
	s_or_b32 exec_lo, exec_lo, s7
.LBB49_97:
	v_lshlrev_b64 v[12:13], 3, v[10:11]
	s_mov_b32 s7, exec_lo
	s_delay_alu instid0(VALU_DEP_1) | instskip(NEXT) | instid1(VALU_DEP_2)
	v_add_co_u32 v12, vcc_lo, s8, v12
	v_add_co_ci_u32_e32 v13, vcc_lo, s9, v13, vcc_lo
	global_load_b64 v[12:13], v[12:13], off
	global_load_b32 v14, v[6:7], off offset:2048
	s_waitcnt vmcnt(1)
	v_sub_co_u32 v12, vcc_lo, v12, s24
	v_subrev_co_ci_u32_e32 v13, vcc_lo, 0, v13, vcc_lo
	s_delay_alu instid0(VALU_DEP_1) | instskip(SKIP_2) | instid1(VALU_DEP_1)
	v_cmp_gt_i64_e32 vcc_lo, v[12:13], v[2:3]
	s_waitcnt vmcnt(0)
	v_subrev_nc_u32_e32 v12, s24, v14
	v_ashrrev_i32_e32 v13, 31, v12
	v_dual_cndmask_b32 v9, v11, v9 :: v_dual_cndmask_b32 v8, v10, v8
	s_delay_alu instid0(VALU_DEP_1)
	v_cmpx_ne_u64_e64 v[8:9], v[12:13]
	s_cbranch_execz .LBB49_103
; %bb.98:
	s_load_b64 s[34:35], s[10:11], 0x0
	s_waitcnt lgkmcnt(0)
	s_sub_u32 s34, s34, s24
	s_subb_u32 s35, s35, 0
	s_delay_alu instid0(SALU_CYCLE_1)
	v_cmp_gt_i64_e32 vcc_lo, s[34:35], v[2:3]
	s_and_b32 exec_lo, exec_lo, vcc_lo
	s_cbranch_execz .LBB49_103
; %bb.99:
	v_cmp_gt_i64_e32 vcc_lo, s[12:13], v[12:13]
	v_cmp_le_i64_e64 s0, s[18:19], v[12:13]
	s_delay_alu instid0(VALU_DEP_1) | instskip(NEXT) | instid1(SALU_CYCLE_1)
	s_or_b32 s0, vcc_lo, s0
	s_and_saveexec_b32 s25, s0
	s_delay_alu instid0(SALU_CYCLE_1)
	s_xor_b32 s0, exec_lo, s25
	s_cbranch_execz .LBB49_101
; %bb.100:
	v_add_co_u32 v2, vcc_lo, s14, v8
	v_add_co_ci_u32_e32 v3, vcc_lo, s15, v9, vcc_lo
	ds_load_b32 v9, v16 offset:2048
	global_load_i8 v8, v[2:3], off
	v_lshlrev_b64 v[2:3], 2, v[12:13]
	s_delay_alu instid0(VALU_DEP_1) | instskip(NEXT) | instid1(VALU_DEP_2)
	v_add_co_u32 v2, vcc_lo, s20, v2
	v_add_co_ci_u32_e32 v3, vcc_lo, s21, v3, vcc_lo
	s_waitcnt vmcnt(0) lgkmcnt(0)
	v_mul_lo_u32 v8, v9, v8
	global_atomic_add_u32 v[2:3], v8, off
                                        ; implicit-def: $vgpr8_vgpr9
.LBB49_101:
	s_and_not1_saveexec_b32 s0, s0
	s_cbranch_execz .LBB49_103
; %bb.102:
	v_add_co_u32 v2, vcc_lo, s14, v8
	v_add_co_ci_u32_e32 v3, vcc_lo, s15, v9, vcc_lo
	v_subrev_nc_u32_e32 v8, s12, v12
	global_load_i8 v2, v[2:3], off
	ds_load_b32 v3, v16 offset:2048
	s_waitcnt vmcnt(0) lgkmcnt(0)
	v_mul_lo_u32 v2, v3, v2
	v_lshl_add_u32 v3, v8, 2, 0x1000
	ds_add_u32 v3, v2
.LBB49_103:
	s_or_b32 exec_lo, exec_lo, s7
	v_add_co_u32 v2, vcc_lo, s14, v12
	v_add_co_ci_u32_e32 v3, vcc_lo, s15, v13, vcc_lo
	v_cmp_ne_u32_e32 vcc_lo, 1, v18
	v_dual_mov_b32 v8, s30 :: v_dual_mov_b32 v9, s31
	global_load_i8 v2, v[2:3], off
	ds_load_b32 v3, v16 offset:2048
	s_and_b32 vcc_lo, exec_lo, vcc_lo
	s_waitcnt vmcnt(0) lgkmcnt(0)
	v_mul_lo_u32 v10, v3, v2
	v_dual_mov_b32 v2, s16 :: v_dual_mov_b32 v3, s17
	ds_store_b32 v16, v10 offset:2048
	s_cbranch_vccnz .LBB49_107
; %bb.104:
	v_dual_mov_b32 v2, s16 :: v_dual_mov_b32 v3, s17
	v_dual_mov_b32 v8, s30 :: v_dual_mov_b32 v9, s31
	s_mov_b32 s7, 0
	s_set_inst_prefetch_distance 0x1
	.p2align	6
.LBB49_105:                             ; =>This Inner Loop Header: Depth=1
	s_delay_alu instid0(VALU_DEP_1) | instskip(NEXT) | instid1(VALU_DEP_2)
	v_add_co_u32 v10, vcc_lo, v8, v2
	v_add_co_ci_u32_e32 v11, vcc_lo, v9, v3, vcc_lo
	s_delay_alu instid0(VALU_DEP_1) | instskip(NEXT) | instid1(VALU_DEP_1)
	v_lshrrev_b32_e32 v12, 31, v11
	v_add_co_u32 v10, vcc_lo, v10, v12
	v_add_co_ci_u32_e32 v11, vcc_lo, 0, v11, vcc_lo
	s_delay_alu instid0(VALU_DEP_1) | instskip(NEXT) | instid1(VALU_DEP_1)
	v_ashrrev_i64 v[10:11], 1, v[10:11]
	v_lshlrev_b64 v[12:13], 3, v[10:11]
	s_delay_alu instid0(VALU_DEP_1) | instskip(NEXT) | instid1(VALU_DEP_2)
	v_add_co_u32 v12, vcc_lo, s8, v12
	v_add_co_ci_u32_e32 v13, vcc_lo, s9, v13, vcc_lo
	global_load_b64 v[12:13], v[12:13], off
	s_waitcnt vmcnt(0)
	v_sub_co_u32 v12, vcc_lo, v12, s24
	v_subrev_co_ci_u32_e32 v13, vcc_lo, 0, v13, vcc_lo
	s_delay_alu instid0(VALU_DEP_1) | instskip(SKIP_2) | instid1(VALU_DEP_2)
	v_cmp_gt_i64_e32 vcc_lo, v[12:13], v[4:5]
	v_dual_cndmask_b32 v9, v9, v11 :: v_dual_cndmask_b32 v8, v8, v10
	v_dual_cndmask_b32 v3, v11, v3 :: v_dual_cndmask_b32 v2, v10, v2
	v_add_co_u32 v10, vcc_lo, v8, -1
	s_delay_alu instid0(VALU_DEP_3) | instskip(NEXT) | instid1(VALU_DEP_3)
	v_add_co_ci_u32_e32 v11, vcc_lo, -1, v9, vcc_lo
	v_cmp_ge_i64_e32 vcc_lo, v[2:3], v[8:9]
	s_delay_alu instid0(VALU_DEP_2) | instskip(NEXT) | instid1(VALU_DEP_1)
	v_cmp_eq_u64_e64 s0, v[2:3], v[10:11]
	s_or_b32 s0, vcc_lo, s0
	s_delay_alu instid0(SALU_CYCLE_1) | instskip(NEXT) | instid1(SALU_CYCLE_1)
	s_and_b32 s0, exec_lo, s0
	s_or_b32 s7, s0, s7
	s_delay_alu instid0(SALU_CYCLE_1)
	s_and_not1_b32 exec_lo, exec_lo, s7
	s_cbranch_execnz .LBB49_105
; %bb.106:
	s_set_inst_prefetch_distance 0x2
	s_or_b32 exec_lo, exec_lo, s7
.LBB49_107:
	v_lshlrev_b64 v[10:11], 3, v[8:9]
	s_mov_b32 s7, exec_lo
	s_delay_alu instid0(VALU_DEP_1) | instskip(NEXT) | instid1(VALU_DEP_2)
	v_add_co_u32 v10, vcc_lo, s8, v10
	v_add_co_ci_u32_e32 v11, vcc_lo, s9, v11, vcc_lo
	global_load_b64 v[10:11], v[10:11], off
	global_load_b32 v12, v[6:7], off offset:3072
	s_waitcnt vmcnt(1)
	v_sub_co_u32 v6, vcc_lo, v10, s24
	v_subrev_co_ci_u32_e32 v7, vcc_lo, 0, v11, vcc_lo
	s_delay_alu instid0(VALU_DEP_1) | instskip(SKIP_2) | instid1(VALU_DEP_1)
	v_cmp_gt_i64_e32 vcc_lo, v[6:7], v[4:5]
	s_waitcnt vmcnt(0)
	v_subrev_nc_u32_e32 v6, s24, v12
	v_ashrrev_i32_e32 v7, 31, v6
	v_dual_cndmask_b32 v3, v9, v3 :: v_dual_cndmask_b32 v2, v8, v2
	s_delay_alu instid0(VALU_DEP_1)
	v_cmpx_ne_u64_e64 v[2:3], v[6:7]
	s_cbranch_execz .LBB49_113
; %bb.108:
	s_load_b64 s[10:11], s[10:11], 0x0
	s_waitcnt lgkmcnt(0)
	s_sub_u32 s10, s10, s24
	s_subb_u32 s11, s11, 0
	s_delay_alu instid0(SALU_CYCLE_1)
	v_cmp_gt_i64_e32 vcc_lo, s[10:11], v[4:5]
	s_and_b32 exec_lo, exec_lo, vcc_lo
	s_cbranch_execz .LBB49_113
; %bb.109:
	v_cmp_gt_i64_e32 vcc_lo, s[12:13], v[6:7]
	v_cmp_le_i64_e64 s0, s[18:19], v[6:7]
	s_delay_alu instid0(VALU_DEP_1) | instskip(NEXT) | instid1(SALU_CYCLE_1)
	s_or_b32 s0, vcc_lo, s0
	s_and_saveexec_b32 s10, s0
	s_delay_alu instid0(SALU_CYCLE_1)
	s_xor_b32 s0, exec_lo, s10
	s_cbranch_execz .LBB49_111
; %bb.110:
	v_add_co_u32 v2, vcc_lo, s14, v2
	v_add_co_ci_u32_e32 v3, vcc_lo, s15, v3, vcc_lo
	ds_load_b32 v5, v16 offset:3072
	global_load_i8 v4, v[2:3], off
	v_lshlrev_b64 v[2:3], 2, v[6:7]
	s_delay_alu instid0(VALU_DEP_1) | instskip(NEXT) | instid1(VALU_DEP_2)
	v_add_co_u32 v2, vcc_lo, s20, v2
	v_add_co_ci_u32_e32 v3, vcc_lo, s21, v3, vcc_lo
	s_waitcnt vmcnt(0) lgkmcnt(0)
	v_mul_lo_u32 v4, v5, v4
	global_atomic_add_u32 v[2:3], v4, off
                                        ; implicit-def: $vgpr2_vgpr3
.LBB49_111:
	s_and_not1_saveexec_b32 s0, s0
	s_cbranch_execz .LBB49_113
; %bb.112:
	v_add_co_u32 v2, vcc_lo, s14, v2
	v_add_co_ci_u32_e32 v3, vcc_lo, s15, v3, vcc_lo
	v_subrev_nc_u32_e32 v4, s12, v6
	global_load_i8 v2, v[2:3], off
	ds_load_b32 v3, v16 offset:3072
	s_waitcnt vmcnt(0) lgkmcnt(0)
	v_mul_lo_u32 v2, v3, v2
	v_lshl_add_u32 v3, v4, 2, 0x1000
	ds_add_u32 v3, v2
.LBB49_113:
	s_or_b32 exec_lo, exec_lo, s7
	v_add_co_u32 v2, vcc_lo, s14, v6
	v_add_co_ci_u32_e32 v3, vcc_lo, s15, v7, vcc_lo
	global_load_i8 v2, v[2:3], off
	ds_load_b32 v3, v16 offset:3072
	s_waitcnt vmcnt(0) lgkmcnt(0)
	v_mul_lo_u32 v2, v3, v2
	ds_store_b32 v16, v2 offset:3072
.LBB49_114:
	s_or_b32 exec_lo, exec_lo, s1
	v_cmp_lt_i64_e64 s0, s[18:19], s[2:3]
	s_mov_b32 s7, exec_lo
	s_waitcnt lgkmcnt(0)
	s_waitcnt_vscnt null, 0x0
	s_barrier
	buffer_gl0_inv
	s_and_b32 s0, s0, exec_lo
	s_cselect_b32 s1, s18, s2
	s_cselect_b32 s0, s19, s3
	s_sub_u32 s10, s1, s22
	s_subb_u32 s11, s0, s23
	s_delay_alu instid0(SALU_CYCLE_1)
	v_cmpx_gt_i64_e64 s[10:11], v[0:1]
	s_cbranch_execz .LBB49_117
; %bb.115:
	v_cmp_gt_i64_e64 s0, s[18:19], s[2:3]
	v_dual_mov_b32 v5, v1 :: v_dual_lshlrev_b32 v2, 2, v0
	v_mov_b32_e32 v4, v0
	s_delay_alu instid0(VALU_DEP_3) | instskip(SKIP_4) | instid1(SALU_CYCLE_1)
	s_and_b32 s0, s0, exec_lo
	s_cselect_b32 s13, s19, s3
	s_cselect_b32 s12, s18, s2
	s_lshl_b64 s[2:3], s[2:3], 2
	s_lshl_b64 s[12:13], s[12:13], 2
	v_add_co_u32 v2, s0, s12, v2
	s_delay_alu instid0(VALU_DEP_1) | instskip(NEXT) | instid1(VALU_DEP_2)
	v_add_co_ci_u32_e64 v3, null, s13, 0, s0
	v_sub_co_u32 v2, vcc_lo, v2, s2
	s_delay_alu instid0(VALU_DEP_2) | instskip(SKIP_1) | instid1(VALU_DEP_2)
	v_subrev_co_ci_u32_e32 v3, vcc_lo, s3, v3, vcc_lo
	s_mov_b32 s2, 0
	v_add_co_u32 v2, vcc_lo, s20, v2
	s_delay_alu instid0(VALU_DEP_2)
	v_add_co_ci_u32_e32 v3, vcc_lo, s21, v3, vcc_lo
	.p2align	6
.LBB49_116:                             ; =>This Inner Loop Header: Depth=1
	ds_load_b32 v6, v17
	v_add_co_u32 v4, vcc_lo, 0x100, v4
	v_add_co_ci_u32_e32 v5, vcc_lo, 0, v5, vcc_lo
	v_add_nc_u32_e32 v17, 0x400, v17
	s_delay_alu instid0(VALU_DEP_2) | instskip(SKIP_4) | instid1(VALU_DEP_1)
	v_cmp_le_i64_e32 vcc_lo, s[10:11], v[4:5]
	s_or_b32 s2, vcc_lo, s2
	s_waitcnt lgkmcnt(0)
	global_atomic_add_u32 v[2:3], v6, off
	v_add_co_u32 v2, s0, 0x400, v2
	v_add_co_ci_u32_e64 v3, s0, 0, v3, s0
	s_and_not1_b32 exec_lo, exec_lo, s2
	s_cbranch_execnz .LBB49_116
.LBB49_117:
	s_or_b32 exec_lo, exec_lo, s7
	s_add_i32 s0, s28, -1
	v_add_co_u32 v6, s7, s16, v0
	s_ashr_i32 s2, s0, 1
	v_add_co_ci_u32_e64 v7, null, s17, 0, s7
	s_or_b32 s0, s2, s0
	s_waitcnt_vscnt null, 0x0
	s_ashr_i32 s2, s0, 2
	s_barrier
	s_or_b32 s0, s2, s0
	buffer_gl0_inv
	s_ashr_i32 s2, s0, 4
	s_delay_alu instid0(SALU_CYCLE_1) | instskip(NEXT) | instid1(SALU_CYCLE_1)
	s_or_b32 s0, s2, s0
	s_ashr_i32 s2, s0, 8
	s_delay_alu instid0(SALU_CYCLE_1) | instskip(NEXT) | instid1(SALU_CYCLE_1)
	s_or_b32 s0, s2, s0
	s_ashr_i32 s2, s0, 16
	s_delay_alu instid0(SALU_CYCLE_1) | instskip(SKIP_2) | instid1(SALU_CYCLE_1)
	s_or_b32 s2, s2, s0
	s_mov_b32 s0, -1
	s_add_i32 s2, s2, 1
	s_ashr_i32 s3, s2, 1
	s_delay_alu instid0(SALU_CYCLE_1)
	s_cmp_gt_i32 s3, 1
	s_cbranch_scc1 .LBB49_126
; %bb.118:
	s_mov_b32 s0, exec_lo
	v_cmpx_gt_i64_e64 s[18:19], v[6:7]
	s_cbranch_execz .LBB49_125
; %bb.119:
	s_sub_i32 s1, s1, s18
	v_dual_mov_b32 v9, v7 :: v_dual_mov_b32 v8, v6
	s_lshl_b32 s11, s4, 2
	s_lshl_b32 s1, s1, 2
	s_mov_b32 s7, 0
	s_addk_i32 s1, 0x1000
	s_sub_i32 s11, 0, s11
	s_branch .LBB49_121
.LBB49_120:                             ;   in Loop: Header=BB49_121 Depth=1
	s_or_b32 exec_lo, exec_lo, s12
	v_lshl_add_u32 v2, v8, 2, s1
	ds_load_b32 v4, v2
	v_lshlrev_b64 v[2:3], 2, v[8:9]
	s_delay_alu instid0(VALU_DEP_1) | instskip(NEXT) | instid1(VALU_DEP_2)
	v_add_co_u32 v2, vcc_lo, s20, v2
	v_add_co_ci_u32_e32 v3, vcc_lo, s21, v3, vcc_lo
	v_add_co_u32 v8, vcc_lo, v8, s6
	v_add_co_ci_u32_e32 v9, vcc_lo, 0, v9, vcc_lo
	s_delay_alu instid0(VALU_DEP_1)
	v_cmp_le_i64_e32 vcc_lo, s[18:19], v[8:9]
	s_waitcnt lgkmcnt(0)
	v_add_nc_u32_e32 v4, v4, v12
	s_or_b32 s7, vcc_lo, s7
	global_atomic_add_u32 v[2:3], v4, off
	s_and_not1_b32 exec_lo, exec_lo, s7
	s_cbranch_execz .LBB49_125
.LBB49_121:                             ; =>This Loop Header: Depth=1
                                        ;     Child Loop BB49_123 Depth 2
	v_lshlrev_b64 v[2:3], 3, v[8:9]
	v_mov_b32_e32 v12, 0
	s_mov_b32 s12, exec_lo
	s_delay_alu instid0(VALU_DEP_2) | instskip(NEXT) | instid1(VALU_DEP_3)
	v_add_co_u32 v2, vcc_lo, s8, v2
	v_add_co_ci_u32_e32 v3, vcc_lo, s9, v3, vcc_lo
	global_load_b128 v[2:5], v[2:3], off
	s_waitcnt vmcnt(0)
	v_cmpx_lt_i64_e64 v[2:3], v[4:5]
	s_cbranch_execz .LBB49_120
; %bb.122:                              ;   in Loop: Header=BB49_121 Depth=1
	v_sub_co_u32 v4, vcc_lo, v4, s4
	v_subrev_co_ci_u32_e32 v5, vcc_lo, s5, v5, vcc_lo
	v_sub_co_u32 v10, vcc_lo, v2, s4
	v_subrev_co_ci_u32_e32 v11, vcc_lo, s5, v3, vcc_lo
	v_lshl_add_u32 v2, v2, 2, s11
	v_mov_b32_e32 v12, 0
	s_mov_b32 s13, 0
.LBB49_123:                             ;   Parent Loop BB49_121 Depth=1
                                        ; =>  This Inner Loop Header: Depth=2
	ds_load_b32 v3, v2
	v_add_co_u32 v10, vcc_lo, v10, 1
	v_add_co_ci_u32_e32 v11, vcc_lo, 0, v11, vcc_lo
	v_add_nc_u32_e32 v2, 4, v2
	s_delay_alu instid0(VALU_DEP_2)
	v_cmp_ge_i64_e32 vcc_lo, v[10:11], v[4:5]
	s_or_b32 s13, vcc_lo, s13
	s_waitcnt lgkmcnt(0)
	v_add_nc_u32_e32 v12, v3, v12
	s_and_not1_b32 exec_lo, exec_lo, s13
	s_cbranch_execnz .LBB49_123
; %bb.124:                              ;   in Loop: Header=BB49_121 Depth=1
	s_or_b32 exec_lo, exec_lo, s13
	s_branch .LBB49_120
.LBB49_125:
	s_or_b32 exec_lo, exec_lo, s0
	s_mov_b32 s0, 0
.LBB49_126:
	s_delay_alu instid0(SALU_CYCLE_1)
	s_and_not1_b32 vcc_lo, exec_lo, s0
	s_cbranch_vccnz .LBB49_153
; %bb.127:
	v_cvt_f32_u32_e32 v13, s3
	s_sub_i32 s1, 0, s3
	v_mov_b32_e32 v11, 0
	s_delay_alu instid0(VALU_DEP_2) | instskip(SKIP_2) | instid1(VALU_DEP_1)
	v_rcp_iflag_f32_e32 v2, v13
	s_waitcnt_depctr 0xfff
	v_mul_f32_e32 v2, 0x4f7ffffe, v2
	v_cvt_u32_f32_e32 v2, v2
	s_delay_alu instid0(VALU_DEP_1) | instskip(NEXT) | instid1(VALU_DEP_1)
	v_mul_lo_u32 v3, s1, v2
	v_mul_hi_u32 v3, v2, v3
	s_delay_alu instid0(VALU_DEP_1) | instskip(NEXT) | instid1(VALU_DEP_1)
	v_add_nc_u32_e32 v2, v2, v3
	v_mul_hi_u32 v2, v0, v2
	s_delay_alu instid0(VALU_DEP_1) | instskip(SKIP_1) | instid1(VALU_DEP_2)
	v_mul_lo_u32 v3, v2, s3
	v_add_nc_u32_e32 v4, 1, v2
	v_sub_nc_u32_e32 v3, v0, v3
	s_delay_alu instid0(VALU_DEP_1) | instskip(SKIP_1) | instid1(VALU_DEP_2)
	v_subrev_nc_u32_e32 v5, s3, v3
	v_cmp_le_u32_e32 vcc_lo, s3, v3
	v_dual_cndmask_b32 v2, v2, v4 :: v_dual_cndmask_b32 v3, v3, v5
	s_delay_alu instid0(VALU_DEP_1) | instskip(NEXT) | instid1(VALU_DEP_2)
	v_add_nc_u32_e32 v4, 1, v2
	v_cmp_le_u32_e32 vcc_lo, s3, v3
	s_delay_alu instid0(VALU_DEP_2) | instskip(NEXT) | instid1(VALU_DEP_1)
	v_cndmask_b32_e32 v10, v2, v4, vcc_lo
	v_lshlrev_b64 v[2:3], 3, v[10:11]
	s_delay_alu instid0(VALU_DEP_1) | instskip(NEXT) | instid1(VALU_DEP_2)
	v_add_co_u32 v2, vcc_lo, s26, v2
	v_add_co_ci_u32_e32 v3, vcc_lo, s27, v3, vcc_lo
	global_load_b128 v[2:5], v[2:3], off
	s_waitcnt vmcnt(0)
	v_sub_co_u32 v8, vcc_lo, v2, s4
	v_subrev_co_ci_u32_e32 v9, vcc_lo, s5, v3, vcc_lo
	v_sub_co_u32 v14, vcc_lo, v4, s4
	v_subrev_co_ci_u32_e32 v15, vcc_lo, s5, v5, vcc_lo
	v_mov_b32_e32 v4, v11
	s_delay_alu instid0(VALU_DEP_3) | instskip(NEXT) | instid1(VALU_DEP_3)
	v_sub_co_u32 v12, vcc_lo, v14, v8
	v_sub_co_ci_u32_e32 v5, vcc_lo, v15, v9, vcc_lo
	s_delay_alu instid0(VALU_DEP_1) | instskip(SKIP_1) | instid1(SALU_CYCLE_1)
	v_cmp_ne_u64_e32 vcc_lo, 0, v[4:5]
                                        ; implicit-def: $vgpr3_vgpr4
	s_and_saveexec_b32 s0, vcc_lo
	s_xor_b32 s5, exec_lo, s0
	s_cbranch_execz .LBB49_129
; %bb.128:
	v_cvt_f32_ubyte0_e32 v3, 0
	s_sub_u32 s0, 0, s3
	s_subb_u32 s6, 0, 0
	s_delay_alu instid0(VALU_DEP_1) | instskip(NEXT) | instid1(VALU_DEP_1)
	v_fmamk_f32 v3, v3, 0x4f800000, v13
	v_rcp_f32_e32 v3, v3
	s_waitcnt_depctr 0xfff
	v_mul_f32_e32 v3, 0x5f7ffffc, v3
	s_delay_alu instid0(VALU_DEP_1) | instskip(NEXT) | instid1(VALU_DEP_1)
	v_mul_f32_e32 v4, 0x2f800000, v3
	v_trunc_f32_e32 v4, v4
	s_delay_alu instid0(VALU_DEP_1) | instskip(SKIP_1) | instid1(VALU_DEP_2)
	v_fmamk_f32 v3, v4, 0xcf800000, v3
	v_cvt_u32_f32_e32 v4, v4
	v_cvt_u32_f32_e32 v3, v3
	s_delay_alu instid0(VALU_DEP_2) | instskip(NEXT) | instid1(VALU_DEP_2)
	v_mul_lo_u32 v13, s0, v4
	v_mul_hi_u32 v17, s0, v3
	v_mul_lo_u32 v18, s6, v3
	s_delay_alu instid0(VALU_DEP_2) | instskip(SKIP_1) | instid1(VALU_DEP_2)
	v_add_nc_u32_e32 v13, v17, v13
	v_mul_lo_u32 v17, s0, v3
	v_add_nc_u32_e32 v13, v13, v18
	s_delay_alu instid0(VALU_DEP_2) | instskip(NEXT) | instid1(VALU_DEP_2)
	v_mul_hi_u32 v18, v3, v17
	v_mul_lo_u32 v19, v3, v13
	v_mul_hi_u32 v20, v3, v13
	v_mul_hi_u32 v21, v4, v17
	v_mul_lo_u32 v17, v4, v17
	v_mul_hi_u32 v22, v4, v13
	v_mul_lo_u32 v13, v4, v13
	v_add_co_u32 v18, vcc_lo, v18, v19
	v_add_co_ci_u32_e32 v19, vcc_lo, 0, v20, vcc_lo
	s_delay_alu instid0(VALU_DEP_2) | instskip(NEXT) | instid1(VALU_DEP_2)
	v_add_co_u32 v17, vcc_lo, v18, v17
	v_add_co_ci_u32_e32 v17, vcc_lo, v19, v21, vcc_lo
	v_add_co_ci_u32_e32 v18, vcc_lo, 0, v22, vcc_lo
	v_ashrrev_i32_e32 v21, 31, v5
	s_delay_alu instid0(VALU_DEP_3) | instskip(NEXT) | instid1(VALU_DEP_3)
	v_add_co_u32 v13, vcc_lo, v17, v13
	v_add_co_ci_u32_e32 v17, vcc_lo, 0, v18, vcc_lo
	s_delay_alu instid0(VALU_DEP_2) | instskip(NEXT) | instid1(VALU_DEP_2)
	v_add_co_u32 v3, vcc_lo, v3, v13
	v_add_co_ci_u32_e32 v4, vcc_lo, v4, v17, vcc_lo
	s_delay_alu instid0(VALU_DEP_2) | instskip(SKIP_1) | instid1(VALU_DEP_3)
	v_mul_hi_u32 v13, s0, v3
	v_mul_lo_u32 v18, s6, v3
	v_mul_lo_u32 v17, s0, v4
	s_delay_alu instid0(VALU_DEP_1) | instskip(SKIP_1) | instid1(VALU_DEP_2)
	v_add_nc_u32_e32 v13, v13, v17
	v_mul_lo_u32 v17, s0, v3
	v_add_nc_u32_e32 v13, v13, v18
	s_delay_alu instid0(VALU_DEP_2) | instskip(NEXT) | instid1(VALU_DEP_2)
	v_mul_hi_u32 v18, v3, v17
	v_mul_lo_u32 v19, v3, v13
	v_mul_hi_u32 v20, v3, v13
	v_mul_hi_u32 v22, v4, v17
	v_mul_lo_u32 v17, v4, v17
	v_mul_hi_u32 v23, v4, v13
	v_mul_lo_u32 v13, v4, v13
	v_add_co_u32 v18, vcc_lo, v18, v19
	v_add_co_ci_u32_e32 v19, vcc_lo, 0, v20, vcc_lo
	s_delay_alu instid0(VALU_DEP_2) | instskip(NEXT) | instid1(VALU_DEP_2)
	v_add_co_u32 v17, vcc_lo, v18, v17
	v_add_co_ci_u32_e32 v17, vcc_lo, v19, v22, vcc_lo
	v_add_co_ci_u32_e32 v18, vcc_lo, 0, v23, vcc_lo
	v_add_co_u32 v12, vcc_lo, v12, v21
	v_add_co_ci_u32_e32 v5, vcc_lo, v5, v21, vcc_lo
	s_delay_alu instid0(VALU_DEP_4) | instskip(NEXT) | instid1(VALU_DEP_4)
	v_add_co_u32 v13, vcc_lo, v17, v13
	v_add_co_ci_u32_e32 v17, vcc_lo, 0, v18, vcc_lo
	s_delay_alu instid0(VALU_DEP_4) | instskip(NEXT) | instid1(VALU_DEP_3)
	v_xor_b32_e32 v19, v12, v21
	v_add_co_u32 v18, vcc_lo, v3, v13
	s_delay_alu instid0(VALU_DEP_3) | instskip(SKIP_1) | instid1(VALU_DEP_3)
	v_add_co_ci_u32_e32 v20, vcc_lo, v4, v17, vcc_lo
	v_xor_b32_e32 v5, v5, v21
	v_mul_hi_u32 v22, v19, v18
	s_delay_alu instid0(VALU_DEP_3) | instskip(NEXT) | instid1(VALU_DEP_3)
	v_mad_u64_u32 v[3:4], null, v19, v20, 0
	v_mad_u64_u32 v[12:13], null, v5, v18, 0
	v_mad_u64_u32 v[17:18], null, v5, v20, 0
	s_delay_alu instid0(VALU_DEP_3) | instskip(NEXT) | instid1(VALU_DEP_4)
	v_add_co_u32 v3, vcc_lo, v22, v3
	v_add_co_ci_u32_e32 v4, vcc_lo, 0, v4, vcc_lo
	s_delay_alu instid0(VALU_DEP_2) | instskip(NEXT) | instid1(VALU_DEP_2)
	v_add_co_u32 v3, vcc_lo, v3, v12
	v_add_co_ci_u32_e32 v3, vcc_lo, v4, v13, vcc_lo
	v_add_co_ci_u32_e32 v4, vcc_lo, 0, v18, vcc_lo
	s_delay_alu instid0(VALU_DEP_2) | instskip(NEXT) | instid1(VALU_DEP_2)
	v_add_co_u32 v17, vcc_lo, v3, v17
	v_add_co_ci_u32_e32 v18, vcc_lo, 0, v4, vcc_lo
	s_delay_alu instid0(VALU_DEP_2) | instskip(NEXT) | instid1(VALU_DEP_1)
	v_mad_u64_u32 v[3:4], null, s3, v17, 0
	v_mad_u64_u32 v[12:13], null, s3, v18, v[4:5]
	s_delay_alu instid0(VALU_DEP_2) | instskip(NEXT) | instid1(VALU_DEP_2)
	v_sub_co_u32 v3, vcc_lo, v19, v3
	v_sub_co_ci_u32_e32 v4, vcc_lo, v5, v12, vcc_lo
	s_delay_alu instid0(VALU_DEP_2) | instskip(NEXT) | instid1(VALU_DEP_2)
	v_sub_co_u32 v5, vcc_lo, v3, s3
	v_subrev_co_ci_u32_e32 v12, vcc_lo, 0, v4, vcc_lo
	s_delay_alu instid0(VALU_DEP_2)
	v_cmp_le_u32_e32 vcc_lo, s3, v5
	v_cmp_eq_u32_e64 s0, 0, v4
	v_cndmask_b32_e64 v5, 0, -1, vcc_lo
	v_add_co_u32 v13, vcc_lo, v17, 2
	v_add_co_ci_u32_e32 v19, vcc_lo, 0, v18, vcc_lo
	v_cmp_le_u32_e32 vcc_lo, s3, v3
	v_cndmask_b32_e64 v3, 0, -1, vcc_lo
	v_cmp_eq_u32_e32 vcc_lo, 0, v12
	s_delay_alu instid0(VALU_DEP_2) | instskip(SKIP_3) | instid1(VALU_DEP_3)
	v_cndmask_b32_e64 v3, -1, v3, s0
	v_cndmask_b32_e32 v5, -1, v5, vcc_lo
	v_add_co_u32 v12, vcc_lo, v17, 1
	v_add_co_ci_u32_e32 v20, vcc_lo, 0, v18, vcc_lo
	v_cmp_ne_u32_e32 vcc_lo, 0, v5
	s_delay_alu instid0(VALU_DEP_2) | instskip(NEXT) | instid1(VALU_DEP_4)
	v_cndmask_b32_e32 v4, v20, v19, vcc_lo
	v_cndmask_b32_e32 v5, v12, v13, vcc_lo
	v_cmp_ne_u32_e32 vcc_lo, 0, v3
                                        ; implicit-def: $vgpr12
	s_delay_alu instid0(VALU_DEP_2) | instskip(NEXT) | instid1(VALU_DEP_1)
	v_dual_cndmask_b32 v3, v18, v4 :: v_dual_cndmask_b32 v4, v17, v5
	v_xor_b32_e32 v5, v3, v21
	s_delay_alu instid0(VALU_DEP_2) | instskip(NEXT) | instid1(VALU_DEP_1)
	v_xor_b32_e32 v4, v4, v21
	v_sub_co_u32 v3, vcc_lo, v4, v21
	s_delay_alu instid0(VALU_DEP_3)
	v_sub_co_ci_u32_e32 v4, vcc_lo, v5, v21, vcc_lo
.LBB49_129:
	s_and_not1_saveexec_b32 s0, s5
	s_cbranch_execz .LBB49_131
; %bb.130:
	v_cvt_f32_u32_e32 v3, s3
	s_delay_alu instid0(VALU_DEP_1) | instskip(SKIP_2) | instid1(VALU_DEP_1)
	v_rcp_iflag_f32_e32 v3, v3
	s_waitcnt_depctr 0xfff
	v_mul_f32_e32 v3, 0x4f7ffffe, v3
	v_cvt_u32_f32_e32 v3, v3
	s_delay_alu instid0(VALU_DEP_1) | instskip(NEXT) | instid1(VALU_DEP_1)
	v_mul_lo_u32 v4, s1, v3
	v_mul_hi_u32 v4, v3, v4
	s_delay_alu instid0(VALU_DEP_1) | instskip(NEXT) | instid1(VALU_DEP_1)
	v_add_nc_u32_e32 v3, v3, v4
	v_mul_hi_u32 v3, v12, v3
	s_delay_alu instid0(VALU_DEP_1) | instskip(SKIP_1) | instid1(VALU_DEP_2)
	v_mul_lo_u32 v4, v3, s3
	v_add_nc_u32_e32 v5, 1, v3
	v_sub_nc_u32_e32 v4, v12, v4
	s_delay_alu instid0(VALU_DEP_1) | instskip(SKIP_1) | instid1(VALU_DEP_2)
	v_subrev_nc_u32_e32 v12, s3, v4
	v_cmp_le_u32_e32 vcc_lo, s3, v4
	v_dual_cndmask_b32 v4, v4, v12 :: v_dual_cndmask_b32 v3, v3, v5
	s_delay_alu instid0(VALU_DEP_1) | instskip(NEXT) | instid1(VALU_DEP_2)
	v_cmp_le_u32_e32 vcc_lo, s3, v4
	v_dual_mov_b32 v4, 0 :: v_dual_add_nc_u32 v5, 1, v3
	s_delay_alu instid0(VALU_DEP_1)
	v_cndmask_b32_e32 v3, v3, v5, vcc_lo
.LBB49_131:
	s_or_b32 exec_lo, exec_lo, s0
	v_mov_b32_e32 v5, 0
	s_mov_b32 s5, exec_lo
	v_cmpx_gt_i64_e64 s[22:23], v[10:11]
	s_cbranch_execz .LBB49_145
; %bb.132:
	s_add_i32 s0, s3, -1
	s_mov_b32 s6, exec_lo
	v_dual_mov_b32 v5, 0 :: v_dual_and_b32 v10, s0, v0
	v_cmpx_lt_i64_e32 0, v[3:4]
	s_cbranch_execz .LBB49_142
; %bb.133:
	v_mov_b32_e32 v11, 0
	v_dual_mov_b32 v12, 0 :: v_dual_mov_b32 v5, 0
	s_mov_b32 s7, exec_lo
	v_cmpx_lt_u64_e32 3, v[3:4]
	s_cbranch_execz .LBB49_137
; %bb.134:
	v_lshlrev_b32_e32 v5, 2, v2
	s_lshl_b32 s0, s3, 2
	s_lshl_b32 s1, s4, 2
	v_and_b32_e32 v12, 0x7fffffff, v4
	v_and_b32_e32 v11, -4, v3
	v_lshl_add_u32 v13, v10, 2, v5
	v_mov_b32_e32 v5, 0
	s_sub_i32 s8, s0, s1
	s_lshl_b32 s0, s3, 3
	s_mul_i32 s12, s3, 12
	s_lshl_b32 s9, s3, 4
	s_sub_i32 s11, s0, s1
	s_sub_i32 s12, s12, s1
	s_mov_b32 s13, 0
	s_sub_i32 s14, 0, s1
	s_mov_b64 s[0:1], 0
	.p2align	6
.LBB49_135:                             ; =>This Inner Loop Header: Depth=1
	v_add_nc_u32_e32 v17, s14, v13
	v_add_nc_u32_e32 v18, s8, v13
	;; [unrolled: 1-line block ×4, first 2 shown]
	s_add_u32 s0, s0, 4
	ds_load_b32 v17, v17
	ds_load_b32 v18, v18
	;; [unrolled: 1-line block ×4, first 2 shown]
	s_addc_u32 s1, s1, 0
	v_add_nc_u32_e32 v13, s9, v13
	v_cmp_eq_u64_e32 vcc_lo, s[0:1], v[11:12]
	s_or_b32 s13, vcc_lo, s13
	s_waitcnt lgkmcnt(2)
	v_add3_u32 v5, v17, v5, v18
	s_waitcnt lgkmcnt(0)
	s_delay_alu instid0(VALU_DEP_1)
	v_add3_u32 v5, v19, v5, v20
	s_and_not1_b32 exec_lo, exec_lo, s13
	s_cbranch_execnz .LBB49_135
; %bb.136:
	s_or_b32 exec_lo, exec_lo, s13
.LBB49_137:
	s_delay_alu instid0(SALU_CYCLE_1) | instskip(SKIP_2) | instid1(VALU_DEP_1)
	s_or_b32 exec_lo, exec_lo, s7
	v_dual_mov_b32 v13, 0 :: v_dual_and_b32 v12, 3, v3
	s_mov_b32 s0, exec_lo
	v_cmpx_ne_u64_e32 0, v[12:13]
	s_cbranch_execz .LBB49_141
; %bb.138:
	v_mul_lo_u32 v11, s3, v11
	s_mov_b32 s1, 0
	s_delay_alu instid0(VALU_DEP_1) | instskip(NEXT) | instid1(VALU_DEP_1)
	v_add3_u32 v2, v10, v11, v2
	v_subrev_nc_u32_e32 v2, s4, v2
	s_lshl_b32 s4, s3, 2
	s_delay_alu instid0(VALU_DEP_1)
	v_lshlrev_b32_e32 v2, 2, v2
.LBB49_139:                             ; =>This Inner Loop Header: Depth=1
	ds_load_b32 v11, v2
	v_add_co_u32 v12, vcc_lo, v12, -1
	v_add_co_ci_u32_e32 v13, vcc_lo, -1, v13, vcc_lo
	v_add_nc_u32_e32 v2, s4, v2
	s_delay_alu instid0(VALU_DEP_2)
	v_cmp_eq_u64_e32 vcc_lo, 0, v[12:13]
	s_or_b32 s1, vcc_lo, s1
	s_waitcnt lgkmcnt(0)
	v_add_nc_u32_e32 v5, v11, v5
	s_and_not1_b32 exec_lo, exec_lo, s1
	s_cbranch_execnz .LBB49_139
; %bb.140:
	s_or_b32 exec_lo, exec_lo, s1
.LBB49_141:
	s_delay_alu instid0(SALU_CYCLE_1)
	s_or_b32 exec_lo, exec_lo, s0
.LBB49_142:
	s_delay_alu instid0(SALU_CYCLE_1) | instskip(SKIP_3) | instid1(VALU_DEP_2)
	s_or_b32 exec_lo, exec_lo, s6
	v_mad_u64_u32 v[12:13], null, v3, s3, v[8:9]
	v_mov_b32_e32 v11, 0
	s_mov_b32 s0, exec_lo
	v_mov_b32_e32 v2, v13
	s_delay_alu instid0(VALU_DEP_1) | instskip(NEXT) | instid1(VALU_DEP_4)
	v_mad_u64_u32 v[8:9], null, v4, s3, v[2:3]
	v_sub_co_u32 v2, vcc_lo, v14, v12
	s_delay_alu instid0(VALU_DEP_2) | instskip(NEXT) | instid1(VALU_DEP_1)
	v_mov_b32_e32 v3, v8
	v_sub_co_ci_u32_e32 v3, vcc_lo, v15, v3, vcc_lo
	s_delay_alu instid0(VALU_DEP_1)
	v_cmpx_gt_i64_e64 v[2:3], v[10:11]
	s_cbranch_execz .LBB49_144
; %bb.143:
	v_add_lshl_u32 v2, v10, v12, 2
	ds_load_b32 v2, v2
	s_waitcnt lgkmcnt(0)
	v_add_nc_u32_e32 v5, v2, v5
.LBB49_144:
	s_or_b32 exec_lo, exec_lo, s0
.LBB49_145:
	s_delay_alu instid0(SALU_CYCLE_1)
	s_or_b32 exec_lo, exec_lo, s5
	s_waitcnt_vscnt null, 0x0
	s_barrier
	buffer_gl0_inv
	ds_store_b32 v16, v5
	s_waitcnt lgkmcnt(0)
	s_barrier
	buffer_gl0_inv
	s_mov_b32 s0, exec_lo
	v_cmpx_gt_i64_e64 s[22:23], v[0:1]
	s_cbranch_execz .LBB49_153
; %bb.146:
	v_mul_lo_u32 v2, s3, v0
	v_mov_b32_e32 v1, 0
	s_cmp_lt_u32 s3, 8
	s_mov_b32 s0, 0
	s_cbranch_scc1 .LBB49_149
; %bb.147:
	s_delay_alu instid0(VALU_DEP_2)
	v_lshlrev_b32_e32 v3, 2, v2
	v_mov_b32_e32 v1, 0
	s_and_b32 s0, s3, 0x7ffffff8
	s_mov_b32 s1, 0
	.p2align	6
.LBB49_148:                             ; =>This Inner Loop Header: Depth=1
	ds_load_2addr_b32 v[4:5], v3 offset1:1
	ds_load_2addr_b32 v[8:9], v3 offset0:2 offset1:3
	ds_load_2addr_b32 v[10:11], v3 offset0:4 offset1:5
	;; [unrolled: 1-line block ×3, first 2 shown]
	v_add_nc_u32_e32 v3, 32, v3
	s_add_i32 s1, s1, 8
	s_delay_alu instid0(SALU_CYCLE_1) | instskip(SKIP_3) | instid1(VALU_DEP_1)
	s_cmp_eq_u32 s0, s1
	s_waitcnt lgkmcnt(3)
	v_add3_u32 v1, v4, v1, v5
	s_waitcnt lgkmcnt(2)
	v_add3_u32 v1, v8, v1, v9
	s_waitcnt lgkmcnt(1)
	s_delay_alu instid0(VALU_DEP_1) | instskip(SKIP_1) | instid1(VALU_DEP_1)
	v_add3_u32 v1, v10, v1, v11
	s_waitcnt lgkmcnt(0)
	v_add3_u32 v1, v12, v1, v13
	s_cbranch_scc0 .LBB49_148
.LBB49_149:
	s_bfe_u32 s1, s2, 0x30001
	s_delay_alu instid0(SALU_CYCLE_1)
	s_cmp_eq_u32 s1, 0
	s_cbranch_scc1 .LBB49_152
; %bb.150:
	v_add_lshl_u32 v2, s0, v2, 2
.LBB49_151:                             ; =>This Inner Loop Header: Depth=1
	ds_load_b32 v3, v2
	v_add_nc_u32_e32 v2, 4, v2
	s_add_i32 s1, s1, -1
	s_delay_alu instid0(SALU_CYCLE_1)
	s_cmp_lg_u32 s1, 0
	s_waitcnt lgkmcnt(0)
	v_add_nc_u32_e32 v1, v3, v1
	s_cbranch_scc1 .LBB49_151
.LBB49_152:
	v_lshlrev_b32_e32 v0, 2, v0
	s_lshl_b32 s0, s10, 2
	v_lshlrev_b64 v[2:3], 2, v[6:7]
	s_delay_alu instid0(VALU_DEP_2)
	v_add3_u32 v0, 0x1000, s0, v0
	ds_load_b32 v0, v0
	s_waitcnt lgkmcnt(0)
	v_add_nc_u32_e32 v4, v0, v1
	v_add_co_u32 v0, vcc_lo, s20, v2
	v_add_co_ci_u32_e32 v1, vcc_lo, s21, v3, vcc_lo
	global_atomic_add_u32 v[0:1], v4, off
.LBB49_153:
	s_nop 0
	s_sendmsg sendmsg(MSG_DEALLOC_VGPRS)
	s_endpgm
	.section	.rodata,"a",@progbits
	.p2align	6, 0x0
	.amdhsa_kernel _ZN9rocsparseL27csrmvn_symm_adaptive_kernelIliaaiiEEvbT_S1_PKS1_NS_24const_host_device_scalarIT4_EES3_PKT0_PKT1_PKT2_S6_PT3_21rocsparse_index_base_b
		.amdhsa_group_segment_fixed_size 4096
		.amdhsa_private_segment_fixed_size 0
		.amdhsa_kernarg_size 352
		.amdhsa_user_sgpr_count 15
		.amdhsa_user_sgpr_dispatch_ptr 0
		.amdhsa_user_sgpr_queue_ptr 0
		.amdhsa_user_sgpr_kernarg_segment_ptr 1
		.amdhsa_user_sgpr_dispatch_id 0
		.amdhsa_user_sgpr_private_segment_size 0
		.amdhsa_wavefront_size32 1
		.amdhsa_uses_dynamic_stack 0
		.amdhsa_enable_private_segment 0
		.amdhsa_system_sgpr_workgroup_id_x 1
		.amdhsa_system_sgpr_workgroup_id_y 0
		.amdhsa_system_sgpr_workgroup_id_z 0
		.amdhsa_system_sgpr_workgroup_info 0
		.amdhsa_system_vgpr_workitem_id 0
		.amdhsa_next_free_vgpr 24
		.amdhsa_next_free_sgpr 41
		.amdhsa_reserve_vcc 1
		.amdhsa_float_round_mode_32 0
		.amdhsa_float_round_mode_16_64 0
		.amdhsa_float_denorm_mode_32 3
		.amdhsa_float_denorm_mode_16_64 3
		.amdhsa_dx10_clamp 1
		.amdhsa_ieee_mode 1
		.amdhsa_fp16_overflow 0
		.amdhsa_workgroup_processor_mode 1
		.amdhsa_memory_ordered 1
		.amdhsa_forward_progress 0
		.amdhsa_shared_vgpr_count 0
		.amdhsa_exception_fp_ieee_invalid_op 0
		.amdhsa_exception_fp_denorm_src 0
		.amdhsa_exception_fp_ieee_div_zero 0
		.amdhsa_exception_fp_ieee_overflow 0
		.amdhsa_exception_fp_ieee_underflow 0
		.amdhsa_exception_fp_ieee_inexact 0
		.amdhsa_exception_int_div_zero 0
	.end_amdhsa_kernel
	.section	.text._ZN9rocsparseL27csrmvn_symm_adaptive_kernelIliaaiiEEvbT_S1_PKS1_NS_24const_host_device_scalarIT4_EES3_PKT0_PKT1_PKT2_S6_PT3_21rocsparse_index_base_b,"axG",@progbits,_ZN9rocsparseL27csrmvn_symm_adaptive_kernelIliaaiiEEvbT_S1_PKS1_NS_24const_host_device_scalarIT4_EES3_PKT0_PKT1_PKT2_S6_PT3_21rocsparse_index_base_b,comdat
.Lfunc_end49:
	.size	_ZN9rocsparseL27csrmvn_symm_adaptive_kernelIliaaiiEEvbT_S1_PKS1_NS_24const_host_device_scalarIT4_EES3_PKT0_PKT1_PKT2_S6_PT3_21rocsparse_index_base_b, .Lfunc_end49-_ZN9rocsparseL27csrmvn_symm_adaptive_kernelIliaaiiEEvbT_S1_PKS1_NS_24const_host_device_scalarIT4_EES3_PKT0_PKT1_PKT2_S6_PT3_21rocsparse_index_base_b
                                        ; -- End function
	.section	.AMDGPU.csdata,"",@progbits
; Kernel info:
; codeLenInByte = 8728
; NumSgprs: 43
; NumVgprs: 24
; ScratchSize: 0
; MemoryBound: 0
; FloatMode: 240
; IeeeMode: 1
; LDSByteSize: 4096 bytes/workgroup (compile time only)
; SGPRBlocks: 5
; VGPRBlocks: 2
; NumSGPRsForWavesPerEU: 43
; NumVGPRsForWavesPerEU: 24
; Occupancy: 16
; WaveLimiterHint : 1
; COMPUTE_PGM_RSRC2:SCRATCH_EN: 0
; COMPUTE_PGM_RSRC2:USER_SGPR: 15
; COMPUTE_PGM_RSRC2:TRAP_HANDLER: 0
; COMPUTE_PGM_RSRC2:TGID_X_EN: 1
; COMPUTE_PGM_RSRC2:TGID_Y_EN: 0
; COMPUTE_PGM_RSRC2:TGID_Z_EN: 0
; COMPUTE_PGM_RSRC2:TIDIG_COMP_CNT: 0
	.section	.text._ZL33csrmvn_symm_large_adaptive_kernelIliaaiiEvbT_PKS0_N9rocsparse24const_host_device_scalarIT4_EES2_PKT0_PKT1_PKT2_S6_PT3_21rocsparse_index_base_b,"axG",@progbits,_ZL33csrmvn_symm_large_adaptive_kernelIliaaiiEvbT_PKS0_N9rocsparse24const_host_device_scalarIT4_EES2_PKT0_PKT1_PKT2_S6_PT3_21rocsparse_index_base_b,comdat
	.globl	_ZL33csrmvn_symm_large_adaptive_kernelIliaaiiEvbT_PKS0_N9rocsparse24const_host_device_scalarIT4_EES2_PKT0_PKT1_PKT2_S6_PT3_21rocsparse_index_base_b ; -- Begin function _ZL33csrmvn_symm_large_adaptive_kernelIliaaiiEvbT_PKS0_N9rocsparse24const_host_device_scalarIT4_EES2_PKT0_PKT1_PKT2_S6_PT3_21rocsparse_index_base_b
	.p2align	8
	.type	_ZL33csrmvn_symm_large_adaptive_kernelIliaaiiEvbT_PKS0_N9rocsparse24const_host_device_scalarIT4_EES2_PKT0_PKT1_PKT2_S6_PT3_21rocsparse_index_base_b,@function
_ZL33csrmvn_symm_large_adaptive_kernelIliaaiiEvbT_PKS0_N9rocsparse24const_host_device_scalarIT4_EES2_PKT0_PKT1_PKT2_S6_PT3_21rocsparse_index_base_b: ; @_ZL33csrmvn_symm_large_adaptive_kernelIliaaiiEvbT_PKS0_N9rocsparse24const_host_device_scalarIT4_EES2_PKT0_PKT1_PKT2_S6_PT3_21rocsparse_index_base_b
; %bb.0:
	s_clause 0x1
	s_load_b64 s[6:7], s[0:1], 0x50
	s_load_b64 s[8:9], s[0:1], 0x18
	s_mov_b32 s2, s15
	s_mov_b32 s10, -1
	s_waitcnt lgkmcnt(0)
	s_bitcmp1_b32 s7, 0
                                        ; implicit-def: $sgpr7
	s_cselect_b32 s3, -1, 0
	s_delay_alu instid0(SALU_CYCLE_1) | instskip(NEXT) | instid1(SALU_CYCLE_1)
	s_xor_b32 s3, s3, -1
	s_and_b32 vcc_lo, exec_lo, s3
	s_cbranch_vccnz .LBB50_4
; %bb.1:
	s_load_b64 s[4:5], s[0:1], 0x40
	s_and_not1_b32 vcc_lo, exec_lo, s10
	s_cbranch_vccz .LBB50_5
.LBB50_2:
	s_and_b32 vcc_lo, exec_lo, s3
	s_cbranch_vccz .LBB50_6
.LBB50_3:
	s_waitcnt lgkmcnt(0)
	s_load_b32 s3, s[4:5], 0x0
	s_cbranch_execz .LBB50_7
	s_branch .LBB50_8
.LBB50_4:
	s_load_b32 s7, s[8:9], 0x0
	s_load_b64 s[4:5], s[0:1], 0x40
	s_cbranch_execnz .LBB50_2
.LBB50_5:
	s_waitcnt lgkmcnt(0)
	s_mov_b32 s7, s8
	s_and_b32 vcc_lo, exec_lo, s3
	s_cbranch_vccnz .LBB50_3
.LBB50_6:
	s_waitcnt lgkmcnt(0)
                                        ; implicit-def: $sgpr3
.LBB50_7:
	s_waitcnt lgkmcnt(0)
	s_mov_b32 s3, s4
.LBB50_8:
	s_cmp_lg_u32 s7, 0
	s_cselect_b32 s4, -1, 0
	s_waitcnt lgkmcnt(0)
	s_cmp_lg_u32 s3, 1
	s_cselect_b32 s3, -1, 0
	s_delay_alu instid0(SALU_CYCLE_1) | instskip(NEXT) | instid1(SALU_CYCLE_1)
	s_or_b32 s3, s4, s3
	s_and_not1_b32 vcc_lo, exec_lo, s3
	s_cbranch_vccnz .LBB50_40
; %bb.9:
	s_load_b64 s[4:5], s[0:1], 0x10
	s_ashr_i32 s3, s2, 31
	v_dual_mov_b32 v1, 0 :: v_dual_lshlrev_b32 v4, 2, v0
	s_lshl_b64 s[2:3], s[2:3], 3
	ds_store_2addr_stride64_b32 v4, v1, v1 offset1:4
	ds_store_2addr_stride64_b32 v4, v1, v1 offset0:8 offset1:12
	s_waitcnt lgkmcnt(0)
	s_barrier
	buffer_gl0_inv
	s_add_u32 s2, s4, s2
	s_addc_u32 s3, s5, s3
	s_load_b128 s[16:19], s[2:3], 0x0
	s_clause 0x1
	s_load_b256 s[8:15], s[0:1], 0x20
	s_load_b64 s[20:21], s[0:1], 0x48
	v_sub_co_u32 v5, s1, v0, s6
	s_delay_alu instid0(VALU_DEP_1) | instskip(SKIP_2) | instid1(VALU_DEP_1)
	v_sub_co_ci_u32_e64 v6, null, 0, 0, s1
	s_waitcnt lgkmcnt(0)
	v_cmp_lt_i64_e64 s0, s[16:17], s[18:19]
	s_and_b32 vcc_lo, exec_lo, s0
	s_cbranch_vccnz .LBB50_11
; %bb.10:
	s_lshl_b64 s[0:1], s[16:17], 3
	s_delay_alu instid0(SALU_CYCLE_1)
	s_add_u32 s0, s8, s0
	s_addc_u32 s1, s9, s1
	s_load_b64 s[22:23], s[0:1], 0x0
	s_cbranch_execz .LBB50_12
	s_branch .LBB50_31
.LBB50_11:
                                        ; implicit-def: $sgpr22_sgpr23
.LBB50_12:
	s_lshl_b64 s[0:1], s[16:17], 3
	v_cmp_gt_u32_e64 s2, 16, v0
	s_add_u32 s0, s8, s0
	s_addc_u32 s1, s9, s1
	v_cmp_gt_u32_e64 s3, 4, v0
	s_waitcnt lgkmcnt(0)
	s_load_b64 s[22:23], s[0:1], 0x0
	v_cmp_gt_u32_e64 s0, 0x100, v0
	v_cmp_gt_u32_e64 s1, 64, v0
	v_cmp_eq_u32_e64 s4, 0, v0
	v_mov_b32_e32 v7, 0
	s_add_u32 s30, s8, 8
	s_addc_u32 s31, s9, 0
	s_mov_b64 s[24:25], s[16:17]
	s_waitcnt lgkmcnt(0)
	s_mov_b64 s[26:27], s[22:23]
	s_branch .LBB50_14
.LBB50_13:                              ;   in Loop: Header=BB50_14 Depth=1
	s_or_b32 exec_lo, exec_lo, s5
	s_add_u32 s24, s24, 1
	s_addc_u32 s25, s25, 0
	s_delay_alu instid0(SALU_CYCLE_1) | instskip(NEXT) | instid1(VALU_DEP_1)
	v_cmp_ge_i64_e64 s5, s[24:25], s[18:19]
	s_and_b32 vcc_lo, exec_lo, s5
	s_cbranch_vccnz .LBB50_31
.LBB50_14:                              ; =>This Loop Header: Depth=1
                                        ;     Child Loop BB50_16 Depth 2
	s_lshl_b64 s[28:29], s[24:25], 3
	s_mov_b64 s[34:35], s[26:27]
	s_add_u32 s28, s30, s28
	s_addc_u32 s29, s31, s29
	v_add_co_u32 v0, vcc_lo, s34, v5
	s_load_b64 s[26:27], s[28:29], 0x0
	v_add_co_ci_u32_e32 v1, vcc_lo, s35, v6, vcc_lo
	v_mov_b32_e32 v8, 0
	s_mov_b32 s33, exec_lo
	s_waitcnt lgkmcnt(0)
	s_sub_u32 s28, s26, s6
	s_subb_u32 s29, s27, 0
	s_delay_alu instid0(SALU_CYCLE_1)
	v_cmpx_gt_i64_e64 s[28:29], v[0:1]
	s_cbranch_execz .LBB50_18
; %bb.15:                               ;   in Loop: Header=BB50_14 Depth=1
	v_lshlrev_b64 v[2:3], 2, v[0:1]
	v_mov_b32_e32 v8, 0
	s_mov_b32 s34, 0
	s_delay_alu instid0(VALU_DEP_2) | instskip(NEXT) | instid1(VALU_DEP_3)
	v_add_co_u32 v2, vcc_lo, s10, v2
	v_add_co_ci_u32_e32 v3, vcc_lo, s11, v3, vcc_lo
	.p2align	6
.LBB50_16:                              ;   Parent Loop BB50_14 Depth=1
                                        ; =>  This Inner Loop Header: Depth=2
	global_load_b32 v9, v[2:3], off
	v_add_co_u32 v2, s5, 0x400, v2
	s_delay_alu instid0(VALU_DEP_1) | instskip(SKIP_4) | instid1(VALU_DEP_3)
	v_add_co_ci_u32_e64 v3, s5, 0, v3, s5
	s_waitcnt vmcnt(0)
	v_subrev_nc_u32_e32 v11, s6, v9
	v_add_co_u32 v9, vcc_lo, s12, v0
	v_add_co_ci_u32_e32 v10, vcc_lo, s13, v1, vcc_lo
	v_ashrrev_i32_e32 v12, 31, v11
	v_add_co_u32 v11, vcc_lo, s14, v11
	s_delay_alu instid0(VALU_DEP_2) | instskip(SKIP_4) | instid1(VALU_DEP_1)
	v_add_co_ci_u32_e32 v12, vcc_lo, s15, v12, vcc_lo
	v_add_co_u32 v0, vcc_lo, 0x100, v0
	global_load_i8 v9, v[9:10], off
	global_load_i8 v10, v[11:12], off
	v_add_co_ci_u32_e32 v1, vcc_lo, 0, v1, vcc_lo
	v_cmp_le_i64_e32 vcc_lo, s[28:29], v[0:1]
	s_or_b32 s34, vcc_lo, s34
	s_waitcnt vmcnt(0)
	v_mad_i32_i24 v8, v10, v9, v8
	s_and_not1_b32 exec_lo, exec_lo, s34
	s_cbranch_execnz .LBB50_16
; %bb.17:                               ;   in Loop: Header=BB50_14 Depth=1
	s_or_b32 exec_lo, exec_lo, s34
.LBB50_18:                              ;   in Loop: Header=BB50_14 Depth=1
	s_delay_alu instid0(SALU_CYCLE_1)
	s_or_b32 exec_lo, exec_lo, s33
	ds_store_b32 v4, v8
	s_waitcnt lgkmcnt(0)
	s_waitcnt_vscnt null, 0x0
	s_barrier
	buffer_gl0_inv
	s_and_saveexec_b32 s5, s0
	s_cbranch_execz .LBB50_20
; %bb.19:                               ;   in Loop: Header=BB50_14 Depth=1
	ds_load_2addr_stride64_b32 v[0:1], v4 offset1:4
	ds_load_2addr_stride64_b32 v[2:3], v4 offset0:8 offset1:12
	s_waitcnt lgkmcnt(0)
	v_add_nc_u32_e32 v1, v2, v1
	s_delay_alu instid0(VALU_DEP_1)
	v_add3_u32 v0, v1, v3, v0
	ds_store_b32 v4, v0
.LBB50_20:                              ;   in Loop: Header=BB50_14 Depth=1
	s_or_b32 exec_lo, exec_lo, s5
	s_waitcnt lgkmcnt(0)
	s_barrier
	buffer_gl0_inv
	s_and_saveexec_b32 s5, s1
	s_cbranch_execz .LBB50_22
; %bb.21:                               ;   in Loop: Header=BB50_14 Depth=1
	ds_load_2addr_stride64_b32 v[0:1], v4 offset1:1
	ds_load_2addr_stride64_b32 v[2:3], v4 offset0:2 offset1:3
	s_waitcnt lgkmcnt(0)
	v_add_nc_u32_e32 v1, v2, v1
	s_delay_alu instid0(VALU_DEP_1)
	v_add3_u32 v0, v1, v3, v0
	ds_store_b32 v4, v0
.LBB50_22:                              ;   in Loop: Header=BB50_14 Depth=1
	s_or_b32 exec_lo, exec_lo, s5
	s_waitcnt lgkmcnt(0)
	s_barrier
	buffer_gl0_inv
	s_and_saveexec_b32 s5, s2
	s_cbranch_execz .LBB50_24
; %bb.23:                               ;   in Loop: Header=BB50_14 Depth=1
	ds_load_2addr_b32 v[0:1], v4 offset1:16
	ds_load_2addr_b32 v[2:3], v4 offset0:32 offset1:48
	s_waitcnt lgkmcnt(0)
	v_add_nc_u32_e32 v1, v2, v1
	s_delay_alu instid0(VALU_DEP_1)
	v_add3_u32 v0, v1, v3, v0
	ds_store_b32 v4, v0
.LBB50_24:                              ;   in Loop: Header=BB50_14 Depth=1
	s_or_b32 exec_lo, exec_lo, s5
	s_waitcnt lgkmcnt(0)
	s_barrier
	buffer_gl0_inv
	s_and_saveexec_b32 s5, s3
	s_cbranch_execz .LBB50_26
; %bb.25:                               ;   in Loop: Header=BB50_14 Depth=1
	ds_load_2addr_b32 v[0:1], v4 offset1:4
	ds_load_2addr_b32 v[2:3], v4 offset0:8 offset1:12
	s_waitcnt lgkmcnt(0)
	v_add_nc_u32_e32 v1, v2, v1
	s_delay_alu instid0(VALU_DEP_1)
	v_add3_u32 v0, v1, v3, v0
	ds_store_b32 v4, v0
.LBB50_26:                              ;   in Loop: Header=BB50_14 Depth=1
	s_or_b32 exec_lo, exec_lo, s5
	s_waitcnt lgkmcnt(0)
	s_barrier
	buffer_gl0_inv
	s_and_saveexec_b32 s5, s4
	s_cbranch_execz .LBB50_28
; %bb.27:                               ;   in Loop: Header=BB50_14 Depth=1
	ds_load_2addr_b32 v[0:1], v7 offset0:1 offset1:2
	ds_load_b32 v2, v7 offset:12
	ds_load_b32 v3, v4
	s_waitcnt lgkmcnt(2)
	v_add_nc_u32_e32 v0, v1, v0
	s_waitcnt lgkmcnt(0)
	s_delay_alu instid0(VALU_DEP_1)
	v_add3_u32 v0, v0, v2, v3
	ds_store_b32 v4, v0
.LBB50_28:                              ;   in Loop: Header=BB50_14 Depth=1
	s_or_b32 exec_lo, exec_lo, s5
	s_waitcnt lgkmcnt(0)
	s_barrier
	buffer_gl0_inv
	s_and_saveexec_b32 s5, s4
	s_cbranch_execz .LBB50_13
; %bb.29:                               ;   in Loop: Header=BB50_14 Depth=1
	s_mov_b32 s28, exec_lo
	s_delay_alu instid0(SALU_CYCLE_1) | instskip(NEXT) | instid1(VALU_DEP_1)
	v_mbcnt_lo_u32_b32 v0, s28, 0
	v_cmp_eq_u32_e32 vcc_lo, 0, v0
	s_and_b32 s29, exec_lo, vcc_lo
	s_delay_alu instid0(SALU_CYCLE_1)
	s_mov_b32 exec_lo, s29
	s_cbranch_execz .LBB50_13
; %bb.30:                               ;   in Loop: Header=BB50_14 Depth=1
	ds_load_b32 v0, v7
	s_lshl_b64 s[34:35], s[24:25], 2
	s_delay_alu instid0(SALU_CYCLE_1) | instskip(SKIP_4) | instid1(VALU_DEP_1)
	s_add_u32 s34, s20, s34
	s_addc_u32 s35, s21, s35
	s_bcnt1_i32_b32 s28, s28
	s_waitcnt lgkmcnt(0)
	v_mul_lo_u32 v0, v0, s7
	v_mul_lo_u32 v0, v0, s28
	global_atomic_add_u32 v7, v0, s[34:35]
	s_branch .LBB50_13
.LBB50_31:
	s_lshl_b64 s[0:1], s[18:19], 3
	s_waitcnt lgkmcnt(0)
	v_add_co_u32 v0, vcc_lo, s22, v5
	s_add_u32 s0, s8, s0
	s_addc_u32 s1, s9, s1
	v_add_co_ci_u32_e32 v1, vcc_lo, s23, v6, vcc_lo
	s_load_b64 s[0:1], s[0:1], 0x0
	s_waitcnt lgkmcnt(0)
	s_sub_u32 s2, s0, s6
	s_subb_u32 s3, s1, 0
	s_mov_b32 s0, exec_lo
	v_cmpx_gt_i64_e64 s[2:3], v[0:1]
	s_cbranch_execz .LBB50_40
; %bb.32:
	s_add_u32 s4, s18, -1
	s_addc_u32 s5, s19, -1
	s_add_u32 s0, s18, -2
	v_cmp_gt_i64_e64 s18, s[4:5], s[16:17]
	s_addc_u32 s1, s19, -1
	s_delay_alu instid0(SALU_CYCLE_1)
	s_cmp_lg_u64 s[0:1], s[16:17]
	s_cselect_b32 s0, -1, 0
	s_delay_alu instid0(VALU_DEP_1) | instid1(SALU_CYCLE_1)
	s_and_b32 s1, s18, s0
	s_mov_b32 s18, 0
	s_branch .LBB50_34
.LBB50_33:                              ;   in Loop: Header=BB50_34 Depth=1
	s_or_b32 exec_lo, exec_lo, s0
	v_add_co_u32 v0, vcc_lo, 0x100, v0
	v_add_co_ci_u32_e32 v1, vcc_lo, 0, v1, vcc_lo
	s_delay_alu instid0(VALU_DEP_1) | instskip(SKIP_1) | instid1(SALU_CYCLE_1)
	v_cmp_le_i64_e32 vcc_lo, s[2:3], v[0:1]
	s_or_b32 s18, vcc_lo, s18
	s_and_not1_b32 exec_lo, exec_lo, s18
	s_cbranch_execz .LBB50_40
.LBB50_34:                              ; =>This Loop Header: Depth=1
                                        ;     Child Loop BB50_36 Depth 2
	v_dual_mov_b32 v2, s16 :: v_dual_mov_b32 v3, s17
	v_dual_mov_b32 v4, s4 :: v_dual_mov_b32 v5, s5
	s_and_not1_b32 vcc_lo, exec_lo, s1
	s_cbranch_vccnz .LBB50_38
; %bb.35:                               ;   in Loop: Header=BB50_34 Depth=1
	v_dual_mov_b32 v2, s16 :: v_dual_mov_b32 v3, s17
	v_dual_mov_b32 v4, s4 :: v_dual_mov_b32 v5, s5
	s_mov_b32 s19, 0
	s_set_inst_prefetch_distance 0x1
	.p2align	6
.LBB50_36:                              ;   Parent Loop BB50_34 Depth=1
                                        ; =>  This Inner Loop Header: Depth=2
	s_delay_alu instid0(VALU_DEP_1) | instskip(NEXT) | instid1(VALU_DEP_2)
	v_add_co_u32 v6, vcc_lo, v4, v2
	v_add_co_ci_u32_e32 v7, vcc_lo, v5, v3, vcc_lo
	s_delay_alu instid0(VALU_DEP_1) | instskip(NEXT) | instid1(VALU_DEP_1)
	v_lshrrev_b32_e32 v8, 31, v7
	v_add_co_u32 v6, vcc_lo, v6, v8
	v_add_co_ci_u32_e32 v7, vcc_lo, 0, v7, vcc_lo
	s_delay_alu instid0(VALU_DEP_1) | instskip(NEXT) | instid1(VALU_DEP_1)
	v_ashrrev_i64 v[6:7], 1, v[6:7]
	v_lshlrev_b64 v[8:9], 3, v[6:7]
	s_delay_alu instid0(VALU_DEP_1) | instskip(NEXT) | instid1(VALU_DEP_2)
	v_add_co_u32 v8, vcc_lo, s8, v8
	v_add_co_ci_u32_e32 v9, vcc_lo, s9, v9, vcc_lo
	global_load_b64 v[8:9], v[8:9], off
	s_waitcnt vmcnt(0)
	v_sub_co_u32 v8, vcc_lo, v8, s6
	v_subrev_co_ci_u32_e32 v9, vcc_lo, 0, v9, vcc_lo
	s_delay_alu instid0(VALU_DEP_1) | instskip(SKIP_2) | instid1(VALU_DEP_2)
	v_cmp_gt_i64_e32 vcc_lo, v[8:9], v[0:1]
	v_dual_cndmask_b32 v5, v5, v7 :: v_dual_cndmask_b32 v4, v4, v6
	v_dual_cndmask_b32 v3, v7, v3 :: v_dual_cndmask_b32 v2, v6, v2
	v_add_co_u32 v6, vcc_lo, v4, -1
	s_delay_alu instid0(VALU_DEP_3) | instskip(NEXT) | instid1(VALU_DEP_3)
	v_add_co_ci_u32_e32 v7, vcc_lo, -1, v5, vcc_lo
	v_cmp_ge_i64_e32 vcc_lo, v[2:3], v[4:5]
	s_delay_alu instid0(VALU_DEP_2) | instskip(NEXT) | instid1(VALU_DEP_1)
	v_cmp_eq_u64_e64 s0, v[2:3], v[6:7]
	s_or_b32 s0, vcc_lo, s0
	s_delay_alu instid0(SALU_CYCLE_1) | instskip(NEXT) | instid1(SALU_CYCLE_1)
	s_and_b32 s0, exec_lo, s0
	s_or_b32 s19, s0, s19
	s_delay_alu instid0(SALU_CYCLE_1)
	s_and_not1_b32 exec_lo, exec_lo, s19
	s_cbranch_execnz .LBB50_36
; %bb.37:                               ;   in Loop: Header=BB50_34 Depth=1
	s_set_inst_prefetch_distance 0x2
	s_or_b32 exec_lo, exec_lo, s19
.LBB50_38:                              ;   in Loop: Header=BB50_34 Depth=1
	s_delay_alu instid0(VALU_DEP_1) | instskip(SKIP_2) | instid1(VALU_DEP_2)
	v_lshlrev_b64 v[6:7], 3, v[4:5]
	v_lshlrev_b64 v[8:9], 2, v[0:1]
	s_mov_b32 s0, exec_lo
	v_add_co_u32 v6, vcc_lo, s8, v6
	s_delay_alu instid0(VALU_DEP_3) | instskip(NEXT) | instid1(VALU_DEP_3)
	v_add_co_ci_u32_e32 v7, vcc_lo, s9, v7, vcc_lo
	v_add_co_u32 v8, vcc_lo, s10, v8
	s_delay_alu instid0(VALU_DEP_4)
	v_add_co_ci_u32_e32 v9, vcc_lo, s11, v9, vcc_lo
	global_load_b64 v[6:7], v[6:7], off
	global_load_b32 v8, v[8:9], off
	s_waitcnt vmcnt(1)
	v_sub_co_u32 v6, vcc_lo, v6, s6
	v_subrev_co_ci_u32_e32 v7, vcc_lo, 0, v7, vcc_lo
	s_delay_alu instid0(VALU_DEP_1) | instskip(SKIP_2) | instid1(VALU_DEP_1)
	v_cmp_gt_i64_e32 vcc_lo, v[6:7], v[0:1]
	s_waitcnt vmcnt(0)
	v_subrev_nc_u32_e32 v6, s6, v8
	v_ashrrev_i32_e32 v7, 31, v6
	v_dual_cndmask_b32 v3, v5, v3 :: v_dual_cndmask_b32 v2, v4, v2
	s_delay_alu instid0(VALU_DEP_1)
	v_cmpx_ne_u64_e64 v[2:3], v[6:7]
	s_cbranch_execz .LBB50_33
; %bb.39:                               ;   in Loop: Header=BB50_34 Depth=1
	v_add_co_u32 v4, vcc_lo, s12, v0
	v_add_co_ci_u32_e32 v5, vcc_lo, s13, v1, vcc_lo
	v_add_co_u32 v2, vcc_lo, s14, v2
	v_add_co_ci_u32_e32 v3, vcc_lo, s15, v3, vcc_lo
	global_load_i8 v4, v[4:5], off
	global_load_i8 v5, v[2:3], off
	v_lshlrev_b64 v[2:3], 2, v[6:7]
	s_delay_alu instid0(VALU_DEP_1) | instskip(NEXT) | instid1(VALU_DEP_2)
	v_add_co_u32 v2, vcc_lo, s20, v2
	v_add_co_ci_u32_e32 v3, vcc_lo, s21, v3, vcc_lo
	s_waitcnt vmcnt(1)
	v_mul_lo_u32 v4, s7, v4
	s_waitcnt vmcnt(0)
	s_delay_alu instid0(VALU_DEP_1)
	v_mul_lo_u32 v4, v4, v5
	global_atomic_add_u32 v[2:3], v4, off
	s_branch .LBB50_33
.LBB50_40:
	s_nop 0
	s_sendmsg sendmsg(MSG_DEALLOC_VGPRS)
	s_endpgm
	.section	.rodata,"a",@progbits
	.p2align	6, 0x0
	.amdhsa_kernel _ZL33csrmvn_symm_large_adaptive_kernelIliaaiiEvbT_PKS0_N9rocsparse24const_host_device_scalarIT4_EES2_PKT0_PKT1_PKT2_S6_PT3_21rocsparse_index_base_b
		.amdhsa_group_segment_fixed_size 4096
		.amdhsa_private_segment_fixed_size 0
		.amdhsa_kernarg_size 88
		.amdhsa_user_sgpr_count 15
		.amdhsa_user_sgpr_dispatch_ptr 0
		.amdhsa_user_sgpr_queue_ptr 0
		.amdhsa_user_sgpr_kernarg_segment_ptr 1
		.amdhsa_user_sgpr_dispatch_id 0
		.amdhsa_user_sgpr_private_segment_size 0
		.amdhsa_wavefront_size32 1
		.amdhsa_uses_dynamic_stack 0
		.amdhsa_enable_private_segment 0
		.amdhsa_system_sgpr_workgroup_id_x 1
		.amdhsa_system_sgpr_workgroup_id_y 0
		.amdhsa_system_sgpr_workgroup_id_z 0
		.amdhsa_system_sgpr_workgroup_info 0
		.amdhsa_system_vgpr_workitem_id 0
		.amdhsa_next_free_vgpr 13
		.amdhsa_next_free_sgpr 36
		.amdhsa_reserve_vcc 1
		.amdhsa_float_round_mode_32 0
		.amdhsa_float_round_mode_16_64 0
		.amdhsa_float_denorm_mode_32 3
		.amdhsa_float_denorm_mode_16_64 3
		.amdhsa_dx10_clamp 1
		.amdhsa_ieee_mode 1
		.amdhsa_fp16_overflow 0
		.amdhsa_workgroup_processor_mode 1
		.amdhsa_memory_ordered 1
		.amdhsa_forward_progress 0
		.amdhsa_shared_vgpr_count 0
		.amdhsa_exception_fp_ieee_invalid_op 0
		.amdhsa_exception_fp_denorm_src 0
		.amdhsa_exception_fp_ieee_div_zero 0
		.amdhsa_exception_fp_ieee_overflow 0
		.amdhsa_exception_fp_ieee_underflow 0
		.amdhsa_exception_fp_ieee_inexact 0
		.amdhsa_exception_int_div_zero 0
	.end_amdhsa_kernel
	.section	.text._ZL33csrmvn_symm_large_adaptive_kernelIliaaiiEvbT_PKS0_N9rocsparse24const_host_device_scalarIT4_EES2_PKT0_PKT1_PKT2_S6_PT3_21rocsparse_index_base_b,"axG",@progbits,_ZL33csrmvn_symm_large_adaptive_kernelIliaaiiEvbT_PKS0_N9rocsparse24const_host_device_scalarIT4_EES2_PKT0_PKT1_PKT2_S6_PT3_21rocsparse_index_base_b,comdat
.Lfunc_end50:
	.size	_ZL33csrmvn_symm_large_adaptive_kernelIliaaiiEvbT_PKS0_N9rocsparse24const_host_device_scalarIT4_EES2_PKT0_PKT1_PKT2_S6_PT3_21rocsparse_index_base_b, .Lfunc_end50-_ZL33csrmvn_symm_large_adaptive_kernelIliaaiiEvbT_PKS0_N9rocsparse24const_host_device_scalarIT4_EES2_PKT0_PKT1_PKT2_S6_PT3_21rocsparse_index_base_b
                                        ; -- End function
	.section	.AMDGPU.csdata,"",@progbits
; Kernel info:
; codeLenInByte = 1868
; NumSgprs: 38
; NumVgprs: 13
; ScratchSize: 0
; MemoryBound: 0
; FloatMode: 240
; IeeeMode: 1
; LDSByteSize: 4096 bytes/workgroup (compile time only)
; SGPRBlocks: 4
; VGPRBlocks: 1
; NumSGPRsForWavesPerEU: 38
; NumVGPRsForWavesPerEU: 13
; Occupancy: 16
; WaveLimiterHint : 1
; COMPUTE_PGM_RSRC2:SCRATCH_EN: 0
; COMPUTE_PGM_RSRC2:USER_SGPR: 15
; COMPUTE_PGM_RSRC2:TRAP_HANDLER: 0
; COMPUTE_PGM_RSRC2:TGID_X_EN: 1
; COMPUTE_PGM_RSRC2:TGID_Y_EN: 0
; COMPUTE_PGM_RSRC2:TGID_Z_EN: 0
; COMPUTE_PGM_RSRC2:TIDIG_COMP_CNT: 0
	.section	.text._ZN9rocsparseL22csrmvn_adaptive_kernelIllaaiiEEvbT_PKS1_PjPKT0_NS_24const_host_device_scalarIT4_EES3_S7_PKT1_PKT2_SA_PT3_21rocsparse_index_base_b,"axG",@progbits,_ZN9rocsparseL22csrmvn_adaptive_kernelIllaaiiEEvbT_PKS1_PjPKT0_NS_24const_host_device_scalarIT4_EES3_S7_PKT1_PKT2_SA_PT3_21rocsparse_index_base_b,comdat
	.globl	_ZN9rocsparseL22csrmvn_adaptive_kernelIllaaiiEEvbT_PKS1_PjPKT0_NS_24const_host_device_scalarIT4_EES3_S7_PKT1_PKT2_SA_PT3_21rocsparse_index_base_b ; -- Begin function _ZN9rocsparseL22csrmvn_adaptive_kernelIllaaiiEEvbT_PKS1_PjPKT0_NS_24const_host_device_scalarIT4_EES3_S7_PKT1_PKT2_SA_PT3_21rocsparse_index_base_b
	.p2align	8
	.type	_ZN9rocsparseL22csrmvn_adaptive_kernelIllaaiiEEvbT_PKS1_PjPKT0_NS_24const_host_device_scalarIT4_EES3_S7_PKT1_PKT2_SA_PT3_21rocsparse_index_base_b,@function
_ZN9rocsparseL22csrmvn_adaptive_kernelIllaaiiEEvbT_PKS1_PjPKT0_NS_24const_host_device_scalarIT4_EES3_S7_PKT1_PKT2_SA_PT3_21rocsparse_index_base_b: ; @_ZN9rocsparseL22csrmvn_adaptive_kernelIllaaiiEEvbT_PKS1_PjPKT0_NS_24const_host_device_scalarIT4_EES3_S7_PKT1_PKT2_SA_PT3_21rocsparse_index_base_b
; %bb.0:
	s_clause 0x1
	s_load_b64 s[34:35], s[0:1], 0x60
	s_load_b64 s[4:5], s[0:1], 0x28
	s_mov_b32 s36, s15
	s_mov_b32 s7, -1
	s_waitcnt lgkmcnt(0)
	s_bitcmp1_b32 s35, 0
                                        ; implicit-def: $sgpr35
	s_cselect_b32 s2, -1, 0
	s_delay_alu instid0(SALU_CYCLE_1) | instskip(NEXT) | instid1(SALU_CYCLE_1)
	s_xor_b32 s6, s2, -1
	s_and_b32 vcc_lo, exec_lo, s6
	s_cbranch_vccnz .LBB51_4
; %bb.1:
	s_load_b64 s[2:3], s[0:1], 0x50
	s_and_not1_b32 vcc_lo, exec_lo, s7
	s_cbranch_vccz .LBB51_5
.LBB51_2:
	s_and_b32 vcc_lo, exec_lo, s6
	s_cbranch_vccz .LBB51_6
.LBB51_3:
	s_waitcnt lgkmcnt(0)
	s_load_b32 s33, s[2:3], 0x0
	s_cbranch_execz .LBB51_7
	s_branch .LBB51_8
.LBB51_4:
	s_load_b32 s35, s[4:5], 0x0
	s_load_b64 s[2:3], s[0:1], 0x50
	s_cbranch_execnz .LBB51_2
.LBB51_5:
	s_waitcnt lgkmcnt(0)
	s_mov_b32 s35, s4
	s_and_b32 vcc_lo, exec_lo, s6
	s_cbranch_vccnz .LBB51_3
.LBB51_6:
	s_waitcnt lgkmcnt(0)
                                        ; implicit-def: $sgpr33
.LBB51_7:
	s_waitcnt lgkmcnt(0)
	s_mov_b32 s33, s2
.LBB51_8:
	s_cmp_lg_u32 s35, 0
	s_cselect_b32 s2, -1, 0
	s_waitcnt lgkmcnt(0)
	s_cmp_lg_u32 s33, 1
	s_cselect_b32 s3, -1, 0
	s_delay_alu instid0(SALU_CYCLE_1) | instskip(NEXT) | instid1(SALU_CYCLE_1)
	s_or_b32 s2, s2, s3
	s_and_not1_b32 vcc_lo, exec_lo, s2
	s_cbranch_vccnz .LBB51_119
; %bb.9:
	s_clause 0x2
	s_load_b64 s[2:3], s[0:1], 0x10
	s_load_b64 s[6:7], s[0:1], 0x20
	;; [unrolled: 1-line block ×3, first 2 shown]
	s_ashr_i32 s37, s36, 31
	s_delay_alu instid0(SALU_CYCLE_1)
	s_lshl_b64 s[4:5], s[36:37], 3
	s_waitcnt lgkmcnt(0)
	s_add_u32 s2, s2, s4
	s_addc_u32 s3, s3, s5
	s_load_b128 s[20:23], s[2:3], 0x0
	s_load_b256 s[12:19], s[0:1], 0x30
	s_waitcnt lgkmcnt(0)
	s_sub_u32 s2, s22, s20
	s_subb_u32 s3, s23, s21
	s_add_u32 s4, s6, s4
	s_addc_u32 s5, s7, s5
	s_lshl_b64 s[6:7], s[20:21], 3
	s_delay_alu instid0(SALU_CYCLE_1) | instskip(SKIP_4) | instid1(VALU_DEP_1)
	s_add_u32 s30, s12, s6
	s_addc_u32 s31, s13, s7
	s_load_b64 s[26:27], s[4:5], 0x0
	s_load_b64 s[28:29], s[30:31], 0x0
	v_cmp_lt_i64_e64 s4, s[2:3], 2
	s_and_b32 vcc_lo, exec_lo, s4
	s_mov_b32 s4, -1
	s_cbranch_vccz .LBB51_75
; %bb.10:
	s_cmp_lg_u64 s[2:3], 1
	s_cselect_b32 s2, -1, 0
	s_waitcnt lgkmcnt(0)
	s_cmp_lg_u64 s[26:27], 0
	s_cselect_b32 s3, -1, 0
	s_delay_alu instid0(SALU_CYCLE_1) | instskip(NEXT) | instid1(SALU_CYCLE_1)
	s_or_b32 s2, s2, s3
	s_and_b32 vcc_lo, exec_lo, s2
	s_mov_b32 s2, -1
	s_cbranch_vccnz .LBB51_39
; %bb.11:
	v_cmp_le_i64_e64 s2, s[22:23], s[20:21]
	s_delay_alu instid0(VALU_DEP_1)
	s_and_b32 vcc_lo, exec_lo, s2
	s_cbranch_vccnz .LBB51_38
; %bb.12:
	v_sub_co_u32 v6, s2, v0, s34
	s_delay_alu instid0(VALU_DEP_1)
	v_sub_co_ci_u32_e64 v7, null, 0, 0, s2
	v_dual_mov_b32 v9, 0 :: v_dual_lshlrev_b32 v8, 2, v0
	v_cmp_gt_u32_e64 s2, 0x80, v0
	v_cmp_gt_u32_e64 s3, 64, v0
	;; [unrolled: 1-line block ×7, first 2 shown]
	s_cmp_lg_u32 s33, 0
	v_cmp_eq_u32_e64 s9, 0, v0
	s_cselect_b32 s11, -1, 0
	s_add_u32 s44, s12, 8
	s_addc_u32 s45, s13, 0
	s_mov_b64 s[40:41], s[28:29]
	s_mov_b64 s[38:39], s[20:21]
	s_branch .LBB51_15
.LBB51_13:                              ;   in Loop: Header=BB51_15 Depth=1
	s_lshl_b64 s[42:43], s[38:39], 2
	s_delay_alu instid0(SALU_CYCLE_1)
	s_add_u32 s42, s24, s42
	s_addc_u32 s43, s25, s43
	s_waitcnt lgkmcnt(0)
	global_store_b32 v9, v1, s[42:43]
.LBB51_14:                              ;   in Loop: Header=BB51_15 Depth=1
	s_or_b32 exec_lo, exec_lo, s10
	s_add_u32 s38, s38, 1
	s_addc_u32 s39, s39, 0
	s_delay_alu instid0(SALU_CYCLE_1) | instskip(NEXT) | instid1(VALU_DEP_1)
	v_cmp_ge_i64_e64 s10, s[38:39], s[22:23]
	s_and_b32 vcc_lo, exec_lo, s10
	s_cbranch_vccnz .LBB51_38
.LBB51_15:                              ; =>This Loop Header: Depth=1
                                        ;     Child Loop BB51_17 Depth 2
	s_lshl_b64 s[42:43], s[38:39], 3
	s_mov_b64 s[46:47], s[40:41]
	s_add_u32 s42, s44, s42
	s_addc_u32 s43, s45, s43
	v_add_co_u32 v1, vcc_lo, s46, v6
	s_load_b64 s[40:41], s[42:43], 0x0
	v_add_co_ci_u32_e32 v2, vcc_lo, s47, v7, vcc_lo
	v_mov_b32_e32 v3, 0
	s_mov_b32 s46, exec_lo
	s_waitcnt lgkmcnt(0)
	s_sub_u32 s42, s40, s34
	s_subb_u32 s43, s41, 0
	s_delay_alu instid0(SALU_CYCLE_1)
	v_cmpx_gt_i64_e64 s[42:43], v[1:2]
	s_cbranch_execz .LBB51_19
; %bb.16:                               ;   in Loop: Header=BB51_15 Depth=1
	v_lshlrev_b64 v[4:5], 3, v[1:2]
	v_mov_b32_e32 v3, 0
	s_mov_b32 s47, 0
	s_delay_alu instid0(VALU_DEP_2) | instskip(NEXT) | instid1(VALU_DEP_3)
	v_add_co_u32 v4, vcc_lo, s14, v4
	v_add_co_ci_u32_e32 v5, vcc_lo, s15, v5, vcc_lo
	s_set_inst_prefetch_distance 0x1
	.p2align	6
.LBB51_17:                              ;   Parent Loop BB51_15 Depth=1
                                        ; =>  This Inner Loop Header: Depth=2
	global_load_b64 v[10:11], v[4:5], off
	v_add_co_u32 v12, vcc_lo, s16, v1
	v_add_co_ci_u32_e32 v13, vcc_lo, s17, v2, vcc_lo
	global_load_i8 v12, v[12:13], off
	s_waitcnt vmcnt(1)
	v_sub_co_u32 v10, vcc_lo, v10, s34
	v_subrev_co_ci_u32_e32 v11, vcc_lo, 0, v11, vcc_lo
	s_delay_alu instid0(VALU_DEP_2) | instskip(NEXT) | instid1(VALU_DEP_2)
	v_add_co_u32 v10, vcc_lo, s18, v10
	v_add_co_ci_u32_e32 v11, vcc_lo, s19, v11, vcc_lo
	s_waitcnt vmcnt(0)
	v_mul_lo_u32 v12, s35, v12
	v_add_co_u32 v1, vcc_lo, 0x100, v1
	global_load_i8 v13, v[10:11], off
	v_add_co_ci_u32_e32 v2, vcc_lo, 0, v2, vcc_lo
	s_delay_alu instid0(VALU_DEP_1) | instskip(SKIP_4) | instid1(VALU_DEP_1)
	v_cmp_le_i64_e32 vcc_lo, s[42:43], v[1:2]
	s_or_b32 s47, vcc_lo, s47
	s_waitcnt vmcnt(0)
	v_mad_u64_u32 v[10:11], null, v12, v13, v[3:4]
	v_add_co_u32 v4, s10, 0x800, v4
	v_add_co_ci_u32_e64 v5, s10, 0, v5, s10
	s_delay_alu instid0(VALU_DEP_3)
	v_mov_b32_e32 v3, v10
	s_and_not1_b32 exec_lo, exec_lo, s47
	s_cbranch_execnz .LBB51_17
; %bb.18:                               ;   in Loop: Header=BB51_15 Depth=1
	s_set_inst_prefetch_distance 0x2
	s_or_b32 exec_lo, exec_lo, s47
.LBB51_19:                              ;   in Loop: Header=BB51_15 Depth=1
	s_delay_alu instid0(SALU_CYCLE_1)
	s_or_b32 exec_lo, exec_lo, s46
	ds_store_b32 v8, v3
	s_waitcnt lgkmcnt(0)
	s_waitcnt_vscnt null, 0x0
	s_barrier
	buffer_gl0_inv
	s_and_saveexec_b32 s10, s2
	s_cbranch_execz .LBB51_21
; %bb.20:                               ;   in Loop: Header=BB51_15 Depth=1
	ds_load_2addr_stride64_b32 v[1:2], v8 offset1:2
	s_waitcnt lgkmcnt(0)
	v_add_nc_u32_e32 v1, v2, v1
	ds_store_b32 v8, v1
.LBB51_21:                              ;   in Loop: Header=BB51_15 Depth=1
	s_or_b32 exec_lo, exec_lo, s10
	s_waitcnt lgkmcnt(0)
	s_barrier
	buffer_gl0_inv
	s_and_saveexec_b32 s10, s3
	s_cbranch_execz .LBB51_23
; %bb.22:                               ;   in Loop: Header=BB51_15 Depth=1
	ds_load_2addr_stride64_b32 v[1:2], v8 offset1:1
	s_waitcnt lgkmcnt(0)
	v_add_nc_u32_e32 v1, v2, v1
	ds_store_b32 v8, v1
.LBB51_23:                              ;   in Loop: Header=BB51_15 Depth=1
	s_or_b32 exec_lo, exec_lo, s10
	s_waitcnt lgkmcnt(0)
	s_barrier
	buffer_gl0_inv
	s_and_saveexec_b32 s10, s4
	s_cbranch_execz .LBB51_25
; %bb.24:                               ;   in Loop: Header=BB51_15 Depth=1
	ds_load_2addr_b32 v[1:2], v8 offset1:32
	s_waitcnt lgkmcnt(0)
	v_add_nc_u32_e32 v1, v2, v1
	ds_store_b32 v8, v1
.LBB51_25:                              ;   in Loop: Header=BB51_15 Depth=1
	s_or_b32 exec_lo, exec_lo, s10
	s_waitcnt lgkmcnt(0)
	s_barrier
	buffer_gl0_inv
	s_and_saveexec_b32 s10, s5
	s_cbranch_execz .LBB51_27
; %bb.26:                               ;   in Loop: Header=BB51_15 Depth=1
	ds_load_2addr_b32 v[1:2], v8 offset1:16
	s_waitcnt lgkmcnt(0)
	v_add_nc_u32_e32 v1, v2, v1
	ds_store_b32 v8, v1
.LBB51_27:                              ;   in Loop: Header=BB51_15 Depth=1
	;; [unrolled: 12-line block ×5, first 2 shown]
	s_or_b32 exec_lo, exec_lo, s10
	s_waitcnt lgkmcnt(0)
	s_barrier
	buffer_gl0_inv
	s_and_saveexec_b32 s10, s9
	s_cbranch_execz .LBB51_35
; %bb.34:                               ;   in Loop: Header=BB51_15 Depth=1
	ds_load_b64 v[1:2], v9
	s_waitcnt lgkmcnt(0)
	v_add_nc_u32_e32 v1, v2, v1
	ds_store_b32 v9, v1
.LBB51_35:                              ;   in Loop: Header=BB51_15 Depth=1
	s_or_b32 exec_lo, exec_lo, s10
	s_waitcnt lgkmcnt(0)
	s_barrier
	buffer_gl0_inv
	s_and_saveexec_b32 s10, s9
	s_cbranch_execz .LBB51_14
; %bb.36:                               ;   in Loop: Header=BB51_15 Depth=1
	ds_load_b32 v1, v9
	s_and_not1_b32 vcc_lo, exec_lo, s11
	s_cbranch_vccnz .LBB51_13
; %bb.37:                               ;   in Loop: Header=BB51_15 Depth=1
	s_lshl_b64 s[42:43], s[38:39], 2
	s_delay_alu instid0(SALU_CYCLE_1)
	s_add_u32 s42, s24, s42
	s_addc_u32 s43, s25, s43
	global_load_b32 v2, v9, s[42:43]
	s_waitcnt vmcnt(0)
	v_mul_lo_u32 v2, v2, s33
	s_waitcnt lgkmcnt(0)
	s_delay_alu instid0(VALU_DEP_1)
	v_add_nc_u32_e32 v1, v2, v1
	s_branch .LBB51_13
.LBB51_38:
	s_mov_b32 s2, 0
.LBB51_39:
	s_delay_alu instid0(SALU_CYCLE_1)
	s_and_not1_b32 vcc_lo, exec_lo, s2
	s_cbranch_vccnz .LBB51_74
; %bb.40:
	s_load_b64 s[6:7], s[0:1], 0x18
	s_sub_u32 s8, s36, s26
	s_subb_u32 s9, s37, s27
	s_lshl_b64 s[2:3], s[36:37], 2
	v_cmp_eq_u32_e32 vcc_lo, 0, v0
	v_mov_b32_e32 v1, 0
	s_waitcnt lgkmcnt(0)
	s_add_u32 s4, s6, s2
	s_addc_u32 s5, s7, s3
	s_cmp_eq_u64 s[26:27], 0
	s_load_b32 s36, s[4:5], 0x0
	s_cselect_b32 s2, -1, 0
	s_cmp_lg_u64 s[26:27], 0
	s_cselect_b32 s37, -1, 0
	s_and_b32 s2, vcc_lo, s2
	s_delay_alu instid0(SALU_CYCLE_1)
	s_and_saveexec_b32 s3, s2
	s_cbranch_execz .LBB51_44
; %bb.41:
	s_lshl_b64 s[38:39], s[20:21], 2
	s_mov_b32 s10, exec_lo
	s_add_u32 s38, s24, s38
	s_addc_u32 s39, s25, s39
	v_mbcnt_lo_u32_b32 v1, s10, 0
	s_load_b32 s11, s[38:39], 0x0
	s_add_i32 s38, s33, -1
	s_waitcnt vmcnt(0) expcnt(0) lgkmcnt(0)
	s_waitcnt_vscnt null, 0x0
	s_mul_i32 s11, s11, s38
	s_mov_b32 s38, exec_lo
	v_cmpx_eq_u32_e32 0, v1
	s_cbranch_execz .LBB51_43
; %bb.42:
	s_lshl_b64 s[40:41], s[8:9], 2
	s_delay_alu instid0(SALU_CYCLE_1) | instskip(SKIP_2) | instid1(SALU_CYCLE_1)
	s_add_u32 s40, s6, s40
	s_addc_u32 s41, s7, s41
	s_bcnt1_i32_b32 s2, s10
	s_and_b32 s2, s2, 1
	s_delay_alu instid0(SALU_CYCLE_1)
	v_dual_mov_b32 v1, 0 :: v_dual_mov_b32 v2, s2
	global_atomic_xor_b32 v1, v2, s[40:41]
.LBB51_43:
	s_or_b32 exec_lo, exec_lo, s38
	v_mov_b32_e32 v1, s11
.LBB51_44:
	s_or_b32 exec_lo, exec_lo, s3
	s_load_b64 s[10:11], s[30:31], 0x8
	s_mul_i32 s2, s27, 0xc00
	s_mul_hi_u32 s3, s26, 0xc00
	s_delay_alu instid0(SALU_CYCLE_1)
	s_add_i32 s3, s3, s2
	s_mul_i32 s2, s26, 0xc00
	s_sub_u32 s38, s28, s34
	s_subb_u32 s40, s29, 0
	s_add_u32 s39, s38, s2
	s_addc_u32 s3, s40, s3
	v_add_co_u32 v2, s2, s39, v0
	s_delay_alu instid0(VALU_DEP_1) | instskip(SKIP_4) | instid1(SALU_CYCLE_1)
	v_add_co_ci_u32_e64 v3, null, s3, 0, s2
	s_mov_b32 s38, exec_lo
	s_waitcnt lgkmcnt(0)
	s_sub_u32 s10, s10, s34
	s_subb_u32 s11, s11, 0
	v_cmpx_gt_i64_e64 s[10:11], v[2:3]
	s_cbranch_execz .LBB51_48
; %bb.45:
	v_lshlrev_b64 v[4:5], 3, v[2:3]
	s_add_u32 s40, s39, 0xc00
	s_addc_u32 s41, s3, 0
	s_mov_b32 s39, 0
	v_cmp_lt_i64_e64 s3, s[40:41], s[10:11]
	s_delay_alu instid0(VALU_DEP_2) | instskip(NEXT) | instid1(VALU_DEP_1)
	v_add_co_u32 v4, s2, s14, v4
	v_add_co_ci_u32_e64 v5, s2, s15, v5, s2
	s_delay_alu instid0(VALU_DEP_3)
	s_and_b32 s2, s3, exec_lo
	s_cselect_b32 s11, s41, s11
	s_cselect_b32 s10, s40, s10
	s_set_inst_prefetch_distance 0x1
	.p2align	6
.LBB51_46:                              ; =>This Inner Loop Header: Depth=1
	global_load_b64 v[6:7], v[4:5], off
	v_add_co_u32 v8, s2, s16, v2
	s_delay_alu instid0(VALU_DEP_1) | instskip(SKIP_1) | instid1(VALU_DEP_1)
	v_add_co_ci_u32_e64 v9, s2, s17, v3, s2
	v_add_co_u32 v4, s3, 0x800, v4
	v_add_co_ci_u32_e64 v5, s3, 0, v5, s3
	global_load_i8 v8, v[8:9], off
	s_waitcnt vmcnt(1)
	v_sub_co_u32 v6, s2, v6, s34
	s_delay_alu instid0(VALU_DEP_1) | instskip(NEXT) | instid1(VALU_DEP_2)
	v_subrev_co_ci_u32_e64 v7, s2, 0, v7, s2
	v_add_co_u32 v6, s2, s18, v6
	s_delay_alu instid0(VALU_DEP_1)
	v_add_co_ci_u32_e64 v7, s2, s19, v7, s2
	s_waitcnt vmcnt(0)
	v_mul_lo_u32 v8, s35, v8
	v_add_co_u32 v2, s2, 0x100, v2
	global_load_i8 v9, v[6:7], off
	v_add_co_ci_u32_e64 v3, s2, 0, v3, s2
	s_delay_alu instid0(VALU_DEP_1) | instskip(NEXT) | instid1(VALU_DEP_1)
	v_cmp_le_i64_e64 s2, s[10:11], v[2:3]
	s_or_b32 s39, s2, s39
	s_waitcnt vmcnt(0)
	v_mad_u64_u32 v[6:7], null, v8, v9, v[1:2]
	s_delay_alu instid0(VALU_DEP_1)
	v_mov_b32_e32 v1, v6
	s_and_not1_b32 exec_lo, exec_lo, s39
	s_cbranch_execnz .LBB51_46
; %bb.47:
	s_set_inst_prefetch_distance 0x2
	s_or_b32 exec_lo, exec_lo, s39
.LBB51_48:
	s_delay_alu instid0(SALU_CYCLE_1)
	s_or_b32 exec_lo, exec_lo, s38
	v_lshlrev_b32_e32 v2, 2, v0
	s_mov_b32 s3, exec_lo
	ds_store_b32 v2, v1
	s_waitcnt lgkmcnt(0)
	s_waitcnt_vscnt null, 0x0
	s_barrier
	buffer_gl0_inv
	v_cmpx_gt_u32_e32 0x80, v0
	s_cbranch_execz .LBB51_50
; %bb.49:
	ds_load_2addr_stride64_b32 v[3:4], v2 offset1:2
	s_waitcnt lgkmcnt(0)
	v_add_nc_u32_e32 v1, v4, v3
	ds_store_b32 v2, v1
.LBB51_50:
	s_or_b32 exec_lo, exec_lo, s3
	s_delay_alu instid0(SALU_CYCLE_1)
	s_mov_b32 s3, exec_lo
	s_waitcnt lgkmcnt(0)
	s_barrier
	buffer_gl0_inv
	v_cmpx_gt_u32_e32 64, v0
	s_cbranch_execz .LBB51_52
; %bb.51:
	ds_load_2addr_stride64_b32 v[3:4], v2 offset1:1
	s_waitcnt lgkmcnt(0)
	v_add_nc_u32_e32 v1, v4, v3
	ds_store_b32 v2, v1
.LBB51_52:
	s_or_b32 exec_lo, exec_lo, s3
	s_delay_alu instid0(SALU_CYCLE_1)
	s_mov_b32 s3, exec_lo
	s_waitcnt lgkmcnt(0)
	s_barrier
	buffer_gl0_inv
	v_cmpx_gt_u32_e32 32, v0
	s_cbranch_execz .LBB51_54
; %bb.53:
	ds_load_2addr_b32 v[3:4], v2 offset1:32
	s_waitcnt lgkmcnt(0)
	v_add_nc_u32_e32 v1, v4, v3
	ds_store_b32 v2, v1
.LBB51_54:
	s_or_b32 exec_lo, exec_lo, s3
	s_delay_alu instid0(SALU_CYCLE_1)
	s_mov_b32 s3, exec_lo
	s_waitcnt lgkmcnt(0)
	s_barrier
	buffer_gl0_inv
	v_cmpx_gt_u32_e32 16, v0
	s_cbranch_execz .LBB51_56
; %bb.55:
	ds_load_2addr_b32 v[3:4], v2 offset1:16
	s_waitcnt lgkmcnt(0)
	v_add_nc_u32_e32 v1, v4, v3
	ds_store_b32 v2, v1
.LBB51_56:
	;; [unrolled: 14-line block ×5, first 2 shown]
	s_or_b32 exec_lo, exec_lo, s3
	s_waitcnt lgkmcnt(0)
	s_barrier
	buffer_gl0_inv
	s_and_saveexec_b32 s2, vcc_lo
	s_cbranch_execz .LBB51_64
; %bb.63:
	v_mov_b32_e32 v3, 0
	ds_load_b64 v[1:2], v3
	s_waitcnt lgkmcnt(0)
	v_add_nc_u32_e32 v1, v2, v1
	ds_store_b32 v3, v1
.LBB51_64:
	s_or_b32 exec_lo, exec_lo, s2
	s_waitcnt lgkmcnt(0)
	s_barrier
	buffer_gl0_inv
	s_and_saveexec_b32 s10, vcc_lo
	s_cbranch_execz .LBB51_73
; %bb.65:
	s_and_not1_b32 vcc_lo, exec_lo, s37
	s_cbranch_vccnz .LBB51_71
; %bb.66:
	s_lshl_b64 s[2:3], s[8:9], 2
	v_mov_b32_e32 v1, 0
	s_add_u32 s2, s6, s2
	s_addc_u32 s3, s7, s3
	s_branch .LBB51_68
.LBB51_67:                              ;   in Loop: Header=BB51_68 Depth=1
	s_or_b32 exec_lo, exec_lo, s6
	s_waitcnt vmcnt(0)
	v_readfirstlane_b32 s6, v2
	s_delay_alu instid0(VALU_DEP_1)
	s_cmp_eq_u32 s6, s36
	s_cbranch_scc0 .LBB51_70
.LBB51_68:                              ; =>This Inner Loop Header: Depth=1
	v_mbcnt_lo_u32_b32 v2, exec_lo, 0
	s_delay_alu instid0(VALU_DEP_1)
	v_cmp_eq_u32_e32 vcc_lo, 0, v2
                                        ; implicit-def: $vgpr2
	s_and_saveexec_b32 s6, vcc_lo
	s_cbranch_execz .LBB51_67
; %bb.69:                               ;   in Loop: Header=BB51_68 Depth=1
	global_load_b32 v2, v1, s[2:3] glc
	s_branch .LBB51_67
.LBB51_70:
	v_mov_b32_e32 v1, 0
	global_load_b32 v2, v1, s[4:5]
	s_waitcnt vmcnt(0)
	v_xor_b32_e32 v2, 1, v2
	global_store_b32 v1, v2, s[4:5]
.LBB51_71:
	s_mov_b32 s2, exec_lo
	s_delay_alu instid0(SALU_CYCLE_1) | instskip(NEXT) | instid1(VALU_DEP_1)
	v_mbcnt_lo_u32_b32 v1, s2, 0
	v_cmp_eq_u32_e32 vcc_lo, 0, v1
	s_and_b32 s3, exec_lo, vcc_lo
	s_delay_alu instid0(SALU_CYCLE_1)
	s_mov_b32 exec_lo, s3
	s_cbranch_execz .LBB51_73
; %bb.72:
	v_mov_b32_e32 v1, 0
	s_lshl_b64 s[4:5], s[20:21], 2
	s_delay_alu instid0(SALU_CYCLE_1)
	s_add_u32 s4, s24, s4
	s_addc_u32 s5, s25, s5
	ds_load_b32 v2, v1
	s_bcnt1_i32_b32 s2, s2
	s_waitcnt lgkmcnt(0)
	v_mul_lo_u32 v2, v2, s2
	global_atomic_add_u32 v1, v2, s[4:5]
.LBB51_73:
	s_or_b32 exec_lo, exec_lo, s10
.LBB51_74:
	s_mov_b32 s4, 0
.LBB51_75:
	s_delay_alu instid0(SALU_CYCLE_1)
	s_and_not1_b32 vcc_lo, exec_lo, s4
	s_cbranch_vccnz .LBB51_119
; %bb.76:
	s_load_b64 s[0:1], s[0:1], 0x8
	v_sub_co_u32 v1, s2, v0, s34
	s_delay_alu instid0(VALU_DEP_1) | instskip(SKIP_1) | instid1(VALU_DEP_2)
	v_sub_co_ci_u32_e64 v2, null, 0, 0, s2
	s_waitcnt lgkmcnt(0)
	v_add_co_u32 v1, vcc_lo, s28, v1
	s_delay_alu instid0(VALU_DEP_2) | instskip(NEXT) | instid1(VALU_DEP_2)
	v_add_co_ci_u32_e32 v2, vcc_lo, s29, v2, vcc_lo
	v_add_co_u32 v3, vcc_lo, 0x300, v1
	s_delay_alu instid0(VALU_DEP_2) | instskip(NEXT) | instid1(VALU_DEP_1)
	v_add_co_ci_u32_e32 v4, vcc_lo, 0, v2, vcc_lo
	v_cmp_le_i64_e32 vcc_lo, s[0:1], v[3:4]
	s_and_saveexec_b32 s0, vcc_lo
	s_delay_alu instid0(SALU_CYCLE_1)
	s_xor_b32 s1, exec_lo, s0
	s_cbranch_execz .LBB51_81
; %bb.77:
	s_lshl_b64 s[2:3], s[22:23], 3
	s_mov_b32 s4, exec_lo
	s_add_u32 s2, s12, s2
	s_addc_u32 s3, s13, s3
	s_load_b64 s[2:3], s[2:3], 0x0
	s_waitcnt lgkmcnt(0)
	s_sub_u32 s2, s2, s34
	s_subb_u32 s3, s3, 0
	s_delay_alu instid0(SALU_CYCLE_1)
	v_cmpx_gt_i64_e64 s[2:3], v[1:2]
	s_cbranch_execz .LBB51_80
; %bb.78:
	v_lshlrev_b64 v[3:4], 3, v[1:2]
	v_lshlrev_b32_e32 v5, 2, v0
	s_mov_b32 s5, 0
	s_delay_alu instid0(VALU_DEP_2) | instskip(NEXT) | instid1(VALU_DEP_3)
	v_add_co_u32 v3, vcc_lo, s14, v3
	v_add_co_ci_u32_e32 v4, vcc_lo, s15, v4, vcc_lo
	s_set_inst_prefetch_distance 0x1
	.p2align	6
.LBB51_79:                              ; =>This Inner Loop Header: Depth=1
	global_load_b64 v[6:7], v[3:4], off
	v_add_co_u32 v8, vcc_lo, s16, v1
	v_add_co_ci_u32_e32 v9, vcc_lo, s17, v2, vcc_lo
	global_load_i8 v8, v[8:9], off
	s_waitcnt vmcnt(1)
	v_sub_co_u32 v6, vcc_lo, v6, s34
	v_subrev_co_ci_u32_e32 v7, vcc_lo, 0, v7, vcc_lo
	s_delay_alu instid0(VALU_DEP_2) | instskip(NEXT) | instid1(VALU_DEP_2)
	v_add_co_u32 v6, vcc_lo, s18, v6
	v_add_co_ci_u32_e32 v7, vcc_lo, s19, v7, vcc_lo
	v_add_co_u32 v1, vcc_lo, 0x100, v1
	v_add_co_ci_u32_e32 v2, vcc_lo, 0, v2, vcc_lo
	global_load_i8 v6, v[6:7], off
	s_waitcnt vmcnt(1)
	v_mul_lo_u32 v7, s35, v8
	v_add_co_u32 v3, vcc_lo, 0x800, v3
	v_cmp_le_i64_e64 s0, s[2:3], v[1:2]
	v_add_co_ci_u32_e32 v4, vcc_lo, 0, v4, vcc_lo
	s_delay_alu instid0(VALU_DEP_2) | instskip(SKIP_1) | instid1(VALU_DEP_4)
	s_or_b32 s5, s0, s5
	s_waitcnt vmcnt(0)
	v_mul_lo_u32 v6, v7, v6
	ds_store_b32 v5, v6
	v_add_nc_u32_e32 v5, 0x400, v5
	s_and_not1_b32 exec_lo, exec_lo, s5
	s_cbranch_execnz .LBB51_79
.LBB51_80:
	s_set_inst_prefetch_distance 0x2
	s_or_b32 exec_lo, exec_lo, s4
                                        ; implicit-def: $vgpr1
.LBB51_81:
	s_or_saveexec_b32 s0, s1
	v_lshlrev_b32_e32 v10, 2, v0
	s_xor_b32 exec_lo, exec_lo, s0
	s_cbranch_execz .LBB51_83
; %bb.82:
	v_lshlrev_b64 v[3:4], 3, v[1:2]
	s_delay_alu instid0(VALU_DEP_1) | instskip(NEXT) | instid1(VALU_DEP_2)
	v_add_co_u32 v3, vcc_lo, s14, v3
	v_add_co_ci_u32_e32 v4, vcc_lo, s15, v4, vcc_lo
	s_clause 0x1
	global_load_b64 v[5:6], v[3:4], off
	global_load_b64 v[7:8], v[3:4], off offset:2048
	v_add_co_u32 v3, vcc_lo, 0x1000, v3
	v_add_co_ci_u32_e32 v4, vcc_lo, 0, v4, vcc_lo
	v_add_co_u32 v1, vcc_lo, s16, v1
	s_clause 0x1
	global_load_b64 v[11:12], v[3:4], off
	global_load_b64 v[3:4], v[3:4], off offset:2048
	v_add_co_ci_u32_e32 v2, vcc_lo, s17, v2, vcc_lo
	s_clause 0x3
	global_load_i8 v9, v[1:2], off
	global_load_i8 v13, v[1:2], off offset:256
	global_load_i8 v14, v[1:2], off offset:512
	global_load_i8 v15, v[1:2], off offset:768
	s_waitcnt vmcnt(7)
	v_sub_co_u32 v1, vcc_lo, v5, s34
	v_subrev_co_ci_u32_e32 v2, vcc_lo, 0, v6, vcc_lo
	s_waitcnt vmcnt(6)
	v_sub_co_u32 v5, vcc_lo, v7, s34
	v_subrev_co_ci_u32_e32 v6, vcc_lo, 0, v8, vcc_lo
	v_add_co_u32 v1, vcc_lo, s18, v1
	v_add_co_ci_u32_e32 v2, vcc_lo, s19, v2, vcc_lo
	s_delay_alu instid0(VALU_DEP_4) | instskip(NEXT) | instid1(VALU_DEP_4)
	v_add_co_u32 v5, vcc_lo, s18, v5
	v_add_co_ci_u32_e32 v6, vcc_lo, s19, v6, vcc_lo
	s_waitcnt vmcnt(5)
	v_sub_co_u32 v7, vcc_lo, v11, s34
	v_subrev_co_ci_u32_e32 v8, vcc_lo, 0, v12, vcc_lo
	s_waitcnt vmcnt(4)
	v_sub_co_u32 v11, vcc_lo, v3, s34
	v_subrev_co_ci_u32_e32 v12, vcc_lo, 0, v4, vcc_lo
	v_add_co_u32 v3, vcc_lo, s18, v7
	v_add_co_ci_u32_e32 v4, vcc_lo, s19, v8, vcc_lo
	s_delay_alu instid0(VALU_DEP_4) | instskip(NEXT) | instid1(VALU_DEP_4)
	v_add_co_u32 v7, vcc_lo, s18, v11
	v_add_co_ci_u32_e32 v8, vcc_lo, s19, v12, vcc_lo
	s_clause 0x3
	global_load_i8 v1, v[1:2], off
	global_load_i8 v2, v[5:6], off
	;; [unrolled: 1-line block ×4, first 2 shown]
	s_waitcnt vmcnt(7)
	v_mul_lo_u32 v5, s35, v9
	s_waitcnt vmcnt(6)
	v_mul_lo_u32 v6, s35, v13
	;; [unrolled: 2-line block ×8, first 2 shown]
	ds_store_2addr_stride64_b32 v10, v1, v2 offset1:4
	ds_store_2addr_stride64_b32 v10, v3, v4 offset0:8 offset1:12
.LBB51_83:
	s_or_b32 exec_lo, exec_lo, s0
	v_cmp_lt_i64_e64 s0, s[26:27], 2
	s_waitcnt lgkmcnt(0)
	s_waitcnt_vscnt null, 0x0
	s_barrier
	buffer_gl0_inv
	s_and_b32 vcc_lo, exec_lo, s0
	s_mov_b32 s0, -1
	s_cbranch_vccz .LBB51_94
; %bb.84:
	v_add_co_u32 v5, s0, s20, v0
	s_delay_alu instid0(VALU_DEP_1) | instskip(SKIP_1) | instid1(VALU_DEP_1)
	v_add_co_ci_u32_e64 v6, null, s21, 0, s0
	s_mov_b32 s1, exec_lo
	v_cmpx_gt_i64_e64 s[22:23], v[5:6]
	s_cbranch_execz .LBB51_93
; %bb.85:
	s_cmp_lg_u32 s33, 0
	s_mov_b32 s3, 0
	s_cselect_b32 s2, -1, 0
	s_lshl_b32 s0, s28, 2
	s_delay_alu instid0(SALU_CYCLE_1)
	s_sub_i32 s4, 0, s0
	s_branch .LBB51_87
.LBB51_86:                              ;   in Loop: Header=BB51_87 Depth=1
	v_add_co_u32 v5, vcc_lo, 0x100, v5
	v_add_co_ci_u32_e32 v6, vcc_lo, 0, v6, vcc_lo
	s_delay_alu instid0(VALU_DEP_3) | instskip(NEXT) | instid1(VALU_DEP_1)
	v_add_co_u32 v1, s0, s24, v1
	v_add_co_ci_u32_e64 v2, s0, s25, v2, s0
	s_delay_alu instid0(VALU_DEP_3) | instskip(SKIP_2) | instid1(SALU_CYCLE_1)
	v_cmp_le_i64_e32 vcc_lo, s[22:23], v[5:6]
	global_store_b32 v[1:2], v7, off
	s_or_b32 s3, vcc_lo, s3
	s_and_not1_b32 exec_lo, exec_lo, s3
	s_cbranch_execz .LBB51_93
.LBB51_87:                              ; =>This Loop Header: Depth=1
                                        ;     Child Loop BB51_89 Depth 2
	v_lshlrev_b64 v[1:2], 3, v[5:6]
	v_mov_b32_e32 v7, 0
	s_mov_b32 s0, exec_lo
	s_delay_alu instid0(VALU_DEP_2) | instskip(NEXT) | instid1(VALU_DEP_3)
	v_add_co_u32 v1, vcc_lo, s12, v1
	v_add_co_ci_u32_e32 v2, vcc_lo, s13, v2, vcc_lo
	global_load_b128 v[1:4], v[1:2], off
	s_waitcnt vmcnt(0)
	v_cmpx_lt_i64_e64 v[1:2], v[3:4]
	s_cbranch_execz .LBB51_91
; %bb.88:                               ;   in Loop: Header=BB51_87 Depth=1
	v_sub_co_u32 v3, vcc_lo, v3, s28
	v_subrev_co_ci_u32_e32 v4, vcc_lo, s29, v4, vcc_lo
	v_sub_co_u32 v8, vcc_lo, v1, s28
	v_subrev_co_ci_u32_e32 v9, vcc_lo, s29, v2, vcc_lo
	v_lshl_add_u32 v1, v1, 2, s4
	v_mov_b32_e32 v7, 0
	s_mov_b32 s5, 0
.LBB51_89:                              ;   Parent Loop BB51_87 Depth=1
                                        ; =>  This Inner Loop Header: Depth=2
	ds_load_b32 v2, v1
	v_add_co_u32 v8, vcc_lo, v8, 1
	v_add_co_ci_u32_e32 v9, vcc_lo, 0, v9, vcc_lo
	v_add_nc_u32_e32 v1, 4, v1
	s_delay_alu instid0(VALU_DEP_2)
	v_cmp_ge_i64_e32 vcc_lo, v[8:9], v[3:4]
	s_or_b32 s5, vcc_lo, s5
	s_waitcnt lgkmcnt(0)
	v_add_nc_u32_e32 v7, v2, v7
	s_and_not1_b32 exec_lo, exec_lo, s5
	s_cbranch_execnz .LBB51_89
; %bb.90:                               ;   in Loop: Header=BB51_87 Depth=1
	s_or_b32 exec_lo, exec_lo, s5
.LBB51_91:                              ;   in Loop: Header=BB51_87 Depth=1
	s_delay_alu instid0(SALU_CYCLE_1)
	s_or_b32 exec_lo, exec_lo, s0
	v_lshlrev_b64 v[1:2], 2, v[5:6]
	s_and_b32 vcc_lo, exec_lo, s2
	s_cbranch_vccz .LBB51_86
; %bb.92:                               ;   in Loop: Header=BB51_87 Depth=1
	s_delay_alu instid0(VALU_DEP_1) | instskip(NEXT) | instid1(VALU_DEP_2)
	v_add_co_u32 v3, vcc_lo, s24, v1
	v_add_co_ci_u32_e32 v4, vcc_lo, s25, v2, vcc_lo
	global_load_b32 v8, v[3:4], off
	s_waitcnt vmcnt(0)
	v_mad_u64_u32 v[3:4], null, v8, s33, v[7:8]
	s_delay_alu instid0(VALU_DEP_1)
	v_mov_b32_e32 v7, v3
	s_branch .LBB51_86
.LBB51_93:
	s_or_b32 exec_lo, exec_lo, s1
	s_mov_b32 s0, 0
.LBB51_94:
	s_delay_alu instid0(SALU_CYCLE_1)
	s_and_not1_b32 vcc_lo, exec_lo, s0
	s_cbranch_vccnz .LBB51_119
; %bb.95:
	s_clz_i32_u32 s0, s26
	s_add_i32 s1, s26, -1
	s_min_u32 s0, s0, 32
	v_mov_b32_e32 v9, 0
	s_sub_i32 s0, 31, s0
	v_and_b32_e32 v3, s1, v0
	v_lshrrev_b32_e32 v5, s0, v0
	s_mov_b32 s1, exec_lo
	s_delay_alu instid0(VALU_DEP_1) | instskip(NEXT) | instid1(VALU_DEP_1)
	v_add_co_u32 v1, s0, s20, v5
	v_add_co_ci_u32_e64 v2, null, s21, 0, s0
	v_and_b32_e64 v4, s0, 0
	s_delay_alu instid0(VALU_DEP_2)
	v_cmp_le_i64_e64 s0, s[22:23], v[1:2]
	v_cmpx_gt_i64_e64 s[22:23], v[1:2]
	s_cbranch_execz .LBB51_101
; %bb.96:
	v_dual_mov_b32 v9, 0 :: v_dual_lshlrev_b32 v0, 3, v5
	s_mov_b32 s2, exec_lo
	global_load_b128 v[11:14], v0, s[30:31]
	v_sub_co_u32 v0, vcc_lo, v3, s28
	v_subrev_co_ci_u32_e32 v8, vcc_lo, s29, v4, vcc_lo
	s_waitcnt vmcnt(0)
	v_sub_co_u32 v5, vcc_lo, v13, s28
	v_subrev_co_ci_u32_e32 v6, vcc_lo, s29, v14, vcc_lo
	v_add_co_u32 v7, vcc_lo, v11, v0
	v_add_co_ci_u32_e32 v8, vcc_lo, v12, v8, vcc_lo
	s_delay_alu instid0(VALU_DEP_1)
	v_cmpx_lt_i64_e64 v[7:8], v[5:6]
	s_cbranch_execz .LBB51_100
; %bb.97:
	v_dual_mov_b32 v9, 0 :: v_dual_lshlrev_b32 v0, 2, v7
	s_lshl_b32 s4, s26, 2
	s_mov_b32 s3, 0
.LBB51_98:                              ; =>This Inner Loop Header: Depth=1
	ds_load_b32 v11, v0
	v_add_co_u32 v7, vcc_lo, v7, s26
	v_add_co_ci_u32_e32 v8, vcc_lo, s27, v8, vcc_lo
	v_add_nc_u32_e32 v0, s4, v0
	s_delay_alu instid0(VALU_DEP_2)
	v_cmp_ge_i64_e32 vcc_lo, v[7:8], v[5:6]
	s_or_b32 s3, vcc_lo, s3
	s_waitcnt lgkmcnt(0)
	v_add_nc_u32_e32 v9, v11, v9
	s_and_not1_b32 exec_lo, exec_lo, s3
	s_cbranch_execnz .LBB51_98
; %bb.99:
	s_or_b32 exec_lo, exec_lo, s3
.LBB51_100:
	s_delay_alu instid0(SALU_CYCLE_1)
	s_or_b32 exec_lo, exec_lo, s2
.LBB51_101:
	s_delay_alu instid0(SALU_CYCLE_1)
	s_or_b32 exec_lo, exec_lo, s1
	v_cmp_gt_i64_e64 s1, 0x81, s[26:27]
	s_waitcnt_vscnt null, 0x0
	s_barrier
	buffer_gl0_inv
	ds_store_b32 v10, v9
	s_waitcnt lgkmcnt(0)
	s_and_b32 vcc_lo, exec_lo, s1
	s_barrier
	buffer_gl0_inv
	s_cbranch_vccnz .LBB51_103
; %bb.102:
	ds_load_b32 v0, v10 offset:512
	s_waitcnt lgkmcnt(0)
	s_barrier
	buffer_gl0_inv
	v_add_nc_u32_e32 v9, v0, v9
	ds_store_b32 v10, v9
.LBB51_103:
	v_cmp_gt_i64_e64 s1, 0x41, s[26:27]
	s_waitcnt lgkmcnt(0)
	s_barrier
	buffer_gl0_inv
	s_and_b32 vcc_lo, exec_lo, s1
	s_cbranch_vccnz .LBB51_105
; %bb.104:
	ds_load_b32 v0, v10 offset:256
	s_waitcnt lgkmcnt(0)
	s_barrier
	buffer_gl0_inv
	v_add_nc_u32_e32 v9, v0, v9
	ds_store_b32 v10, v9
.LBB51_105:
	v_cmp_lt_i64_e64 s1, s[26:27], 33
	s_waitcnt lgkmcnt(0)
	s_barrier
	buffer_gl0_inv
	s_and_b32 vcc_lo, exec_lo, s1
	s_cbranch_vccnz .LBB51_107
; %bb.106:
	ds_load_b32 v0, v10 offset:128
	s_waitcnt lgkmcnt(0)
	s_barrier
	buffer_gl0_inv
	v_add_nc_u32_e32 v9, v0, v9
	ds_store_b32 v10, v9
.LBB51_107:
	v_cmp_lt_i64_e64 s1, s[26:27], 17
	;; [unrolled: 14-line block ×4, first 2 shown]
	s_waitcnt lgkmcnt(0)
	s_barrier
	buffer_gl0_inv
	s_and_b32 vcc_lo, exec_lo, s1
	s_cbranch_vccnz .LBB51_113
; %bb.112:
	ds_load_b32 v0, v10 offset:16
	s_waitcnt lgkmcnt(0)
	s_barrier
	buffer_gl0_inv
	v_add_nc_u32_e32 v9, v0, v9
	ds_store_b32 v10, v9
.LBB51_113:
	s_cmp_eq_u64 s[26:27], 2
	s_waitcnt lgkmcnt(0)
	s_barrier
	buffer_gl0_inv
	s_cbranch_scc1 .LBB51_115
; %bb.114:
	ds_load_b32 v0, v10 offset:8
	s_waitcnt lgkmcnt(0)
	s_barrier
	buffer_gl0_inv
	v_add_nc_u32_e32 v9, v0, v9
	ds_store_b32 v10, v9
.LBB51_115:
	s_waitcnt lgkmcnt(0)
	s_barrier
	buffer_gl0_inv
	ds_load_b32 v0, v10 offset:4
	v_cmp_eq_u64_e32 vcc_lo, 0, v[3:4]
	s_xor_b32 s0, s0, -1
	s_waitcnt lgkmcnt(0)
	s_barrier
	buffer_gl0_inv
	s_and_b32 s0, vcc_lo, s0
	v_add_nc_u32_e32 v0, v0, v9
	ds_store_b32 v10, v0
	s_and_saveexec_b32 s1, s0
	s_cbranch_execz .LBB51_119
; %bb.116:
	v_lshlrev_b64 v[1:2], 2, v[1:2]
	s_cmp_eq_u32 s33, 0
	s_cbranch_scc1 .LBB51_118
; %bb.117:
	s_delay_alu instid0(VALU_DEP_1) | instskip(NEXT) | instid1(VALU_DEP_2)
	v_add_co_u32 v3, vcc_lo, s24, v1
	v_add_co_ci_u32_e32 v4, vcc_lo, s25, v2, vcc_lo
	global_load_b32 v5, v[3:4], off
	s_waitcnt vmcnt(0)
	v_mad_u64_u32 v[3:4], null, v5, s33, v[0:1]
	s_delay_alu instid0(VALU_DEP_1)
	v_mov_b32_e32 v0, v3
.LBB51_118:
	s_delay_alu instid0(VALU_DEP_1) | instskip(NEXT) | instid1(VALU_DEP_2)
	v_add_co_u32 v1, vcc_lo, s24, v1
	v_add_co_ci_u32_e32 v2, vcc_lo, s25, v2, vcc_lo
	global_store_b32 v[1:2], v0, off
.LBB51_119:
	s_nop 0
	s_sendmsg sendmsg(MSG_DEALLOC_VGPRS)
	s_endpgm
	.section	.rodata,"a",@progbits
	.p2align	6, 0x0
	.amdhsa_kernel _ZN9rocsparseL22csrmvn_adaptive_kernelIllaaiiEEvbT_PKS1_PjPKT0_NS_24const_host_device_scalarIT4_EES3_S7_PKT1_PKT2_SA_PT3_21rocsparse_index_base_b
		.amdhsa_group_segment_fixed_size 4096
		.amdhsa_private_segment_fixed_size 0
		.amdhsa_kernarg_size 104
		.amdhsa_user_sgpr_count 15
		.amdhsa_user_sgpr_dispatch_ptr 0
		.amdhsa_user_sgpr_queue_ptr 0
		.amdhsa_user_sgpr_kernarg_segment_ptr 1
		.amdhsa_user_sgpr_dispatch_id 0
		.amdhsa_user_sgpr_private_segment_size 0
		.amdhsa_wavefront_size32 1
		.amdhsa_uses_dynamic_stack 0
		.amdhsa_enable_private_segment 0
		.amdhsa_system_sgpr_workgroup_id_x 1
		.amdhsa_system_sgpr_workgroup_id_y 0
		.amdhsa_system_sgpr_workgroup_id_z 0
		.amdhsa_system_sgpr_workgroup_info 0
		.amdhsa_system_vgpr_workitem_id 0
		.amdhsa_next_free_vgpr 16
		.amdhsa_next_free_sgpr 48
		.amdhsa_reserve_vcc 1
		.amdhsa_float_round_mode_32 0
		.amdhsa_float_round_mode_16_64 0
		.amdhsa_float_denorm_mode_32 3
		.amdhsa_float_denorm_mode_16_64 3
		.amdhsa_dx10_clamp 1
		.amdhsa_ieee_mode 1
		.amdhsa_fp16_overflow 0
		.amdhsa_workgroup_processor_mode 1
		.amdhsa_memory_ordered 1
		.amdhsa_forward_progress 0
		.amdhsa_shared_vgpr_count 0
		.amdhsa_exception_fp_ieee_invalid_op 0
		.amdhsa_exception_fp_denorm_src 0
		.amdhsa_exception_fp_ieee_div_zero 0
		.amdhsa_exception_fp_ieee_overflow 0
		.amdhsa_exception_fp_ieee_underflow 0
		.amdhsa_exception_fp_ieee_inexact 0
		.amdhsa_exception_int_div_zero 0
	.end_amdhsa_kernel
	.section	.text._ZN9rocsparseL22csrmvn_adaptive_kernelIllaaiiEEvbT_PKS1_PjPKT0_NS_24const_host_device_scalarIT4_EES3_S7_PKT1_PKT2_SA_PT3_21rocsparse_index_base_b,"axG",@progbits,_ZN9rocsparseL22csrmvn_adaptive_kernelIllaaiiEEvbT_PKS1_PjPKT0_NS_24const_host_device_scalarIT4_EES3_S7_PKT1_PKT2_SA_PT3_21rocsparse_index_base_b,comdat
.Lfunc_end51:
	.size	_ZN9rocsparseL22csrmvn_adaptive_kernelIllaaiiEEvbT_PKS1_PjPKT0_NS_24const_host_device_scalarIT4_EES3_S7_PKT1_PKT2_SA_PT3_21rocsparse_index_base_b, .Lfunc_end51-_ZN9rocsparseL22csrmvn_adaptive_kernelIllaaiiEEvbT_PKS1_PjPKT0_NS_24const_host_device_scalarIT4_EES3_S7_PKT1_PKT2_SA_PT3_21rocsparse_index_base_b
                                        ; -- End function
	.section	.AMDGPU.csdata,"",@progbits
; Kernel info:
; codeLenInByte = 4788
; NumSgprs: 50
; NumVgprs: 16
; ScratchSize: 0
; MemoryBound: 0
; FloatMode: 240
; IeeeMode: 1
; LDSByteSize: 4096 bytes/workgroup (compile time only)
; SGPRBlocks: 6
; VGPRBlocks: 1
; NumSGPRsForWavesPerEU: 50
; NumVGPRsForWavesPerEU: 16
; Occupancy: 16
; WaveLimiterHint : 1
; COMPUTE_PGM_RSRC2:SCRATCH_EN: 0
; COMPUTE_PGM_RSRC2:USER_SGPR: 15
; COMPUTE_PGM_RSRC2:TRAP_HANDLER: 0
; COMPUTE_PGM_RSRC2:TGID_X_EN: 1
; COMPUTE_PGM_RSRC2:TGID_Y_EN: 0
; COMPUTE_PGM_RSRC2:TGID_Z_EN: 0
; COMPUTE_PGM_RSRC2:TIDIG_COMP_CNT: 0
	.section	.text._ZN9rocsparseL22partial_scale_y_kernelIliiEEvT_S1_S1_NS_24const_host_device_scalarIT1_EEPT0_b,"axG",@progbits,_ZN9rocsparseL22partial_scale_y_kernelIliiEEvT_S1_S1_NS_24const_host_device_scalarIT1_EEPT0_b,comdat
	.globl	_ZN9rocsparseL22partial_scale_y_kernelIliiEEvT_S1_S1_NS_24const_host_device_scalarIT1_EEPT0_b ; -- Begin function _ZN9rocsparseL22partial_scale_y_kernelIliiEEvT_S1_S1_NS_24const_host_device_scalarIT1_EEPT0_b
	.p2align	8
	.type	_ZN9rocsparseL22partial_scale_y_kernelIliiEEvT_S1_S1_NS_24const_host_device_scalarIT1_EEPT0_b,@function
_ZN9rocsparseL22partial_scale_y_kernelIliiEEvT_S1_S1_NS_24const_host_device_scalarIT1_EEPT0_b: ; @_ZN9rocsparseL22partial_scale_y_kernelIliiEEvT_S1_S1_NS_24const_host_device_scalarIT1_EEPT0_b
; %bb.0:
	s_clause 0x1
	s_load_b32 s2, s[0:1], 0x28
	s_load_b256 s[4:11], s[0:1], 0x0
	s_mov_b32 s3, 0
	s_waitcnt lgkmcnt(0)
	s_bitcmp0_b32 s2, 0
	s_cbranch_scc0 .LBB52_2
; %bb.1:
	s_load_b32 s2, s[10:11], 0x0
	s_and_not1_b32 vcc_lo, exec_lo, s3
	s_cbranch_vccz .LBB52_3
	s_branch .LBB52_4
.LBB52_2:
                                        ; implicit-def: $sgpr2
.LBB52_3:
	s_waitcnt lgkmcnt(0)
	s_mov_b32 s2, s10
.LBB52_4:
	s_waitcnt lgkmcnt(0)
	s_cmp_eq_u32 s2, 1
	s_cbranch_scc1 .LBB52_14
; %bb.5:
	v_lshl_or_b32 v0, s15, 8, v0
	v_mov_b32_e32 v1, 0
	s_add_u32 s3, s6, s4
	s_addc_u32 s5, s7, s5
	s_sub_u32 s4, s3, s8
	s_subb_u32 s5, s5, s9
	s_mov_b32 s3, exec_lo
	v_cmpx_gt_i64_e64 s[4:5], v[0:1]
	s_cbranch_execz .LBB52_14
; %bb.6:
	s_load_b64 s[0:1], s[0:1], 0x20
	s_cmp_lg_u32 s2, 0
	s_mov_b32 s4, exec_lo
	s_cselect_b32 s3, -1, 0
	v_cmpx_le_i64_e64 s[6:7], v[0:1]
	s_xor_b32 s4, exec_lo, s4
	s_cbranch_execz .LBB52_10
; %bb.7:
	v_sub_co_u32 v0, s5, v0, s6
	s_delay_alu instid0(VALU_DEP_1) | instskip(SKIP_3) | instid1(VALU_DEP_1)
	v_sub_co_ci_u32_e64 v1, null, 0, s7, s5
	s_lshl_b64 s[6:7], s[8:9], 2
	s_waitcnt lgkmcnt(0)
	s_add_u32 s5, s6, s0
	v_lshlrev_b64 v[0:1], 2, v[0:1]
	s_addc_u32 s6, s7, s1
	s_delay_alu instid0(VALU_DEP_1) | instskip(NEXT) | instid1(VALU_DEP_2)
	v_add_co_u32 v2, vcc_lo, s5, v0
	v_add_co_ci_u32_e32 v3, vcc_lo, s6, v1, vcc_lo
	s_and_b32 vcc_lo, exec_lo, s3
	s_cbranch_vccz .LBB52_15
; %bb.8:
	global_load_b32 v0, v[2:3], off
	s_waitcnt vmcnt(0)
	v_mul_lo_u32 v0, v0, s2
	global_store_b32 v[2:3], v0, off
                                        ; implicit-def: $vgpr0_vgpr1
	s_cbranch_execnz .LBB52_10
.LBB52_9:
	v_mov_b32_e32 v0, 0
	global_store_b32 v[2:3], v0, off
                                        ; implicit-def: $vgpr0_vgpr1
.LBB52_10:
	s_and_not1_saveexec_b32 s4, s4
	s_cbranch_execz .LBB52_14
; %bb.11:
	v_lshlrev_b64 v[0:1], 2, v[0:1]
	s_waitcnt lgkmcnt(0)
	s_delay_alu instid0(VALU_DEP_1) | instskip(NEXT) | instid1(VALU_DEP_2)
	v_add_co_u32 v0, vcc_lo, s0, v0
	v_add_co_ci_u32_e32 v1, vcc_lo, s1, v1, vcc_lo
	s_and_b32 vcc_lo, exec_lo, s3
	s_cbranch_vccz .LBB52_16
; %bb.12:
	global_load_b32 v2, v[0:1], off
	s_waitcnt vmcnt(0)
	v_mul_lo_u32 v2, v2, s2
	global_store_b32 v[0:1], v2, off
	s_cbranch_execnz .LBB52_14
.LBB52_13:
	v_mov_b32_e32 v2, 0
	global_store_b32 v[0:1], v2, off
.LBB52_14:
	s_nop 0
	s_sendmsg sendmsg(MSG_DEALLOC_VGPRS)
	s_endpgm
.LBB52_15:
                                        ; implicit-def: $vgpr0_vgpr1
	s_branch .LBB52_9
.LBB52_16:
	s_branch .LBB52_13
	.section	.rodata,"a",@progbits
	.p2align	6, 0x0
	.amdhsa_kernel _ZN9rocsparseL22partial_scale_y_kernelIliiEEvT_S1_S1_NS_24const_host_device_scalarIT1_EEPT0_b
		.amdhsa_group_segment_fixed_size 0
		.amdhsa_private_segment_fixed_size 0
		.amdhsa_kernarg_size 44
		.amdhsa_user_sgpr_count 15
		.amdhsa_user_sgpr_dispatch_ptr 0
		.amdhsa_user_sgpr_queue_ptr 0
		.amdhsa_user_sgpr_kernarg_segment_ptr 1
		.amdhsa_user_sgpr_dispatch_id 0
		.amdhsa_user_sgpr_private_segment_size 0
		.amdhsa_wavefront_size32 1
		.amdhsa_uses_dynamic_stack 0
		.amdhsa_enable_private_segment 0
		.amdhsa_system_sgpr_workgroup_id_x 1
		.amdhsa_system_sgpr_workgroup_id_y 0
		.amdhsa_system_sgpr_workgroup_id_z 0
		.amdhsa_system_sgpr_workgroup_info 0
		.amdhsa_system_vgpr_workitem_id 0
		.amdhsa_next_free_vgpr 4
		.amdhsa_next_free_sgpr 16
		.amdhsa_reserve_vcc 1
		.amdhsa_float_round_mode_32 0
		.amdhsa_float_round_mode_16_64 0
		.amdhsa_float_denorm_mode_32 3
		.amdhsa_float_denorm_mode_16_64 3
		.amdhsa_dx10_clamp 1
		.amdhsa_ieee_mode 1
		.amdhsa_fp16_overflow 0
		.amdhsa_workgroup_processor_mode 1
		.amdhsa_memory_ordered 1
		.amdhsa_forward_progress 0
		.amdhsa_shared_vgpr_count 0
		.amdhsa_exception_fp_ieee_invalid_op 0
		.amdhsa_exception_fp_denorm_src 0
		.amdhsa_exception_fp_ieee_div_zero 0
		.amdhsa_exception_fp_ieee_overflow 0
		.amdhsa_exception_fp_ieee_underflow 0
		.amdhsa_exception_fp_ieee_inexact 0
		.amdhsa_exception_int_div_zero 0
	.end_amdhsa_kernel
	.section	.text._ZN9rocsparseL22partial_scale_y_kernelIliiEEvT_S1_S1_NS_24const_host_device_scalarIT1_EEPT0_b,"axG",@progbits,_ZN9rocsparseL22partial_scale_y_kernelIliiEEvT_S1_S1_NS_24const_host_device_scalarIT1_EEPT0_b,comdat
.Lfunc_end52:
	.size	_ZN9rocsparseL22partial_scale_y_kernelIliiEEvT_S1_S1_NS_24const_host_device_scalarIT1_EEPT0_b, .Lfunc_end52-_ZN9rocsparseL22partial_scale_y_kernelIliiEEvT_S1_S1_NS_24const_host_device_scalarIT1_EEPT0_b
                                        ; -- End function
	.section	.AMDGPU.csdata,"",@progbits
; Kernel info:
; codeLenInByte = 376
; NumSgprs: 18
; NumVgprs: 4
; ScratchSize: 0
; MemoryBound: 0
; FloatMode: 240
; IeeeMode: 1
; LDSByteSize: 0 bytes/workgroup (compile time only)
; SGPRBlocks: 2
; VGPRBlocks: 0
; NumSGPRsForWavesPerEU: 18
; NumVGPRsForWavesPerEU: 4
; Occupancy: 16
; WaveLimiterHint : 0
; COMPUTE_PGM_RSRC2:SCRATCH_EN: 0
; COMPUTE_PGM_RSRC2:USER_SGPR: 15
; COMPUTE_PGM_RSRC2:TRAP_HANDLER: 0
; COMPUTE_PGM_RSRC2:TGID_X_EN: 1
; COMPUTE_PGM_RSRC2:TGID_Y_EN: 0
; COMPUTE_PGM_RSRC2:TGID_Z_EN: 0
; COMPUTE_PGM_RSRC2:TIDIG_COMP_CNT: 0
	.section	.text._ZN9rocsparseL27csrmvn_symm_adaptive_kernelIllaaiiEEvbT_S1_PKS1_NS_24const_host_device_scalarIT4_EES3_PKT0_PKT1_PKT2_S6_PT3_21rocsparse_index_base_b,"axG",@progbits,_ZN9rocsparseL27csrmvn_symm_adaptive_kernelIllaaiiEEvbT_S1_PKS1_NS_24const_host_device_scalarIT4_EES3_PKT0_PKT1_PKT2_S6_PT3_21rocsparse_index_base_b,comdat
	.globl	_ZN9rocsparseL27csrmvn_symm_adaptive_kernelIllaaiiEEvbT_S1_PKS1_NS_24const_host_device_scalarIT4_EES3_PKT0_PKT1_PKT2_S6_PT3_21rocsparse_index_base_b ; -- Begin function _ZN9rocsparseL27csrmvn_symm_adaptive_kernelIllaaiiEEvbT_S1_PKS1_NS_24const_host_device_scalarIT4_EES3_PKT0_PKT1_PKT2_S6_PT3_21rocsparse_index_base_b
	.p2align	8
	.type	_ZN9rocsparseL27csrmvn_symm_adaptive_kernelIllaaiiEEvbT_S1_PKS1_NS_24const_host_device_scalarIT4_EES3_PKT0_PKT1_PKT2_S6_PT3_21rocsparse_index_base_b,@function
_ZN9rocsparseL27csrmvn_symm_adaptive_kernelIllaaiiEEvbT_S1_PKS1_NS_24const_host_device_scalarIT4_EES3_PKT0_PKT1_PKT2_S6_PT3_21rocsparse_index_base_b: ; @_ZN9rocsparseL27csrmvn_symm_adaptive_kernelIllaaiiEEvbT_S1_PKS1_NS_24const_host_device_scalarIT4_EES3_PKT0_PKT1_PKT2_S6_PT3_21rocsparse_index_base_b
; %bb.0:
	s_clause 0x1
	s_load_b64 s[24:25], s[0:1], 0x58
	s_load_b64 s[6:7], s[0:1], 0x20
	s_mov_b32 s2, s15
	s_mov_b32 s8, -1
	s_waitcnt lgkmcnt(0)
	s_bitcmp1_b32 s25, 0
                                        ; implicit-def: $sgpr25
	s_cselect_b32 s3, -1, 0
	s_delay_alu instid0(SALU_CYCLE_1) | instskip(NEXT) | instid1(SALU_CYCLE_1)
	s_xor_b32 s3, s3, -1
	s_and_b32 vcc_lo, exec_lo, s3
	s_cbranch_vccnz .LBB53_4
; %bb.1:
	s_load_b64 s[4:5], s[0:1], 0x48
	s_and_not1_b32 vcc_lo, exec_lo, s8
	s_cbranch_vccz .LBB53_5
.LBB53_2:
	s_and_b32 vcc_lo, exec_lo, s3
	s_cbranch_vccz .LBB53_6
.LBB53_3:
	s_waitcnt lgkmcnt(0)
	s_load_b32 s3, s[4:5], 0x0
	s_cbranch_execz .LBB53_7
	s_branch .LBB53_8
.LBB53_4:
	s_load_b32 s25, s[6:7], 0x0
	s_load_b64 s[4:5], s[0:1], 0x48
	s_cbranch_execnz .LBB53_2
.LBB53_5:
	s_waitcnt lgkmcnt(0)
	s_mov_b32 s25, s6
	s_and_b32 vcc_lo, exec_lo, s3
	s_cbranch_vccnz .LBB53_3
.LBB53_6:
	s_waitcnt lgkmcnt(0)
                                        ; implicit-def: $sgpr3
.LBB53_7:
	s_waitcnt lgkmcnt(0)
	s_mov_b32 s3, s4
.LBB53_8:
	s_cmp_lg_u32 s25, 0
	s_cselect_b32 s4, -1, 0
	s_waitcnt lgkmcnt(0)
	s_cmp_lg_u32 s3, 1
	s_cselect_b32 s3, -1, 0
	s_delay_alu instid0(SALU_CYCLE_1) | instskip(NEXT) | instid1(SALU_CYCLE_1)
	s_or_b32 s3, s4, s3
	s_and_not1_b32 vcc_lo, exec_lo, s3
	s_cbranch_vccnz .LBB53_153
; %bb.9:
	s_load_b64 s[4:5], s[0:1], 0x18
	s_ashr_i32 s3, s2, 31
	v_dual_mov_b32 v1, 0 :: v_dual_lshlrev_b32 v14, 2, v0
	s_lshl_b64 s[2:3], s[2:3], 3
	ds_store_2addr_stride64_b32 v14, v1, v1 offset1:4
	ds_store_2addr_stride64_b32 v14, v1, v1 offset0:8 offset1:12
	s_waitcnt lgkmcnt(0)
	s_barrier
	buffer_gl0_inv
	s_add_u32 s2, s4, s2
	s_addc_u32 s3, s5, s3
	s_load_b128 s[16:19], s[2:3], 0x0
	s_clause 0x1
	s_load_b256 s[8:15], s[0:1], 0x28
	s_load_b64 s[20:21], s[0:1], 0x50
	s_waitcnt lgkmcnt(0)
	s_sub_u32 s22, s18, s16
	s_subb_u32 s23, s19, s17
	s_delay_alu instid0(SALU_CYCLE_1) | instskip(NEXT) | instid1(VALU_DEP_1)
	v_cmp_gt_i64_e64 s2, s[22:23], 2
	s_and_b32 vcc_lo, exec_lo, s2
	s_mov_b32 s2, -1
	s_cbranch_vccnz .LBB53_42
; %bb.10:
	v_cmp_gt_i64_e64 s2, s[18:19], s[16:17]
	v_sub_co_u32 v5, s3, v0, s24
	s_delay_alu instid0(VALU_DEP_1) | instskip(NEXT) | instid1(VALU_DEP_3)
	v_sub_co_ci_u32_e64 v6, null, 0, 0, s3
	s_and_b32 vcc_lo, exec_lo, s2
	s_mov_b32 s2, 0
	s_cbranch_vccnz .LBB53_12
; %bb.11:
	s_lshl_b64 s[4:5], s[16:17], 3
	s_delay_alu instid0(SALU_CYCLE_1)
	s_add_u32 s4, s8, s4
	s_addc_u32 s5, s9, s5
	s_load_b64 s[26:27], s[4:5], 0x0
	s_and_not1_b32 vcc_lo, exec_lo, s2
	s_cbranch_vccz .LBB53_13
	s_branch .LBB53_32
.LBB53_12:
                                        ; implicit-def: $sgpr26_sgpr27
.LBB53_13:
	s_lshl_b64 s[2:3], s[16:17], 3
	v_cmp_gt_u32_e64 s4, 16, v0
	s_add_u32 s2, s8, s2
	s_addc_u32 s3, s9, s3
	v_cmp_gt_u32_e64 s5, 4, v0
	s_waitcnt lgkmcnt(0)
	s_load_b64 s[26:27], s[2:3], 0x0
	v_cmp_gt_u32_e64 s2, 0x100, v0
	v_cmp_gt_u32_e64 s3, 64, v0
	v_cmp_eq_u32_e64 s6, 0, v0
	v_mov_b32_e32 v7, 0
	s_add_u32 s33, s8, 8
	s_addc_u32 s36, s9, 0
	s_mov_b64 s[28:29], s[16:17]
	s_waitcnt lgkmcnt(0)
	s_mov_b64 s[30:31], s[26:27]
	s_branch .LBB53_15
.LBB53_14:                              ;   in Loop: Header=BB53_15 Depth=1
	s_or_b32 exec_lo, exec_lo, s7
	s_add_u32 s28, s28, 1
	s_addc_u32 s29, s29, 0
	s_delay_alu instid0(SALU_CYCLE_1) | instskip(NEXT) | instid1(VALU_DEP_1)
	v_cmp_ge_i64_e64 s7, s[28:29], s[18:19]
	s_and_b32 vcc_lo, exec_lo, s7
	s_cbranch_vccnz .LBB53_32
.LBB53_15:                              ; =>This Loop Header: Depth=1
                                        ;     Child Loop BB53_17 Depth 2
	s_lshl_b64 s[34:35], s[28:29], 3
	s_mov_b64 s[38:39], s[30:31]
	s_add_u32 s34, s33, s34
	s_addc_u32 s35, s36, s35
	v_add_co_u32 v1, vcc_lo, s38, v5
	s_load_b64 s[30:31], s[34:35], 0x0
	v_add_co_ci_u32_e32 v2, vcc_lo, s39, v6, vcc_lo
	v_mov_b32_e32 v8, 0
	s_mov_b32 s37, exec_lo
	s_waitcnt lgkmcnt(0)
	s_sub_u32 s34, s30, s24
	s_subb_u32 s35, s31, 0
	s_delay_alu instid0(SALU_CYCLE_1)
	v_cmpx_gt_i64_e64 s[34:35], v[1:2]
	s_cbranch_execz .LBB53_19
; %bb.16:                               ;   in Loop: Header=BB53_15 Depth=1
	v_lshlrev_b64 v[3:4], 3, v[1:2]
	v_mov_b32_e32 v8, 0
	s_mov_b32 s38, 0
	s_delay_alu instid0(VALU_DEP_2) | instskip(NEXT) | instid1(VALU_DEP_3)
	v_add_co_u32 v3, vcc_lo, s10, v3
	v_add_co_ci_u32_e32 v4, vcc_lo, s11, v4, vcc_lo
	.p2align	6
.LBB53_17:                              ;   Parent Loop BB53_15 Depth=1
                                        ; =>  This Inner Loop Header: Depth=2
	global_load_b64 v[9:10], v[3:4], off
	v_add_co_u32 v11, vcc_lo, s12, v1
	v_add_co_ci_u32_e32 v12, vcc_lo, s13, v2, vcc_lo
	s_waitcnt vmcnt(0)
	v_sub_co_u32 v9, s7, v9, s24
	s_delay_alu instid0(VALU_DEP_1) | instskip(SKIP_1) | instid1(VALU_DEP_3)
	v_subrev_co_ci_u32_e64 v10, s7, 0, v10, s7
	v_add_co_u32 v3, s7, 0x800, v3
	v_add_co_u32 v9, vcc_lo, s14, v9
	s_delay_alu instid0(VALU_DEP_3)
	v_add_co_ci_u32_e32 v10, vcc_lo, s15, v10, vcc_lo
	v_add_co_u32 v1, vcc_lo, 0x100, v1
	global_load_i8 v11, v[11:12], off
	global_load_i8 v9, v[9:10], off
	v_add_co_ci_u32_e32 v2, vcc_lo, 0, v2, vcc_lo
	v_add_co_ci_u32_e64 v4, s7, 0, v4, s7
	s_delay_alu instid0(VALU_DEP_2)
	v_cmp_le_i64_e32 vcc_lo, s[34:35], v[1:2]
	s_or_b32 s38, vcc_lo, s38
	s_waitcnt vmcnt(0)
	v_mad_i32_i24 v8, v9, v11, v8
	s_and_not1_b32 exec_lo, exec_lo, s38
	s_cbranch_execnz .LBB53_17
; %bb.18:                               ;   in Loop: Header=BB53_15 Depth=1
	s_or_b32 exec_lo, exec_lo, s38
.LBB53_19:                              ;   in Loop: Header=BB53_15 Depth=1
	s_delay_alu instid0(SALU_CYCLE_1)
	s_or_b32 exec_lo, exec_lo, s37
	ds_store_b32 v14, v8
	s_waitcnt lgkmcnt(0)
	s_waitcnt_vscnt null, 0x0
	s_barrier
	buffer_gl0_inv
	s_and_saveexec_b32 s7, s2
	s_cbranch_execz .LBB53_21
; %bb.20:                               ;   in Loop: Header=BB53_15 Depth=1
	ds_load_2addr_stride64_b32 v[1:2], v14 offset1:4
	ds_load_2addr_stride64_b32 v[3:4], v14 offset0:8 offset1:12
	s_waitcnt lgkmcnt(0)
	v_add_nc_u32_e32 v2, v3, v2
	s_delay_alu instid0(VALU_DEP_1)
	v_add3_u32 v1, v2, v4, v1
	ds_store_b32 v14, v1
.LBB53_21:                              ;   in Loop: Header=BB53_15 Depth=1
	s_or_b32 exec_lo, exec_lo, s7
	s_waitcnt lgkmcnt(0)
	s_barrier
	buffer_gl0_inv
	s_and_saveexec_b32 s7, s3
	s_cbranch_execz .LBB53_23
; %bb.22:                               ;   in Loop: Header=BB53_15 Depth=1
	ds_load_2addr_stride64_b32 v[1:2], v14 offset1:1
	ds_load_2addr_stride64_b32 v[3:4], v14 offset0:2 offset1:3
	s_waitcnt lgkmcnt(0)
	v_add_nc_u32_e32 v2, v3, v2
	s_delay_alu instid0(VALU_DEP_1)
	v_add3_u32 v1, v2, v4, v1
	ds_store_b32 v14, v1
.LBB53_23:                              ;   in Loop: Header=BB53_15 Depth=1
	s_or_b32 exec_lo, exec_lo, s7
	s_waitcnt lgkmcnt(0)
	s_barrier
	buffer_gl0_inv
	s_and_saveexec_b32 s7, s4
	s_cbranch_execz .LBB53_25
; %bb.24:                               ;   in Loop: Header=BB53_15 Depth=1
	ds_load_2addr_b32 v[1:2], v14 offset1:16
	ds_load_2addr_b32 v[3:4], v14 offset0:32 offset1:48
	s_waitcnt lgkmcnt(0)
	v_add_nc_u32_e32 v2, v3, v2
	s_delay_alu instid0(VALU_DEP_1)
	v_add3_u32 v1, v2, v4, v1
	ds_store_b32 v14, v1
.LBB53_25:                              ;   in Loop: Header=BB53_15 Depth=1
	s_or_b32 exec_lo, exec_lo, s7
	s_waitcnt lgkmcnt(0)
	s_barrier
	buffer_gl0_inv
	s_and_saveexec_b32 s7, s5
	s_cbranch_execz .LBB53_27
; %bb.26:                               ;   in Loop: Header=BB53_15 Depth=1
	ds_load_2addr_b32 v[1:2], v14 offset1:4
	ds_load_2addr_b32 v[3:4], v14 offset0:8 offset1:12
	s_waitcnt lgkmcnt(0)
	v_add_nc_u32_e32 v2, v3, v2
	s_delay_alu instid0(VALU_DEP_1)
	v_add3_u32 v1, v2, v4, v1
	ds_store_b32 v14, v1
.LBB53_27:                              ;   in Loop: Header=BB53_15 Depth=1
	s_or_b32 exec_lo, exec_lo, s7
	s_waitcnt lgkmcnt(0)
	s_barrier
	buffer_gl0_inv
	s_and_saveexec_b32 s7, s6
	s_cbranch_execz .LBB53_29
; %bb.28:                               ;   in Loop: Header=BB53_15 Depth=1
	ds_load_2addr_b32 v[1:2], v7 offset0:1 offset1:2
	ds_load_b32 v3, v7 offset:12
	ds_load_b32 v4, v14
	s_waitcnt lgkmcnt(2)
	v_add_nc_u32_e32 v1, v2, v1
	s_waitcnt lgkmcnt(0)
	s_delay_alu instid0(VALU_DEP_1)
	v_add3_u32 v1, v1, v3, v4
	ds_store_b32 v14, v1
.LBB53_29:                              ;   in Loop: Header=BB53_15 Depth=1
	s_or_b32 exec_lo, exec_lo, s7
	s_waitcnt lgkmcnt(0)
	s_barrier
	buffer_gl0_inv
	s_and_saveexec_b32 s7, s6
	s_cbranch_execz .LBB53_14
; %bb.30:                               ;   in Loop: Header=BB53_15 Depth=1
	s_mov_b32 s34, exec_lo
	s_delay_alu instid0(SALU_CYCLE_1) | instskip(NEXT) | instid1(VALU_DEP_1)
	v_mbcnt_lo_u32_b32 v1, s34, 0
	v_cmp_eq_u32_e32 vcc_lo, 0, v1
	s_and_b32 s35, exec_lo, vcc_lo
	s_delay_alu instid0(SALU_CYCLE_1)
	s_mov_b32 exec_lo, s35
	s_cbranch_execz .LBB53_14
; %bb.31:                               ;   in Loop: Header=BB53_15 Depth=1
	ds_load_b32 v1, v7
	s_lshl_b64 s[38:39], s[28:29], 2
	s_delay_alu instid0(SALU_CYCLE_1) | instskip(SKIP_4) | instid1(VALU_DEP_1)
	s_add_u32 s38, s20, s38
	s_addc_u32 s39, s21, s39
	s_bcnt1_i32_b32 s34, s34
	s_waitcnt lgkmcnt(0)
	v_mul_lo_u32 v1, v1, s25
	v_mul_lo_u32 v1, v1, s34
	global_atomic_add_u32 v7, v1, s[38:39]
	s_branch .LBB53_14
.LBB53_32:
	s_lshl_b64 s[2:3], s[18:19], 3
	s_waitcnt lgkmcnt(0)
	v_add_co_u32 v1, vcc_lo, s26, v5
	s_add_u32 s2, s8, s2
	s_addc_u32 s3, s9, s3
	v_add_co_ci_u32_e32 v2, vcc_lo, s27, v6, vcc_lo
	s_load_b64 s[2:3], s[2:3], 0x0
	s_waitcnt lgkmcnt(0)
	s_sub_u32 s4, s2, s24
	s_subb_u32 s5, s3, 0
	s_mov_b32 s3, exec_lo
	v_cmpx_gt_i64_e64 s[4:5], v[1:2]
	s_cbranch_execz .LBB53_41
; %bb.33:
	s_add_u32 s6, s18, -1
	s_addc_u32 s7, s19, -1
	s_add_u32 s26, s18, -2
	v_cmp_gt_i64_e64 s2, s[6:7], s[16:17]
	s_addc_u32 s27, s19, -1
	s_delay_alu instid0(SALU_CYCLE_1)
	s_cmp_lg_u64 s[26:27], s[16:17]
	s_mov_b32 s27, 0
	s_cselect_b32 s26, -1, 0
	s_delay_alu instid0(VALU_DEP_1) | instid1(SALU_CYCLE_1)
	s_and_b32 s26, s2, s26
	s_branch .LBB53_35
.LBB53_34:                              ;   in Loop: Header=BB53_35 Depth=1
	s_or_b32 exec_lo, exec_lo, s2
	v_add_co_u32 v1, vcc_lo, 0x100, v1
	v_add_co_ci_u32_e32 v2, vcc_lo, 0, v2, vcc_lo
	s_delay_alu instid0(VALU_DEP_1) | instskip(SKIP_1) | instid1(SALU_CYCLE_1)
	v_cmp_le_i64_e32 vcc_lo, s[4:5], v[1:2]
	s_or_b32 s27, vcc_lo, s27
	s_and_not1_b32 exec_lo, exec_lo, s27
	s_cbranch_execz .LBB53_41
.LBB53_35:                              ; =>This Loop Header: Depth=1
                                        ;     Child Loop BB53_37 Depth 2
	v_dual_mov_b32 v3, s16 :: v_dual_mov_b32 v4, s17
	v_dual_mov_b32 v5, s6 :: v_dual_mov_b32 v6, s7
	s_and_not1_b32 vcc_lo, exec_lo, s26
	s_cbranch_vccnz .LBB53_39
; %bb.36:                               ;   in Loop: Header=BB53_35 Depth=1
	v_dual_mov_b32 v3, s16 :: v_dual_mov_b32 v4, s17
	v_dual_mov_b32 v5, s6 :: v_dual_mov_b32 v6, s7
	s_mov_b32 s28, 0
	s_set_inst_prefetch_distance 0x1
	.p2align	6
.LBB53_37:                              ;   Parent Loop BB53_35 Depth=1
                                        ; =>  This Inner Loop Header: Depth=2
	s_delay_alu instid0(VALU_DEP_1) | instskip(NEXT) | instid1(VALU_DEP_2)
	v_add_co_u32 v7, vcc_lo, v5, v3
	v_add_co_ci_u32_e32 v8, vcc_lo, v6, v4, vcc_lo
	s_delay_alu instid0(VALU_DEP_1) | instskip(NEXT) | instid1(VALU_DEP_1)
	v_lshrrev_b32_e32 v9, 31, v8
	v_add_co_u32 v7, vcc_lo, v7, v9
	v_add_co_ci_u32_e32 v8, vcc_lo, 0, v8, vcc_lo
	s_delay_alu instid0(VALU_DEP_1) | instskip(NEXT) | instid1(VALU_DEP_1)
	v_ashrrev_i64 v[7:8], 1, v[7:8]
	v_lshlrev_b64 v[9:10], 3, v[7:8]
	s_delay_alu instid0(VALU_DEP_1) | instskip(NEXT) | instid1(VALU_DEP_2)
	v_add_co_u32 v9, vcc_lo, s8, v9
	v_add_co_ci_u32_e32 v10, vcc_lo, s9, v10, vcc_lo
	global_load_b64 v[9:10], v[9:10], off
	s_waitcnt vmcnt(0)
	v_sub_co_u32 v9, vcc_lo, v9, s24
	v_subrev_co_ci_u32_e32 v10, vcc_lo, 0, v10, vcc_lo
	s_delay_alu instid0(VALU_DEP_1) | instskip(SKIP_2) | instid1(VALU_DEP_2)
	v_cmp_gt_i64_e32 vcc_lo, v[9:10], v[1:2]
	v_dual_cndmask_b32 v6, v6, v8 :: v_dual_cndmask_b32 v5, v5, v7
	v_dual_cndmask_b32 v4, v8, v4 :: v_dual_cndmask_b32 v3, v7, v3
	v_add_co_u32 v7, vcc_lo, v5, -1
	s_delay_alu instid0(VALU_DEP_3) | instskip(NEXT) | instid1(VALU_DEP_3)
	v_add_co_ci_u32_e32 v8, vcc_lo, -1, v6, vcc_lo
	v_cmp_ge_i64_e32 vcc_lo, v[3:4], v[5:6]
	s_delay_alu instid0(VALU_DEP_2) | instskip(NEXT) | instid1(VALU_DEP_1)
	v_cmp_eq_u64_e64 s2, v[3:4], v[7:8]
	s_or_b32 s2, vcc_lo, s2
	s_delay_alu instid0(SALU_CYCLE_1) | instskip(NEXT) | instid1(SALU_CYCLE_1)
	s_and_b32 s2, exec_lo, s2
	s_or_b32 s28, s2, s28
	s_delay_alu instid0(SALU_CYCLE_1)
	s_and_not1_b32 exec_lo, exec_lo, s28
	s_cbranch_execnz .LBB53_37
; %bb.38:                               ;   in Loop: Header=BB53_35 Depth=1
	s_set_inst_prefetch_distance 0x2
	s_or_b32 exec_lo, exec_lo, s28
.LBB53_39:                              ;   in Loop: Header=BB53_35 Depth=1
	s_delay_alu instid0(VALU_DEP_1) | instskip(SKIP_2) | instid1(VALU_DEP_2)
	v_lshlrev_b64 v[7:8], 3, v[5:6]
	v_lshlrev_b64 v[9:10], 3, v[1:2]
	s_mov_b32 s2, exec_lo
	v_add_co_u32 v7, vcc_lo, s8, v7
	s_delay_alu instid0(VALU_DEP_3) | instskip(NEXT) | instid1(VALU_DEP_3)
	v_add_co_ci_u32_e32 v8, vcc_lo, s9, v8, vcc_lo
	v_add_co_u32 v9, vcc_lo, s10, v9
	s_delay_alu instid0(VALU_DEP_4)
	v_add_co_ci_u32_e32 v10, vcc_lo, s11, v10, vcc_lo
	global_load_b64 v[7:8], v[7:8], off
	global_load_b64 v[9:10], v[9:10], off
	s_waitcnt vmcnt(1)
	v_sub_co_u32 v7, vcc_lo, v7, s24
	v_subrev_co_ci_u32_e32 v8, vcc_lo, 0, v8, vcc_lo
	s_delay_alu instid0(VALU_DEP_1) | instskip(SKIP_4) | instid1(VALU_DEP_1)
	v_cmp_gt_i64_e32 vcc_lo, v[7:8], v[1:2]
	v_dual_cndmask_b32 v6, v6, v4 :: v_dual_cndmask_b32 v5, v5, v3
	s_waitcnt vmcnt(0)
	v_sub_co_u32 v3, vcc_lo, v9, s24
	v_subrev_co_ci_u32_e32 v4, vcc_lo, 0, v10, vcc_lo
	v_cmpx_ne_u64_e64 v[3:4], v[5:6]
	s_cbranch_execz .LBB53_34
; %bb.40:                               ;   in Loop: Header=BB53_35 Depth=1
	v_add_co_u32 v7, vcc_lo, s12, v1
	v_add_co_ci_u32_e32 v8, vcc_lo, s13, v2, vcc_lo
	v_add_co_u32 v5, vcc_lo, s14, v5
	v_add_co_ci_u32_e32 v6, vcc_lo, s15, v6, vcc_lo
	global_load_i8 v7, v[7:8], off
	v_lshlrev_b64 v[3:4], 2, v[3:4]
	global_load_i8 v5, v[5:6], off
	v_add_co_u32 v3, vcc_lo, s20, v3
	v_add_co_ci_u32_e32 v4, vcc_lo, s21, v4, vcc_lo
	s_waitcnt vmcnt(1)
	v_mul_lo_u32 v6, s25, v7
	s_waitcnt vmcnt(0)
	s_delay_alu instid0(VALU_DEP_1)
	v_mul_lo_u32 v5, v6, v5
	global_atomic_add_u32 v[3:4], v5, off
	s_branch .LBB53_34
.LBB53_41:
	s_or_b32 exec_lo, exec_lo, s3
	s_mov_b32 s2, 0
.LBB53_42:
	s_delay_alu instid0(SALU_CYCLE_1)
	s_and_b32 vcc_lo, exec_lo, s2
	s_cbranch_vccz .LBB53_153
; %bb.43:
	s_load_b32 s2, s[0:1], 0x6c
	s_mov_b32 s7, 0
	s_mov_b64 s[28:29], 0
	s_waitcnt lgkmcnt(0)
	s_and_b32 s6, s2, 0xffff
	s_delay_alu instid0(SALU_CYCLE_1) | instskip(NEXT) | instid1(VALU_DEP_1)
	v_cmp_lt_u64_e64 s2, s[6:7], s[22:23]
	s_and_b32 vcc_lo, exec_lo, s2
	s_cbranch_vccnz .LBB53_45
; %bb.44:
	v_cvt_f32_u32_e32 v1, s22
	s_sub_i32 s3, 0, s22
	s_delay_alu instid0(VALU_DEP_1) | instskip(SKIP_2) | instid1(VALU_DEP_1)
	v_rcp_iflag_f32_e32 v1, v1
	s_waitcnt_depctr 0xfff
	v_mul_f32_e32 v1, 0x4f7ffffe, v1
	v_cvt_u32_f32_e32 v1, v1
	s_delay_alu instid0(VALU_DEP_1) | instskip(NEXT) | instid1(VALU_DEP_1)
	v_readfirstlane_b32 s2, v1
	s_mul_i32 s3, s3, s2
	s_delay_alu instid0(SALU_CYCLE_1) | instskip(NEXT) | instid1(SALU_CYCLE_1)
	s_mul_hi_u32 s3, s2, s3
	s_add_i32 s2, s2, s3
	s_delay_alu instid0(SALU_CYCLE_1) | instskip(NEXT) | instid1(SALU_CYCLE_1)
	s_mul_hi_u32 s2, s6, s2
	s_mul_i32 s3, s2, s22
	s_add_i32 s4, s2, 1
	s_sub_i32 s3, s6, s3
	s_delay_alu instid0(SALU_CYCLE_1)
	s_sub_i32 s5, s3, s22
	s_cmp_ge_u32 s3, s22
	s_cselect_b32 s2, s4, s2
	s_cselect_b32 s3, s5, s3
	s_add_i32 s4, s2, 1
	s_cmp_ge_u32 s3, s22
	s_cselect_b32 s28, s4, s2
.LBB53_45:
	s_lshl_b64 s[2:3], s[16:17], 3
	v_sub_co_u32 v1, s7, v0, s24
	s_add_u32 s26, s8, s2
	s_addc_u32 s27, s9, s3
	s_load_b64 s[4:5], s[26:27], 0x0
	s_load_b128 s[0:3], s[0:1], 0x8
	v_sub_co_ci_u32_e64 v3, null, 0, 0, s7
	s_waitcnt lgkmcnt(0)
	v_add_co_u32 v2, vcc_lo, s4, v1
	s_delay_alu instid0(VALU_DEP_2) | instskip(SKIP_1) | instid1(VALU_DEP_3)
	v_add_co_ci_u32_e32 v3, vcc_lo, s5, v3, vcc_lo
	v_mov_b32_e32 v1, 0
	v_add_co_u32 v4, vcc_lo, 0x300, v2
	s_delay_alu instid0(VALU_DEP_3) | instskip(NEXT) | instid1(VALU_DEP_1)
	v_add_co_ci_u32_e32 v5, vcc_lo, 0, v3, vcc_lo
	v_cmp_le_i64_e32 vcc_lo, s[0:1], v[4:5]
	s_and_saveexec_b32 s0, vcc_lo
	s_delay_alu instid0(SALU_CYCLE_1)
	s_xor_b32 s1, exec_lo, s0
	s_cbranch_execz .LBB53_50
; %bb.46:
	s_lshl_b64 s[30:31], s[18:19], 3
	s_mov_b32 s7, exec_lo
	s_add_u32 s30, s8, s30
	s_addc_u32 s31, s9, s31
	s_load_b64 s[30:31], s[30:31], 0x0
	s_waitcnt lgkmcnt(0)
	s_sub_u32 s30, s30, s4
	s_subb_u32 s31, s31, s5
	s_delay_alu instid0(SALU_CYCLE_1)
	v_cmpx_gt_i64_e64 s[30:31], v[0:1]
	s_cbranch_execz .LBB53_49
; %bb.47:
	v_dual_mov_b32 v8, v14 :: v_dual_mov_b32 v7, v1
	s_sub_u32 s0, s4, s24
	v_mov_b32_e32 v6, v0
	s_subb_u32 s33, s5, 0
	s_add_u32 s29, s12, s0
	s_addc_u32 s33, s13, s33
	s_mov_b32 s34, 0
	.p2align	6
.LBB53_48:                              ; =>This Inner Loop Header: Depth=1
	v_add_co_u32 v9, s0, s29, v6
	s_delay_alu instid0(VALU_DEP_1) | instskip(SKIP_1) | instid1(VALU_DEP_1)
	v_add_co_ci_u32_e64 v10, s0, s33, v7, s0
	v_add_co_u32 v6, s0, 0x100, v6
	v_add_co_ci_u32_e64 v7, s0, 0, v7, s0
	global_load_i8 v9, v[9:10], off
	v_cmp_le_i64_e64 s0, s[30:31], v[6:7]
	s_delay_alu instid0(VALU_DEP_1)
	s_or_b32 s34, s0, s34
	s_waitcnt vmcnt(0)
	v_mul_lo_u32 v9, s25, v9
	ds_store_b32 v8, v9
	v_add_nc_u32_e32 v8, 0x400, v8
	s_and_not1_b32 exec_lo, exec_lo, s34
	s_cbranch_execnz .LBB53_48
.LBB53_49:
	s_or_b32 exec_lo, exec_lo, s7
.LBB53_50:
	s_and_not1_saveexec_b32 s1, s1
	s_cbranch_execz .LBB53_52
; %bb.51:
	v_add_co_u32 v6, s0, s12, v2
	s_delay_alu instid0(VALU_DEP_1)
	v_add_co_ci_u32_e64 v7, s0, s13, v3, s0
	s_clause 0x3
	global_load_i8 v8, v[6:7], off
	global_load_i8 v9, v[6:7], off offset:256
	global_load_i8 v10, v[6:7], off offset:512
	;; [unrolled: 1-line block ×3, first 2 shown]
	s_waitcnt vmcnt(3)
	v_mul_lo_u32 v7, s25, v8
	s_waitcnt vmcnt(2)
	v_mul_lo_u32 v8, s25, v9
	;; [unrolled: 2-line block ×4, first 2 shown]
	ds_store_2addr_stride64_b32 v14, v7, v8 offset1:4
	ds_store_2addr_stride64_b32 v14, v9, v6 offset0:8 offset1:12
.LBB53_52:
	s_or_b32 exec_lo, exec_lo, s1
	v_lshl_add_u32 v15, v0, 2, 0x1000
	s_mov_b32 s1, exec_lo
	v_cmpx_gt_i64_e64 s[2:3], v[0:1]
	s_cbranch_execz .LBB53_55
; %bb.53:
	v_mov_b32_e32 v7, v1
	v_lshl_add_u32 v8, v0, 2, 0x1000
	v_dual_mov_b32 v9, 0 :: v_dual_mov_b32 v6, v0
	s_mov_b32 s7, 0
.LBB53_54:                              ; =>This Inner Loop Header: Depth=1
	s_delay_alu instid0(VALU_DEP_1) | instskip(NEXT) | instid1(VALU_DEP_1)
	v_add_co_u32 v6, s0, 0x100, v6
	v_add_co_ci_u32_e64 v7, s0, 0, v7, s0
	ds_store_b32 v8, v9
	v_add_nc_u32_e32 v8, 0x400, v8
	v_cmp_le_i64_e64 s0, s[2:3], v[6:7]
	s_delay_alu instid0(VALU_DEP_1) | instskip(NEXT) | instid1(SALU_CYCLE_1)
	s_or_b32 s7, s0, s7
	s_and_not1_b32 exec_lo, exec_lo, s7
	s_cbranch_execnz .LBB53_54
.LBB53_55:
	s_or_b32 exec_lo, exec_lo, s1
	v_cmp_ge_i64_e64 s0, s[18:19], s[2:3]
	s_sub_u32 s1, s18, s2
	s_subb_u32 s7, s19, s3
	s_waitcnt lgkmcnt(0)
	s_waitcnt_vscnt null, 0x0
	s_barrier
	buffer_gl0_inv
	s_and_b32 s0, s0, exec_lo
	s_cselect_b32 s13, s7, 0
	s_cselect_b32 s12, s1, 0
	s_and_saveexec_b32 s0, vcc_lo
	s_delay_alu instid0(SALU_CYCLE_1)
	s_xor_b32 s7, exec_lo, s0
	s_cbranch_execz .LBB53_72
; %bb.56:
	s_lshl_b64 s[0:1], s[18:19], 3
	s_mov_b32 s25, exec_lo
	s_add_u32 s0, s8, s0
	s_addc_u32 s1, s9, s1
	s_load_b64 s[0:1], s[0:1], 0x0
	s_waitcnt lgkmcnt(0)
	s_sub_u32 s30, s0, s4
	s_subb_u32 s31, s1, s5
	s_delay_alu instid0(SALU_CYCLE_1)
	v_cmpx_gt_i64_e64 s[30:31], v[0:1]
	s_cbranch_execz .LBB53_71
; %bb.57:
	s_add_u32 s34, s18, -1
	s_addc_u32 s35, s19, -1
	s_add_u32 s36, s18, -2
	v_cmp_gt_i64_e64 s29, s[34:35], s[16:17]
	s_addc_u32 s37, s19, -1
	s_mov_b64 s[38:39], 0
	s_cmp_lg_u64 s[36:37], s[16:17]
	s_cselect_b32 s33, -1, 0
	s_delay_alu instid0(VALU_DEP_1) | instid1(SALU_CYCLE_1)
	s_and_b32 s29, s29, s33
	s_sub_u32 s36, s0, s24
	s_subb_u32 s37, s1, 0
	s_mov_b32 s1, 0
	s_branch .LBB53_60
.LBB53_58:                              ;   in Loop: Header=BB53_60 Depth=1
	s_or_b32 exec_lo, exec_lo, s0
.LBB53_59:                              ;   in Loop: Header=BB53_60 Depth=1
	s_delay_alu instid0(SALU_CYCLE_1)
	s_or_b32 exec_lo, exec_lo, s33
	v_add_co_u32 v4, vcc_lo, s14, v4
	v_add_co_ci_u32_e32 v5, vcc_lo, s15, v5, vcc_lo
	s_add_u32 s38, s38, 0x100
	s_addc_u32 s39, s39, 0
	global_load_i8 v7, v[4:5], off
	v_add_co_u32 v4, s0, s38, v0
	s_delay_alu instid0(VALU_DEP_1) | instskip(NEXT) | instid1(VALU_DEP_1)
	v_add_co_ci_u32_e64 v5, null, s39, 0, s0
	v_cmp_le_i64_e32 vcc_lo, s[30:31], v[4:5]
	v_lshlrev_b32_e32 v4, 2, v10
	s_or_b32 s1, vcc_lo, s1
	s_waitcnt vmcnt(0) lgkmcnt(0)
	v_mul_lo_u32 v6, v6, v7
	ds_store_b32 v4, v6
	s_and_not1_b32 exec_lo, exec_lo, s1
	s_cbranch_execz .LBB53_71
.LBB53_60:                              ; =>This Loop Header: Depth=1
                                        ;     Child Loop BB53_62 Depth 2
	v_add_co_u32 v6, vcc_lo, s38, v2
	v_add_co_ci_u32_e32 v7, vcc_lo, s39, v3, vcc_lo
	v_dual_mov_b32 v8, s16 :: v_dual_mov_b32 v9, s17
	v_dual_mov_b32 v10, s34 :: v_dual_mov_b32 v11, s35
	s_and_not1_b32 vcc_lo, exec_lo, s29
	s_cbranch_vccnz .LBB53_64
; %bb.61:                               ;   in Loop: Header=BB53_60 Depth=1
	v_dual_mov_b32 v8, s16 :: v_dual_mov_b32 v9, s17
	v_dual_mov_b32 v10, s34 :: v_dual_mov_b32 v11, s35
	s_mov_b32 s33, 0
	s_set_inst_prefetch_distance 0x1
	.p2align	6
.LBB53_62:                              ;   Parent Loop BB53_60 Depth=1
                                        ; =>  This Inner Loop Header: Depth=2
	s_delay_alu instid0(VALU_DEP_1) | instskip(NEXT) | instid1(VALU_DEP_2)
	v_add_co_u32 v4, vcc_lo, v10, v8
	v_add_co_ci_u32_e32 v5, vcc_lo, v11, v9, vcc_lo
	s_delay_alu instid0(VALU_DEP_1) | instskip(NEXT) | instid1(VALU_DEP_1)
	v_lshrrev_b32_e32 v12, 31, v5
	v_add_co_u32 v4, vcc_lo, v4, v12
	v_add_co_ci_u32_e32 v5, vcc_lo, 0, v5, vcc_lo
	s_delay_alu instid0(VALU_DEP_1) | instskip(NEXT) | instid1(VALU_DEP_1)
	v_ashrrev_i64 v[4:5], 1, v[4:5]
	v_lshlrev_b64 v[12:13], 3, v[4:5]
	s_delay_alu instid0(VALU_DEP_1) | instskip(NEXT) | instid1(VALU_DEP_2)
	v_add_co_u32 v12, vcc_lo, s8, v12
	v_add_co_ci_u32_e32 v13, vcc_lo, s9, v13, vcc_lo
	global_load_b64 v[12:13], v[12:13], off
	s_waitcnt vmcnt(0)
	v_sub_co_u32 v12, vcc_lo, v12, s24
	v_subrev_co_ci_u32_e32 v13, vcc_lo, 0, v13, vcc_lo
	s_delay_alu instid0(VALU_DEP_1) | instskip(SKIP_2) | instid1(VALU_DEP_2)
	v_cmp_gt_i64_e32 vcc_lo, v[12:13], v[6:7]
	v_dual_cndmask_b32 v11, v11, v5 :: v_dual_cndmask_b32 v10, v10, v4
	v_dual_cndmask_b32 v9, v5, v9 :: v_dual_cndmask_b32 v8, v4, v8
	v_add_co_u32 v4, vcc_lo, v10, -1
	s_delay_alu instid0(VALU_DEP_3) | instskip(NEXT) | instid1(VALU_DEP_3)
	v_add_co_ci_u32_e32 v5, vcc_lo, -1, v11, vcc_lo
	v_cmp_ge_i64_e32 vcc_lo, v[8:9], v[10:11]
	s_delay_alu instid0(VALU_DEP_2) | instskip(NEXT) | instid1(VALU_DEP_1)
	v_cmp_eq_u64_e64 s0, v[8:9], v[4:5]
	s_or_b32 s0, vcc_lo, s0
	s_delay_alu instid0(SALU_CYCLE_1) | instskip(NEXT) | instid1(SALU_CYCLE_1)
	s_and_b32 s0, exec_lo, s0
	s_or_b32 s33, s0, s33
	s_delay_alu instid0(SALU_CYCLE_1)
	s_and_not1_b32 exec_lo, exec_lo, s33
	s_cbranch_execnz .LBB53_62
; %bb.63:                               ;   in Loop: Header=BB53_60 Depth=1
	s_set_inst_prefetch_distance 0x2
	s_or_b32 exec_lo, exec_lo, s33
.LBB53_64:                              ;   in Loop: Header=BB53_60 Depth=1
	s_delay_alu instid0(VALU_DEP_1) | instskip(SKIP_1) | instid1(VALU_DEP_2)
	v_lshlrev_b64 v[4:5], 3, v[10:11]
	v_lshlrev_b64 v[12:13], 3, v[6:7]
	v_add_co_u32 v4, vcc_lo, s8, v4
	s_delay_alu instid0(VALU_DEP_3) | instskip(NEXT) | instid1(VALU_DEP_3)
	v_add_co_ci_u32_e32 v5, vcc_lo, s9, v5, vcc_lo
	v_add_co_u32 v12, vcc_lo, s10, v12
	s_delay_alu instid0(VALU_DEP_4)
	v_add_co_ci_u32_e32 v13, vcc_lo, s11, v13, vcc_lo
	global_load_b64 v[4:5], v[4:5], off
	global_load_b64 v[12:13], v[12:13], off
	s_waitcnt vmcnt(1)
	v_sub_co_u32 v4, vcc_lo, v4, s24
	v_subrev_co_ci_u32_e32 v5, vcc_lo, 0, v5, vcc_lo
	s_delay_alu instid0(VALU_DEP_1) | instskip(SKIP_2) | instid1(VALU_DEP_1)
	v_cmp_gt_i64_e32 vcc_lo, v[4:5], v[6:7]
	s_waitcnt vmcnt(0)
	v_sub_co_u32 v4, s0, v12, s24
	v_subrev_co_ci_u32_e64 v5, s0, 0, v13, s0
	v_cmp_le_i64_e64 s0, s[36:37], v[6:7]
	v_dual_cndmask_b32 v9, v11, v9 :: v_dual_cndmask_b32 v8, v10, v8
	v_add_co_u32 v10, null, s38, v0
                                        ; implicit-def: $vgpr6
	s_delay_alu instid0(VALU_DEP_2) | instskip(NEXT) | instid1(VALU_DEP_2)
	v_cmp_eq_u64_e32 vcc_lo, v[4:5], v[8:9]
	v_lshlrev_b32_e32 v7, 2, v10
	s_or_b32 s0, vcc_lo, s0
	s_delay_alu instid0(SALU_CYCLE_1) | instskip(NEXT) | instid1(SALU_CYCLE_1)
	s_and_saveexec_b32 s33, s0
	s_xor_b32 s0, exec_lo, s33
	s_cbranch_execz .LBB53_66
; %bb.65:                               ;   in Loop: Header=BB53_60 Depth=1
	ds_load_b32 v6, v7
                                        ; implicit-def: $vgpr7
                                        ; implicit-def: $vgpr8_vgpr9
.LBB53_66:                              ;   in Loop: Header=BB53_60 Depth=1
	s_and_not1_saveexec_b32 s33, s0
	s_cbranch_execz .LBB53_59
; %bb.67:                               ;   in Loop: Header=BB53_60 Depth=1
	v_cmp_gt_i64_e32 vcc_lo, s[12:13], v[4:5]
	v_cmp_le_i64_e64 s0, s[18:19], v[4:5]
                                        ; implicit-def: $vgpr6
	s_delay_alu instid0(VALU_DEP_1) | instskip(NEXT) | instid1(SALU_CYCLE_1)
	s_or_b32 s0, vcc_lo, s0
	s_and_saveexec_b32 s40, s0
	s_delay_alu instid0(SALU_CYCLE_1)
	s_xor_b32 s0, exec_lo, s40
	s_cbranch_execz .LBB53_69
; %bb.68:                               ;   in Loop: Header=BB53_60 Depth=1
	v_add_co_u32 v8, vcc_lo, s14, v8
	v_add_co_ci_u32_e32 v9, vcc_lo, s15, v9, vcc_lo
	s_waitcnt lgkmcnt(0)
	ds_load_b32 v6, v7
	global_load_i8 v9, v[8:9], off
	v_lshlrev_b64 v[7:8], 2, v[4:5]
	s_delay_alu instid0(VALU_DEP_1) | instskip(NEXT) | instid1(VALU_DEP_2)
	v_add_co_u32 v7, vcc_lo, s20, v7
	v_add_co_ci_u32_e32 v8, vcc_lo, s21, v8, vcc_lo
	s_waitcnt vmcnt(0) lgkmcnt(0)
	v_mul_lo_u32 v9, v6, v9
	global_atomic_add_u32 v[7:8], v9, off
                                        ; implicit-def: $vgpr7
                                        ; implicit-def: $vgpr8_vgpr9
.LBB53_69:                              ;   in Loop: Header=BB53_60 Depth=1
	s_and_not1_saveexec_b32 s0, s0
	s_cbranch_execz .LBB53_58
; %bb.70:                               ;   in Loop: Header=BB53_60 Depth=1
	v_add_co_u32 v8, vcc_lo, s14, v8
	v_add_co_ci_u32_e32 v9, vcc_lo, s15, v9, vcc_lo
	s_waitcnt lgkmcnt(0)
	ds_load_b32 v6, v7
	v_subrev_nc_u32_e32 v7, s12, v4
	global_load_i8 v8, v[8:9], off
	v_lshl_add_u32 v7, v7, 2, 0x1000
	s_waitcnt vmcnt(0) lgkmcnt(0)
	v_mul_lo_u32 v8, v6, v8
	ds_add_u32 v7, v8
	s_branch .LBB53_58
.LBB53_71:
	s_or_b32 exec_lo, exec_lo, s25
                                        ; implicit-def: $vgpr4_vgpr5
                                        ; implicit-def: $vgpr2
.LBB53_72:
	s_and_not1_saveexec_b32 s1, s7
	s_cbranch_execz .LBB53_114
; %bb.73:
	s_add_u32 s30, s18, -1
	s_addc_u32 s31, s19, -1
	s_add_u32 s34, s18, -2
	v_cmp_le_i64_e64 s0, s[30:31], s[16:17]
	s_addc_u32 s35, s19, -1
	v_dual_mov_b32 v8, s16 :: v_dual_mov_b32 v9, s17
	s_cmp_eq_u64 s[34:35], s[16:17]
	v_dual_mov_b32 v10, s30 :: v_dual_mov_b32 v11, s31
	s_cselect_b32 s7, -1, 0
	s_delay_alu instid0(SALU_CYCLE_1) | instskip(NEXT) | instid1(SALU_CYCLE_1)
	s_or_b32 s7, s0, s7
	s_and_b32 vcc_lo, exec_lo, s7
	s_cbranch_vccnz .LBB53_77
; %bb.74:
	v_dual_mov_b32 v8, s16 :: v_dual_mov_b32 v9, s17
	v_dual_mov_b32 v10, s30 :: v_dual_mov_b32 v11, s31
	s_mov_b32 s25, 0
	s_set_inst_prefetch_distance 0x1
	.p2align	6
.LBB53_75:                              ; =>This Inner Loop Header: Depth=1
	s_delay_alu instid0(VALU_DEP_1) | instskip(NEXT) | instid1(VALU_DEP_2)
	v_add_co_u32 v6, vcc_lo, v10, v8
	v_add_co_ci_u32_e32 v7, vcc_lo, v11, v9, vcc_lo
	s_delay_alu instid0(VALU_DEP_1) | instskip(NEXT) | instid1(VALU_DEP_1)
	v_lshrrev_b32_e32 v12, 31, v7
	v_add_co_u32 v6, vcc_lo, v6, v12
	v_add_co_ci_u32_e32 v7, vcc_lo, 0, v7, vcc_lo
	s_delay_alu instid0(VALU_DEP_1) | instskip(NEXT) | instid1(VALU_DEP_1)
	v_ashrrev_i64 v[6:7], 1, v[6:7]
	v_lshlrev_b64 v[12:13], 3, v[6:7]
	s_delay_alu instid0(VALU_DEP_1) | instskip(NEXT) | instid1(VALU_DEP_2)
	v_add_co_u32 v12, vcc_lo, s8, v12
	v_add_co_ci_u32_e32 v13, vcc_lo, s9, v13, vcc_lo
	global_load_b64 v[12:13], v[12:13], off
	s_waitcnt vmcnt(0)
	v_sub_co_u32 v12, vcc_lo, v12, s24
	v_subrev_co_ci_u32_e32 v13, vcc_lo, 0, v13, vcc_lo
	s_delay_alu instid0(VALU_DEP_1) | instskip(SKIP_2) | instid1(VALU_DEP_2)
	v_cmp_gt_i64_e32 vcc_lo, v[12:13], v[2:3]
	v_dual_cndmask_b32 v11, v11, v7 :: v_dual_cndmask_b32 v10, v10, v6
	v_dual_cndmask_b32 v9, v7, v9 :: v_dual_cndmask_b32 v8, v6, v8
	v_add_co_u32 v6, vcc_lo, v10, -1
	s_delay_alu instid0(VALU_DEP_3) | instskip(NEXT) | instid1(VALU_DEP_3)
	v_add_co_ci_u32_e32 v7, vcc_lo, -1, v11, vcc_lo
	v_cmp_ge_i64_e32 vcc_lo, v[8:9], v[10:11]
	s_delay_alu instid0(VALU_DEP_2) | instskip(NEXT) | instid1(VALU_DEP_1)
	v_cmp_eq_u64_e64 s0, v[8:9], v[6:7]
	s_or_b32 s0, vcc_lo, s0
	s_delay_alu instid0(SALU_CYCLE_1) | instskip(NEXT) | instid1(SALU_CYCLE_1)
	s_and_b32 s0, exec_lo, s0
	s_or_b32 s25, s0, s25
	s_delay_alu instid0(SALU_CYCLE_1)
	s_and_not1_b32 exec_lo, exec_lo, s25
	s_cbranch_execnz .LBB53_75
; %bb.76:
	s_set_inst_prefetch_distance 0x2
	s_or_b32 exec_lo, exec_lo, s25
.LBB53_77:
	v_lshlrev_b64 v[6:7], 3, v[10:11]
	s_xor_b32 s7, s7, -1
	s_mov_b32 s25, exec_lo
	s_delay_alu instid0(VALU_DEP_1) | instskip(NEXT) | instid1(VALU_DEP_2)
	v_add_co_u32 v6, vcc_lo, s8, v6
	v_add_co_ci_u32_e32 v7, vcc_lo, s9, v7, vcc_lo
	global_load_b64 v[12:13], v[6:7], off
	v_lshlrev_b64 v[6:7], 3, v[2:3]
	s_delay_alu instid0(VALU_DEP_1) | instskip(NEXT) | instid1(VALU_DEP_2)
	v_add_co_u32 v6, vcc_lo, s10, v6
	v_add_co_ci_u32_e32 v7, vcc_lo, s11, v7, vcc_lo
	s_lshl_b64 s[10:11], s[18:19], 3
	s_delay_alu instid0(SALU_CYCLE_1)
	s_add_u32 s10, s8, s10
	global_load_b64 v[16:17], v[6:7], off
	s_addc_u32 s11, s9, s11
	s_waitcnt vmcnt(1)
	v_sub_co_u32 v12, vcc_lo, v12, s24
	v_subrev_co_ci_u32_e32 v13, vcc_lo, 0, v13, vcc_lo
	s_delay_alu instid0(VALU_DEP_1) | instskip(SKIP_4) | instid1(VALU_DEP_1)
	v_cmp_gt_i64_e32 vcc_lo, v[12:13], v[2:3]
	v_dual_cndmask_b32 v11, v11, v9 :: v_dual_cndmask_b32 v10, v10, v8
	s_waitcnt vmcnt(0)
	v_sub_co_u32 v8, vcc_lo, v16, s24
	v_subrev_co_ci_u32_e32 v9, vcc_lo, 0, v17, vcc_lo
	v_cmpx_ne_u64_e64 v[8:9], v[10:11]
	s_cbranch_execz .LBB53_83
; %bb.78:
	s_load_b64 s[34:35], s[10:11], 0x0
	s_waitcnt lgkmcnt(0)
	s_sub_u32 s34, s34, s24
	s_subb_u32 s35, s35, 0
	s_delay_alu instid0(SALU_CYCLE_1)
	v_cmp_gt_i64_e32 vcc_lo, s[34:35], v[2:3]
	s_and_b32 exec_lo, exec_lo, vcc_lo
	s_cbranch_execz .LBB53_83
; %bb.79:
	v_cmp_gt_i64_e32 vcc_lo, s[12:13], v[8:9]
	v_cmp_le_i64_e64 s0, s[18:19], v[8:9]
	s_delay_alu instid0(VALU_DEP_1) | instskip(NEXT) | instid1(SALU_CYCLE_1)
	s_or_b32 s0, vcc_lo, s0
	s_and_saveexec_b32 s29, s0
	s_delay_alu instid0(SALU_CYCLE_1)
	s_xor_b32 s0, exec_lo, s29
	s_cbranch_execz .LBB53_81
; %bb.80:
	v_add_co_u32 v10, vcc_lo, s14, v10
	v_add_co_ci_u32_e32 v11, vcc_lo, s15, v11, vcc_lo
	ds_load_b32 v13, v14
	global_load_i8 v12, v[10:11], off
	v_lshlrev_b64 v[10:11], 2, v[8:9]
	s_delay_alu instid0(VALU_DEP_1) | instskip(NEXT) | instid1(VALU_DEP_2)
	v_add_co_u32 v10, vcc_lo, s20, v10
	v_add_co_ci_u32_e32 v11, vcc_lo, s21, v11, vcc_lo
	s_waitcnt vmcnt(0) lgkmcnt(0)
	v_mul_lo_u32 v12, v13, v12
	global_atomic_add_u32 v[10:11], v12, off
                                        ; implicit-def: $vgpr10_vgpr11
.LBB53_81:
	s_and_not1_saveexec_b32 s0, s0
	s_cbranch_execz .LBB53_83
; %bb.82:
	v_add_co_u32 v10, vcc_lo, s14, v10
	v_add_co_ci_u32_e32 v11, vcc_lo, s15, v11, vcc_lo
	v_subrev_nc_u32_e32 v12, s12, v8
	global_load_i8 v10, v[10:11], off
	ds_load_b32 v11, v14
	s_waitcnt vmcnt(0) lgkmcnt(0)
	v_mul_lo_u32 v10, v11, v10
	v_lshl_add_u32 v11, v12, 2, 0x1000
	ds_add_u32 v11, v10
.LBB53_83:
	s_or_b32 exec_lo, exec_lo, s25
	v_add_co_u32 v8, vcc_lo, s14, v8
	v_add_co_ci_u32_e32 v9, vcc_lo, s15, v9, vcc_lo
	v_cndmask_b32_e64 v16, 0, 1, s7
	v_dual_mov_b32 v10, s16 :: v_dual_mov_b32 v11, s17
	global_load_i8 v8, v[8:9], off
	ds_load_b32 v9, v14
	v_dual_mov_b32 v12, s30 :: v_dual_mov_b32 v13, s31
	s_waitcnt vmcnt(0) lgkmcnt(0)
	v_mul_lo_u32 v17, v9, v8
	v_add_co_u32 v8, vcc_lo, 0x100, v2
	v_add_co_ci_u32_e32 v9, vcc_lo, 0, v3, vcc_lo
	s_and_not1_b32 vcc_lo, exec_lo, s7
	ds_store_b32 v14, v17
	s_cbranch_vccnz .LBB53_87
; %bb.84:
	v_dual_mov_b32 v10, s16 :: v_dual_mov_b32 v11, s17
	v_dual_mov_b32 v12, s30 :: v_dual_mov_b32 v13, s31
	s_mov_b32 s7, 0
	s_set_inst_prefetch_distance 0x1
	.p2align	6
.LBB53_85:                              ; =>This Inner Loop Header: Depth=1
	s_delay_alu instid0(VALU_DEP_1) | instskip(NEXT) | instid1(VALU_DEP_2)
	v_add_co_u32 v17, vcc_lo, v12, v10
	v_add_co_ci_u32_e32 v18, vcc_lo, v13, v11, vcc_lo
	s_delay_alu instid0(VALU_DEP_1) | instskip(NEXT) | instid1(VALU_DEP_1)
	v_lshrrev_b32_e32 v19, 31, v18
	v_add_co_u32 v17, vcc_lo, v17, v19
	v_add_co_ci_u32_e32 v18, vcc_lo, 0, v18, vcc_lo
	s_delay_alu instid0(VALU_DEP_1) | instskip(NEXT) | instid1(VALU_DEP_1)
	v_ashrrev_i64 v[17:18], 1, v[17:18]
	v_lshlrev_b64 v[19:20], 3, v[17:18]
	s_delay_alu instid0(VALU_DEP_1) | instskip(NEXT) | instid1(VALU_DEP_2)
	v_add_co_u32 v19, vcc_lo, s8, v19
	v_add_co_ci_u32_e32 v20, vcc_lo, s9, v20, vcc_lo
	global_load_b64 v[19:20], v[19:20], off
	s_waitcnt vmcnt(0)
	v_sub_co_u32 v19, vcc_lo, v19, s24
	v_subrev_co_ci_u32_e32 v20, vcc_lo, 0, v20, vcc_lo
	s_delay_alu instid0(VALU_DEP_1) | instskip(SKIP_2) | instid1(VALU_DEP_2)
	v_cmp_gt_i64_e32 vcc_lo, v[19:20], v[8:9]
	v_dual_cndmask_b32 v13, v13, v18 :: v_dual_cndmask_b32 v12, v12, v17
	v_dual_cndmask_b32 v11, v18, v11 :: v_dual_cndmask_b32 v10, v17, v10
	v_add_co_u32 v17, vcc_lo, v12, -1
	s_delay_alu instid0(VALU_DEP_3) | instskip(NEXT) | instid1(VALU_DEP_3)
	v_add_co_ci_u32_e32 v18, vcc_lo, -1, v13, vcc_lo
	v_cmp_ge_i64_e32 vcc_lo, v[10:11], v[12:13]
	s_delay_alu instid0(VALU_DEP_2) | instskip(NEXT) | instid1(VALU_DEP_1)
	v_cmp_eq_u64_e64 s0, v[10:11], v[17:18]
	s_or_b32 s0, vcc_lo, s0
	s_delay_alu instid0(SALU_CYCLE_1) | instskip(NEXT) | instid1(SALU_CYCLE_1)
	s_and_b32 s0, exec_lo, s0
	s_or_b32 s7, s0, s7
	s_delay_alu instid0(SALU_CYCLE_1)
	s_and_not1_b32 exec_lo, exec_lo, s7
	s_cbranch_execnz .LBB53_85
; %bb.86:
	s_set_inst_prefetch_distance 0x2
	s_or_b32 exec_lo, exec_lo, s7
.LBB53_87:
	v_lshlrev_b64 v[17:18], 3, v[12:13]
	s_mov_b32 s7, exec_lo
	s_delay_alu instid0(VALU_DEP_1) | instskip(NEXT) | instid1(VALU_DEP_2)
	v_add_co_u32 v17, vcc_lo, s8, v17
	v_add_co_ci_u32_e32 v18, vcc_lo, s9, v18, vcc_lo
	global_load_b64 v[17:18], v[17:18], off
	global_load_b64 v[19:20], v[6:7], off offset:2048
	s_waitcnt vmcnt(1)
	v_sub_co_u32 v17, vcc_lo, v17, s24
	v_subrev_co_ci_u32_e32 v18, vcc_lo, 0, v18, vcc_lo
	s_delay_alu instid0(VALU_DEP_1) | instskip(SKIP_4) | instid1(VALU_DEP_1)
	v_cmp_gt_i64_e32 vcc_lo, v[17:18], v[8:9]
	v_dual_cndmask_b32 v13, v13, v11 :: v_dual_cndmask_b32 v12, v12, v10
	s_waitcnt vmcnt(0)
	v_sub_co_u32 v10, vcc_lo, v19, s24
	v_subrev_co_ci_u32_e32 v11, vcc_lo, 0, v20, vcc_lo
	v_cmpx_ne_u64_e64 v[10:11], v[12:13]
	s_cbranch_execz .LBB53_93
; %bb.88:
	s_load_b64 s[34:35], s[10:11], 0x0
	s_waitcnt lgkmcnt(0)
	s_sub_u32 s34, s34, s24
	s_subb_u32 s35, s35, 0
	s_delay_alu instid0(SALU_CYCLE_1)
	v_cmp_gt_i64_e32 vcc_lo, s[34:35], v[8:9]
	s_and_b32 exec_lo, exec_lo, vcc_lo
	s_cbranch_execz .LBB53_93
; %bb.89:
	v_cmp_gt_i64_e32 vcc_lo, s[12:13], v[10:11]
	v_cmp_le_i64_e64 s0, s[18:19], v[10:11]
	s_delay_alu instid0(VALU_DEP_1) | instskip(NEXT) | instid1(SALU_CYCLE_1)
	s_or_b32 s0, vcc_lo, s0
	s_and_saveexec_b32 s25, s0
	s_delay_alu instid0(SALU_CYCLE_1)
	s_xor_b32 s0, exec_lo, s25
	s_cbranch_execz .LBB53_91
; %bb.90:
	v_add_co_u32 v8, vcc_lo, s14, v12
	v_add_co_ci_u32_e32 v9, vcc_lo, s15, v13, vcc_lo
	ds_load_b32 v13, v14 offset:1024
	global_load_i8 v12, v[8:9], off
	v_lshlrev_b64 v[8:9], 2, v[10:11]
	s_delay_alu instid0(VALU_DEP_1) | instskip(NEXT) | instid1(VALU_DEP_2)
	v_add_co_u32 v8, vcc_lo, s20, v8
	v_add_co_ci_u32_e32 v9, vcc_lo, s21, v9, vcc_lo
	s_waitcnt vmcnt(0) lgkmcnt(0)
	v_mul_lo_u32 v12, v13, v12
	global_atomic_add_u32 v[8:9], v12, off
                                        ; implicit-def: $vgpr12_vgpr13
.LBB53_91:
	s_and_not1_saveexec_b32 s0, s0
	s_cbranch_execz .LBB53_93
; %bb.92:
	v_add_co_u32 v8, vcc_lo, s14, v12
	v_add_co_ci_u32_e32 v9, vcc_lo, s15, v13, vcc_lo
	v_subrev_nc_u32_e32 v12, s12, v10
	global_load_i8 v8, v[8:9], off
	ds_load_b32 v9, v14 offset:1024
	s_waitcnt vmcnt(0) lgkmcnt(0)
	v_mul_lo_u32 v8, v9, v8
	v_lshl_add_u32 v9, v12, 2, 0x1000
	ds_add_u32 v9, v8
.LBB53_93:
	s_or_b32 exec_lo, exec_lo, s7
	v_add_co_u32 v8, vcc_lo, s14, v10
	v_add_co_ci_u32_e32 v9, vcc_lo, s15, v11, vcc_lo
	v_cmp_ne_u32_e32 vcc_lo, 1, v16
	v_dual_mov_b32 v10, s16 :: v_dual_mov_b32 v11, s17
	global_load_i8 v8, v[8:9], off
	ds_load_b32 v9, v14 offset:1024
	v_dual_mov_b32 v12, s30 :: v_dual_mov_b32 v13, s31
	s_and_b32 vcc_lo, exec_lo, vcc_lo
	s_waitcnt vmcnt(0) lgkmcnt(0)
	v_mul_lo_u32 v17, v9, v8
	v_add_co_u32 v8, s0, 0x200, v2
	s_delay_alu instid0(VALU_DEP_1)
	v_add_co_ci_u32_e64 v9, s0, 0, v3, s0
	ds_store_b32 v14, v17 offset:1024
	s_cbranch_vccnz .LBB53_97
; %bb.94:
	v_dual_mov_b32 v10, s16 :: v_dual_mov_b32 v11, s17
	v_dual_mov_b32 v12, s30 :: v_dual_mov_b32 v13, s31
	s_mov_b32 s7, 0
	s_set_inst_prefetch_distance 0x1
	.p2align	6
.LBB53_95:                              ; =>This Inner Loop Header: Depth=1
	s_delay_alu instid0(VALU_DEP_1) | instskip(NEXT) | instid1(VALU_DEP_2)
	v_add_co_u32 v2, vcc_lo, v12, v10
	v_add_co_ci_u32_e32 v3, vcc_lo, v13, v11, vcc_lo
	s_delay_alu instid0(VALU_DEP_1) | instskip(NEXT) | instid1(VALU_DEP_1)
	v_lshrrev_b32_e32 v17, 31, v3
	v_add_co_u32 v2, vcc_lo, v2, v17
	v_add_co_ci_u32_e32 v3, vcc_lo, 0, v3, vcc_lo
	s_delay_alu instid0(VALU_DEP_1) | instskip(NEXT) | instid1(VALU_DEP_1)
	v_ashrrev_i64 v[2:3], 1, v[2:3]
	v_lshlrev_b64 v[17:18], 3, v[2:3]
	s_delay_alu instid0(VALU_DEP_1) | instskip(NEXT) | instid1(VALU_DEP_2)
	v_add_co_u32 v17, vcc_lo, s8, v17
	v_add_co_ci_u32_e32 v18, vcc_lo, s9, v18, vcc_lo
	global_load_b64 v[17:18], v[17:18], off
	s_waitcnt vmcnt(0)
	v_sub_co_u32 v17, vcc_lo, v17, s24
	v_subrev_co_ci_u32_e32 v18, vcc_lo, 0, v18, vcc_lo
	s_delay_alu instid0(VALU_DEP_1) | instskip(SKIP_2) | instid1(VALU_DEP_2)
	v_cmp_gt_i64_e32 vcc_lo, v[17:18], v[8:9]
	v_dual_cndmask_b32 v13, v13, v3 :: v_dual_cndmask_b32 v12, v12, v2
	v_dual_cndmask_b32 v11, v3, v11 :: v_dual_cndmask_b32 v10, v2, v10
	v_add_co_u32 v2, vcc_lo, v12, -1
	s_delay_alu instid0(VALU_DEP_3) | instskip(NEXT) | instid1(VALU_DEP_3)
	v_add_co_ci_u32_e32 v3, vcc_lo, -1, v13, vcc_lo
	v_cmp_ge_i64_e32 vcc_lo, v[10:11], v[12:13]
	s_delay_alu instid0(VALU_DEP_2) | instskip(NEXT) | instid1(VALU_DEP_1)
	v_cmp_eq_u64_e64 s0, v[10:11], v[2:3]
	s_or_b32 s0, vcc_lo, s0
	s_delay_alu instid0(SALU_CYCLE_1) | instskip(NEXT) | instid1(SALU_CYCLE_1)
	s_and_b32 s0, exec_lo, s0
	s_or_b32 s7, s0, s7
	s_delay_alu instid0(SALU_CYCLE_1)
	s_and_not1_b32 exec_lo, exec_lo, s7
	s_cbranch_execnz .LBB53_95
; %bb.96:
	s_set_inst_prefetch_distance 0x2
	s_or_b32 exec_lo, exec_lo, s7
.LBB53_97:
	v_lshlrev_b64 v[2:3], 3, v[12:13]
	s_mov_b32 s7, exec_lo
	s_delay_alu instid0(VALU_DEP_1) | instskip(NEXT) | instid1(VALU_DEP_2)
	v_add_co_u32 v2, vcc_lo, s8, v2
	v_add_co_ci_u32_e32 v3, vcc_lo, s9, v3, vcc_lo
	global_load_b64 v[17:18], v[2:3], off
	v_add_co_u32 v2, vcc_lo, 0x1000, v6
	v_add_co_ci_u32_e32 v3, vcc_lo, 0, v7, vcc_lo
	global_load_b64 v[6:7], v[2:3], off
	s_waitcnt vmcnt(1)
	v_sub_co_u32 v17, vcc_lo, v17, s24
	v_subrev_co_ci_u32_e32 v18, vcc_lo, 0, v18, vcc_lo
	s_delay_alu instid0(VALU_DEP_1) | instskip(SKIP_4) | instid1(VALU_DEP_1)
	v_cmp_gt_i64_e32 vcc_lo, v[17:18], v[8:9]
	v_dual_cndmask_b32 v11, v13, v11 :: v_dual_cndmask_b32 v10, v12, v10
	s_waitcnt vmcnt(0)
	v_sub_co_u32 v6, vcc_lo, v6, s24
	v_subrev_co_ci_u32_e32 v7, vcc_lo, 0, v7, vcc_lo
	v_cmpx_ne_u64_e64 v[6:7], v[10:11]
	s_cbranch_execz .LBB53_103
; %bb.98:
	s_load_b64 s[34:35], s[10:11], 0x0
	s_waitcnt lgkmcnt(0)
	s_sub_u32 s34, s34, s24
	s_subb_u32 s35, s35, 0
	s_delay_alu instid0(SALU_CYCLE_1)
	v_cmp_gt_i64_e32 vcc_lo, s[34:35], v[8:9]
	s_and_b32 exec_lo, exec_lo, vcc_lo
	s_cbranch_execz .LBB53_103
; %bb.99:
	v_cmp_gt_i64_e32 vcc_lo, s[12:13], v[6:7]
	v_cmp_le_i64_e64 s0, s[18:19], v[6:7]
	s_delay_alu instid0(VALU_DEP_1) | instskip(NEXT) | instid1(SALU_CYCLE_1)
	s_or_b32 s0, vcc_lo, s0
	s_and_saveexec_b32 s25, s0
	s_delay_alu instid0(SALU_CYCLE_1)
	s_xor_b32 s0, exec_lo, s25
	s_cbranch_execz .LBB53_101
; %bb.100:
	v_add_co_u32 v8, vcc_lo, s14, v10
	v_add_co_ci_u32_e32 v9, vcc_lo, s15, v11, vcc_lo
	ds_load_b32 v11, v14 offset:2048
	global_load_i8 v10, v[8:9], off
	v_lshlrev_b64 v[8:9], 2, v[6:7]
	s_delay_alu instid0(VALU_DEP_1) | instskip(NEXT) | instid1(VALU_DEP_2)
	v_add_co_u32 v8, vcc_lo, s20, v8
	v_add_co_ci_u32_e32 v9, vcc_lo, s21, v9, vcc_lo
	s_waitcnt vmcnt(0) lgkmcnt(0)
	v_mul_lo_u32 v10, v11, v10
	global_atomic_add_u32 v[8:9], v10, off
                                        ; implicit-def: $vgpr10_vgpr11
.LBB53_101:
	s_and_not1_saveexec_b32 s0, s0
	s_cbranch_execz .LBB53_103
; %bb.102:
	v_add_co_u32 v8, vcc_lo, s14, v10
	v_add_co_ci_u32_e32 v9, vcc_lo, s15, v11, vcc_lo
	v_subrev_nc_u32_e32 v10, s12, v6
	global_load_i8 v8, v[8:9], off
	ds_load_b32 v9, v14 offset:2048
	s_waitcnt vmcnt(0) lgkmcnt(0)
	v_mul_lo_u32 v8, v9, v8
	v_lshl_add_u32 v9, v10, 2, 0x1000
	ds_add_u32 v9, v8
.LBB53_103:
	s_or_b32 exec_lo, exec_lo, s7
	v_add_co_u32 v6, vcc_lo, s14, v6
	v_add_co_ci_u32_e32 v7, vcc_lo, s15, v7, vcc_lo
	v_cmp_ne_u32_e32 vcc_lo, 1, v16
	v_dual_mov_b32 v8, s30 :: v_dual_mov_b32 v9, s31
	global_load_i8 v6, v[6:7], off
	ds_load_b32 v7, v14 offset:2048
	s_and_b32 vcc_lo, exec_lo, vcc_lo
	s_waitcnt vmcnt(0) lgkmcnt(0)
	v_mul_lo_u32 v10, v7, v6
	v_dual_mov_b32 v6, s16 :: v_dual_mov_b32 v7, s17
	ds_store_b32 v14, v10 offset:2048
	s_cbranch_vccnz .LBB53_107
; %bb.104:
	v_dual_mov_b32 v6, s16 :: v_dual_mov_b32 v7, s17
	v_dual_mov_b32 v8, s30 :: v_dual_mov_b32 v9, s31
	s_mov_b32 s7, 0
	s_set_inst_prefetch_distance 0x1
	.p2align	6
.LBB53_105:                             ; =>This Inner Loop Header: Depth=1
	s_delay_alu instid0(VALU_DEP_1) | instskip(NEXT) | instid1(VALU_DEP_2)
	v_add_co_u32 v10, vcc_lo, v8, v6
	v_add_co_ci_u32_e32 v11, vcc_lo, v9, v7, vcc_lo
	s_delay_alu instid0(VALU_DEP_1) | instskip(NEXT) | instid1(VALU_DEP_1)
	v_lshrrev_b32_e32 v12, 31, v11
	v_add_co_u32 v10, vcc_lo, v10, v12
	v_add_co_ci_u32_e32 v11, vcc_lo, 0, v11, vcc_lo
	s_delay_alu instid0(VALU_DEP_1) | instskip(NEXT) | instid1(VALU_DEP_1)
	v_ashrrev_i64 v[10:11], 1, v[10:11]
	v_lshlrev_b64 v[12:13], 3, v[10:11]
	s_delay_alu instid0(VALU_DEP_1) | instskip(NEXT) | instid1(VALU_DEP_2)
	v_add_co_u32 v12, vcc_lo, s8, v12
	v_add_co_ci_u32_e32 v13, vcc_lo, s9, v13, vcc_lo
	global_load_b64 v[12:13], v[12:13], off
	s_waitcnt vmcnt(0)
	v_sub_co_u32 v12, vcc_lo, v12, s24
	v_subrev_co_ci_u32_e32 v13, vcc_lo, 0, v13, vcc_lo
	s_delay_alu instid0(VALU_DEP_1) | instskip(SKIP_2) | instid1(VALU_DEP_2)
	v_cmp_gt_i64_e32 vcc_lo, v[12:13], v[4:5]
	v_dual_cndmask_b32 v9, v9, v11 :: v_dual_cndmask_b32 v8, v8, v10
	v_dual_cndmask_b32 v7, v11, v7 :: v_dual_cndmask_b32 v6, v10, v6
	v_add_co_u32 v10, vcc_lo, v8, -1
	s_delay_alu instid0(VALU_DEP_3) | instskip(NEXT) | instid1(VALU_DEP_3)
	v_add_co_ci_u32_e32 v11, vcc_lo, -1, v9, vcc_lo
	v_cmp_ge_i64_e32 vcc_lo, v[6:7], v[8:9]
	s_delay_alu instid0(VALU_DEP_2) | instskip(NEXT) | instid1(VALU_DEP_1)
	v_cmp_eq_u64_e64 s0, v[6:7], v[10:11]
	s_or_b32 s0, vcc_lo, s0
	s_delay_alu instid0(SALU_CYCLE_1) | instskip(NEXT) | instid1(SALU_CYCLE_1)
	s_and_b32 s0, exec_lo, s0
	s_or_b32 s7, s0, s7
	s_delay_alu instid0(SALU_CYCLE_1)
	s_and_not1_b32 exec_lo, exec_lo, s7
	s_cbranch_execnz .LBB53_105
; %bb.106:
	s_set_inst_prefetch_distance 0x2
	s_or_b32 exec_lo, exec_lo, s7
.LBB53_107:
	v_lshlrev_b64 v[10:11], 3, v[8:9]
	s_mov_b32 s7, exec_lo
	s_delay_alu instid0(VALU_DEP_1) | instskip(NEXT) | instid1(VALU_DEP_2)
	v_add_co_u32 v10, vcc_lo, s8, v10
	v_add_co_ci_u32_e32 v11, vcc_lo, s9, v11, vcc_lo
	global_load_b64 v[10:11], v[10:11], off
	global_load_b64 v[2:3], v[2:3], off offset:2048
	s_waitcnt vmcnt(1)
	v_sub_co_u32 v10, vcc_lo, v10, s24
	v_subrev_co_ci_u32_e32 v11, vcc_lo, 0, v11, vcc_lo
	s_delay_alu instid0(VALU_DEP_1) | instskip(SKIP_4) | instid1(VALU_DEP_1)
	v_cmp_gt_i64_e32 vcc_lo, v[10:11], v[4:5]
	v_dual_cndmask_b32 v7, v9, v7 :: v_dual_cndmask_b32 v6, v8, v6
	s_waitcnt vmcnt(0)
	v_sub_co_u32 v2, vcc_lo, v2, s24
	v_subrev_co_ci_u32_e32 v3, vcc_lo, 0, v3, vcc_lo
	v_cmpx_ne_u64_e64 v[2:3], v[6:7]
	s_cbranch_execz .LBB53_113
; %bb.108:
	s_load_b64 s[10:11], s[10:11], 0x0
	s_waitcnt lgkmcnt(0)
	s_sub_u32 s10, s10, s24
	s_subb_u32 s11, s11, 0
	s_delay_alu instid0(SALU_CYCLE_1)
	v_cmp_gt_i64_e32 vcc_lo, s[10:11], v[4:5]
	s_and_b32 exec_lo, exec_lo, vcc_lo
	s_cbranch_execz .LBB53_113
; %bb.109:
	v_cmp_gt_i64_e32 vcc_lo, s[12:13], v[2:3]
	v_cmp_le_i64_e64 s0, s[18:19], v[2:3]
	s_delay_alu instid0(VALU_DEP_1) | instskip(NEXT) | instid1(SALU_CYCLE_1)
	s_or_b32 s0, vcc_lo, s0
	s_and_saveexec_b32 s10, s0
	s_delay_alu instid0(SALU_CYCLE_1)
	s_xor_b32 s0, exec_lo, s10
	s_cbranch_execz .LBB53_111
; %bb.110:
	v_add_co_u32 v4, vcc_lo, s14, v6
	v_add_co_ci_u32_e32 v5, vcc_lo, s15, v7, vcc_lo
	ds_load_b32 v7, v14 offset:3072
	global_load_i8 v6, v[4:5], off
	v_lshlrev_b64 v[4:5], 2, v[2:3]
	s_delay_alu instid0(VALU_DEP_1) | instskip(NEXT) | instid1(VALU_DEP_2)
	v_add_co_u32 v4, vcc_lo, s20, v4
	v_add_co_ci_u32_e32 v5, vcc_lo, s21, v5, vcc_lo
	s_waitcnt vmcnt(0) lgkmcnt(0)
	v_mul_lo_u32 v6, v7, v6
	global_atomic_add_u32 v[4:5], v6, off
                                        ; implicit-def: $vgpr6_vgpr7
.LBB53_111:
	s_and_not1_saveexec_b32 s0, s0
	s_cbranch_execz .LBB53_113
; %bb.112:
	v_add_co_u32 v4, vcc_lo, s14, v6
	v_add_co_ci_u32_e32 v5, vcc_lo, s15, v7, vcc_lo
	v_subrev_nc_u32_e32 v6, s12, v2
	global_load_i8 v4, v[4:5], off
	ds_load_b32 v5, v14 offset:3072
	s_waitcnt vmcnt(0) lgkmcnt(0)
	v_mul_lo_u32 v4, v5, v4
	v_lshl_add_u32 v5, v6, 2, 0x1000
	ds_add_u32 v5, v4
.LBB53_113:
	s_or_b32 exec_lo, exec_lo, s7
	v_add_co_u32 v2, vcc_lo, s14, v2
	v_add_co_ci_u32_e32 v3, vcc_lo, s15, v3, vcc_lo
	global_load_i8 v2, v[2:3], off
	ds_load_b32 v3, v14 offset:3072
	s_waitcnt vmcnt(0) lgkmcnt(0)
	v_mul_lo_u32 v2, v3, v2
	ds_store_b32 v14, v2 offset:3072
.LBB53_114:
	s_or_b32 exec_lo, exec_lo, s1
	v_cmp_lt_i64_e64 s0, s[18:19], s[2:3]
	s_mov_b32 s7, exec_lo
	s_waitcnt lgkmcnt(0)
	s_waitcnt_vscnt null, 0x0
	s_barrier
	buffer_gl0_inv
	s_and_b32 s0, s0, exec_lo
	s_cselect_b32 s1, s18, s2
	s_cselect_b32 s0, s19, s3
	s_sub_u32 s10, s1, s22
	s_subb_u32 s11, s0, s23
	s_delay_alu instid0(SALU_CYCLE_1)
	v_cmpx_gt_i64_e64 s[10:11], v[0:1]
	s_cbranch_execz .LBB53_117
; %bb.115:
	v_cmp_gt_i64_e64 s0, s[18:19], s[2:3]
	v_dual_mov_b32 v5, v1 :: v_dual_lshlrev_b32 v2, 2, v0
	v_mov_b32_e32 v4, v0
	s_delay_alu instid0(VALU_DEP_3) | instskip(SKIP_4) | instid1(SALU_CYCLE_1)
	s_and_b32 s0, s0, exec_lo
	s_cselect_b32 s13, s19, s3
	s_cselect_b32 s12, s18, s2
	s_lshl_b64 s[2:3], s[2:3], 2
	s_lshl_b64 s[12:13], s[12:13], 2
	v_add_co_u32 v2, s0, s12, v2
	s_delay_alu instid0(VALU_DEP_1) | instskip(NEXT) | instid1(VALU_DEP_2)
	v_add_co_ci_u32_e64 v3, null, s13, 0, s0
	v_sub_co_u32 v2, vcc_lo, v2, s2
	s_delay_alu instid0(VALU_DEP_2) | instskip(SKIP_1) | instid1(VALU_DEP_2)
	v_subrev_co_ci_u32_e32 v3, vcc_lo, s3, v3, vcc_lo
	s_mov_b32 s2, 0
	v_add_co_u32 v2, vcc_lo, s20, v2
	s_delay_alu instid0(VALU_DEP_2)
	v_add_co_ci_u32_e32 v3, vcc_lo, s21, v3, vcc_lo
	.p2align	6
.LBB53_116:                             ; =>This Inner Loop Header: Depth=1
	ds_load_b32 v6, v15
	v_add_co_u32 v4, vcc_lo, 0x100, v4
	v_add_co_ci_u32_e32 v5, vcc_lo, 0, v5, vcc_lo
	v_add_nc_u32_e32 v15, 0x400, v15
	s_delay_alu instid0(VALU_DEP_2) | instskip(SKIP_4) | instid1(VALU_DEP_1)
	v_cmp_le_i64_e32 vcc_lo, s[10:11], v[4:5]
	s_or_b32 s2, vcc_lo, s2
	s_waitcnt lgkmcnt(0)
	global_atomic_add_u32 v[2:3], v6, off
	v_add_co_u32 v2, s0, 0x400, v2
	v_add_co_ci_u32_e64 v3, s0, 0, v3, s0
	s_and_not1_b32 exec_lo, exec_lo, s2
	s_cbranch_execnz .LBB53_116
.LBB53_117:
	s_or_b32 exec_lo, exec_lo, s7
	s_add_i32 s0, s28, -1
	v_add_co_u32 v6, s7, s16, v0
	s_ashr_i32 s2, s0, 1
	v_add_co_ci_u32_e64 v7, null, s17, 0, s7
	s_or_b32 s0, s2, s0
	s_waitcnt_vscnt null, 0x0
	s_ashr_i32 s2, s0, 2
	s_barrier
	s_or_b32 s0, s2, s0
	buffer_gl0_inv
	s_ashr_i32 s2, s0, 4
	s_delay_alu instid0(SALU_CYCLE_1) | instskip(NEXT) | instid1(SALU_CYCLE_1)
	s_or_b32 s0, s2, s0
	s_ashr_i32 s2, s0, 8
	s_delay_alu instid0(SALU_CYCLE_1) | instskip(NEXT) | instid1(SALU_CYCLE_1)
	s_or_b32 s0, s2, s0
	s_ashr_i32 s2, s0, 16
	s_delay_alu instid0(SALU_CYCLE_1) | instskip(SKIP_2) | instid1(SALU_CYCLE_1)
	s_or_b32 s2, s2, s0
	s_mov_b32 s0, -1
	s_add_i32 s2, s2, 1
	s_ashr_i32 s3, s2, 1
	s_delay_alu instid0(SALU_CYCLE_1)
	s_cmp_gt_i32 s3, 1
	s_cbranch_scc1 .LBB53_126
; %bb.118:
	s_mov_b32 s0, exec_lo
	v_cmpx_gt_i64_e64 s[18:19], v[6:7]
	s_cbranch_execz .LBB53_125
; %bb.119:
	s_sub_i32 s1, s1, s18
	v_dual_mov_b32 v9, v7 :: v_dual_mov_b32 v8, v6
	s_lshl_b32 s11, s4, 2
	s_lshl_b32 s1, s1, 2
	s_mov_b32 s7, 0
	s_addk_i32 s1, 0x1000
	s_sub_i32 s11, 0, s11
	s_branch .LBB53_121
.LBB53_120:                             ;   in Loop: Header=BB53_121 Depth=1
	s_or_b32 exec_lo, exec_lo, s12
	v_lshl_add_u32 v2, v8, 2, s1
	ds_load_b32 v4, v2
	v_lshlrev_b64 v[2:3], 2, v[8:9]
	s_delay_alu instid0(VALU_DEP_1) | instskip(NEXT) | instid1(VALU_DEP_2)
	v_add_co_u32 v2, vcc_lo, s20, v2
	v_add_co_ci_u32_e32 v3, vcc_lo, s21, v3, vcc_lo
	v_add_co_u32 v8, vcc_lo, v8, s6
	v_add_co_ci_u32_e32 v9, vcc_lo, 0, v9, vcc_lo
	s_delay_alu instid0(VALU_DEP_1)
	v_cmp_le_i64_e32 vcc_lo, s[18:19], v[8:9]
	s_waitcnt lgkmcnt(0)
	v_add_nc_u32_e32 v4, v4, v12
	s_or_b32 s7, vcc_lo, s7
	global_atomic_add_u32 v[2:3], v4, off
	s_and_not1_b32 exec_lo, exec_lo, s7
	s_cbranch_execz .LBB53_125
.LBB53_121:                             ; =>This Loop Header: Depth=1
                                        ;     Child Loop BB53_123 Depth 2
	v_lshlrev_b64 v[2:3], 3, v[8:9]
	v_mov_b32_e32 v12, 0
	s_mov_b32 s12, exec_lo
	s_delay_alu instid0(VALU_DEP_2) | instskip(NEXT) | instid1(VALU_DEP_3)
	v_add_co_u32 v2, vcc_lo, s8, v2
	v_add_co_ci_u32_e32 v3, vcc_lo, s9, v3, vcc_lo
	global_load_b128 v[2:5], v[2:3], off
	s_waitcnt vmcnt(0)
	v_cmpx_lt_i64_e64 v[2:3], v[4:5]
	s_cbranch_execz .LBB53_120
; %bb.122:                              ;   in Loop: Header=BB53_121 Depth=1
	v_sub_co_u32 v4, vcc_lo, v4, s4
	v_subrev_co_ci_u32_e32 v5, vcc_lo, s5, v5, vcc_lo
	v_sub_co_u32 v10, vcc_lo, v2, s4
	v_subrev_co_ci_u32_e32 v11, vcc_lo, s5, v3, vcc_lo
	v_lshl_add_u32 v2, v2, 2, s11
	v_mov_b32_e32 v12, 0
	s_mov_b32 s13, 0
.LBB53_123:                             ;   Parent Loop BB53_121 Depth=1
                                        ; =>  This Inner Loop Header: Depth=2
	ds_load_b32 v3, v2
	v_add_co_u32 v10, vcc_lo, v10, 1
	v_add_co_ci_u32_e32 v11, vcc_lo, 0, v11, vcc_lo
	v_add_nc_u32_e32 v2, 4, v2
	s_delay_alu instid0(VALU_DEP_2)
	v_cmp_ge_i64_e32 vcc_lo, v[10:11], v[4:5]
	s_or_b32 s13, vcc_lo, s13
	s_waitcnt lgkmcnt(0)
	v_add_nc_u32_e32 v12, v3, v12
	s_and_not1_b32 exec_lo, exec_lo, s13
	s_cbranch_execnz .LBB53_123
; %bb.124:                              ;   in Loop: Header=BB53_121 Depth=1
	s_or_b32 exec_lo, exec_lo, s13
	s_branch .LBB53_120
.LBB53_125:
	s_or_b32 exec_lo, exec_lo, s0
	s_mov_b32 s0, 0
.LBB53_126:
	s_delay_alu instid0(SALU_CYCLE_1)
	s_and_not1_b32 vcc_lo, exec_lo, s0
	s_cbranch_vccnz .LBB53_153
; %bb.127:
	v_cvt_f32_u32_e32 v13, s3
	s_sub_i32 s1, 0, s3
	v_mov_b32_e32 v11, 0
	s_delay_alu instid0(VALU_DEP_2) | instskip(SKIP_2) | instid1(VALU_DEP_1)
	v_rcp_iflag_f32_e32 v2, v13
	s_waitcnt_depctr 0xfff
	v_mul_f32_e32 v2, 0x4f7ffffe, v2
	v_cvt_u32_f32_e32 v2, v2
	s_delay_alu instid0(VALU_DEP_1) | instskip(NEXT) | instid1(VALU_DEP_1)
	v_mul_lo_u32 v3, s1, v2
	v_mul_hi_u32 v3, v2, v3
	s_delay_alu instid0(VALU_DEP_1) | instskip(NEXT) | instid1(VALU_DEP_1)
	v_add_nc_u32_e32 v2, v2, v3
	v_mul_hi_u32 v2, v0, v2
	s_delay_alu instid0(VALU_DEP_1) | instskip(SKIP_1) | instid1(VALU_DEP_2)
	v_mul_lo_u32 v3, v2, s3
	v_add_nc_u32_e32 v4, 1, v2
	v_sub_nc_u32_e32 v3, v0, v3
	s_delay_alu instid0(VALU_DEP_1) | instskip(SKIP_1) | instid1(VALU_DEP_2)
	v_subrev_nc_u32_e32 v5, s3, v3
	v_cmp_le_u32_e32 vcc_lo, s3, v3
	v_dual_cndmask_b32 v2, v2, v4 :: v_dual_cndmask_b32 v3, v3, v5
	s_delay_alu instid0(VALU_DEP_1) | instskip(NEXT) | instid1(VALU_DEP_2)
	v_add_nc_u32_e32 v4, 1, v2
	v_cmp_le_u32_e32 vcc_lo, s3, v3
	s_delay_alu instid0(VALU_DEP_2) | instskip(NEXT) | instid1(VALU_DEP_1)
	v_cndmask_b32_e32 v10, v2, v4, vcc_lo
	v_lshlrev_b64 v[2:3], 3, v[10:11]
	s_delay_alu instid0(VALU_DEP_1) | instskip(NEXT) | instid1(VALU_DEP_2)
	v_add_co_u32 v2, vcc_lo, s26, v2
	v_add_co_ci_u32_e32 v3, vcc_lo, s27, v3, vcc_lo
	global_load_b128 v[2:5], v[2:3], off
	s_waitcnt vmcnt(0)
	v_sub_co_u32 v8, vcc_lo, v2, s4
	v_subrev_co_ci_u32_e32 v9, vcc_lo, s5, v3, vcc_lo
	v_sub_co_u32 v15, vcc_lo, v4, s4
	v_subrev_co_ci_u32_e32 v16, vcc_lo, s5, v5, vcc_lo
	v_mov_b32_e32 v4, v11
	s_delay_alu instid0(VALU_DEP_3) | instskip(NEXT) | instid1(VALU_DEP_3)
	v_sub_co_u32 v12, vcc_lo, v15, v8
	v_sub_co_ci_u32_e32 v5, vcc_lo, v16, v9, vcc_lo
	s_delay_alu instid0(VALU_DEP_1) | instskip(SKIP_1) | instid1(SALU_CYCLE_1)
	v_cmp_ne_u64_e32 vcc_lo, 0, v[4:5]
                                        ; implicit-def: $vgpr3_vgpr4
	s_and_saveexec_b32 s0, vcc_lo
	s_xor_b32 s5, exec_lo, s0
	s_cbranch_execz .LBB53_129
; %bb.128:
	v_cvt_f32_ubyte0_e32 v3, 0
	s_sub_u32 s0, 0, s3
	s_subb_u32 s6, 0, 0
	s_delay_alu instid0(VALU_DEP_1) | instskip(NEXT) | instid1(VALU_DEP_1)
	v_fmamk_f32 v3, v3, 0x4f800000, v13
	v_rcp_f32_e32 v3, v3
	s_waitcnt_depctr 0xfff
	v_mul_f32_e32 v3, 0x5f7ffffc, v3
	s_delay_alu instid0(VALU_DEP_1) | instskip(NEXT) | instid1(VALU_DEP_1)
	v_mul_f32_e32 v4, 0x2f800000, v3
	v_trunc_f32_e32 v4, v4
	s_delay_alu instid0(VALU_DEP_1) | instskip(SKIP_1) | instid1(VALU_DEP_2)
	v_fmamk_f32 v3, v4, 0xcf800000, v3
	v_cvt_u32_f32_e32 v4, v4
	v_cvt_u32_f32_e32 v3, v3
	s_delay_alu instid0(VALU_DEP_2) | instskip(NEXT) | instid1(VALU_DEP_2)
	v_mul_lo_u32 v13, s0, v4
	v_mul_hi_u32 v17, s0, v3
	v_mul_lo_u32 v18, s6, v3
	s_delay_alu instid0(VALU_DEP_2) | instskip(SKIP_1) | instid1(VALU_DEP_2)
	v_add_nc_u32_e32 v13, v17, v13
	v_mul_lo_u32 v17, s0, v3
	v_add_nc_u32_e32 v13, v13, v18
	s_delay_alu instid0(VALU_DEP_2) | instskip(NEXT) | instid1(VALU_DEP_2)
	v_mul_hi_u32 v18, v3, v17
	v_mul_lo_u32 v19, v3, v13
	v_mul_hi_u32 v20, v3, v13
	v_mul_hi_u32 v21, v4, v17
	v_mul_lo_u32 v17, v4, v17
	v_mul_hi_u32 v22, v4, v13
	v_mul_lo_u32 v13, v4, v13
	v_add_co_u32 v18, vcc_lo, v18, v19
	v_add_co_ci_u32_e32 v19, vcc_lo, 0, v20, vcc_lo
	s_delay_alu instid0(VALU_DEP_2) | instskip(NEXT) | instid1(VALU_DEP_2)
	v_add_co_u32 v17, vcc_lo, v18, v17
	v_add_co_ci_u32_e32 v17, vcc_lo, v19, v21, vcc_lo
	v_add_co_ci_u32_e32 v18, vcc_lo, 0, v22, vcc_lo
	v_ashrrev_i32_e32 v21, 31, v5
	s_delay_alu instid0(VALU_DEP_3) | instskip(NEXT) | instid1(VALU_DEP_3)
	v_add_co_u32 v13, vcc_lo, v17, v13
	v_add_co_ci_u32_e32 v17, vcc_lo, 0, v18, vcc_lo
	s_delay_alu instid0(VALU_DEP_2) | instskip(NEXT) | instid1(VALU_DEP_2)
	v_add_co_u32 v3, vcc_lo, v3, v13
	v_add_co_ci_u32_e32 v4, vcc_lo, v4, v17, vcc_lo
	s_delay_alu instid0(VALU_DEP_2) | instskip(SKIP_1) | instid1(VALU_DEP_3)
	v_mul_hi_u32 v13, s0, v3
	v_mul_lo_u32 v18, s6, v3
	v_mul_lo_u32 v17, s0, v4
	s_delay_alu instid0(VALU_DEP_1) | instskip(SKIP_1) | instid1(VALU_DEP_2)
	v_add_nc_u32_e32 v13, v13, v17
	v_mul_lo_u32 v17, s0, v3
	v_add_nc_u32_e32 v13, v13, v18
	s_delay_alu instid0(VALU_DEP_2) | instskip(NEXT) | instid1(VALU_DEP_2)
	v_mul_hi_u32 v18, v3, v17
	v_mul_lo_u32 v19, v3, v13
	v_mul_hi_u32 v20, v3, v13
	v_mul_hi_u32 v22, v4, v17
	v_mul_lo_u32 v17, v4, v17
	v_mul_hi_u32 v23, v4, v13
	v_mul_lo_u32 v13, v4, v13
	v_add_co_u32 v18, vcc_lo, v18, v19
	v_add_co_ci_u32_e32 v19, vcc_lo, 0, v20, vcc_lo
	s_delay_alu instid0(VALU_DEP_2) | instskip(NEXT) | instid1(VALU_DEP_2)
	v_add_co_u32 v17, vcc_lo, v18, v17
	v_add_co_ci_u32_e32 v17, vcc_lo, v19, v22, vcc_lo
	v_add_co_ci_u32_e32 v18, vcc_lo, 0, v23, vcc_lo
	v_add_co_u32 v12, vcc_lo, v12, v21
	v_add_co_ci_u32_e32 v5, vcc_lo, v5, v21, vcc_lo
	s_delay_alu instid0(VALU_DEP_4) | instskip(NEXT) | instid1(VALU_DEP_4)
	v_add_co_u32 v13, vcc_lo, v17, v13
	v_add_co_ci_u32_e32 v17, vcc_lo, 0, v18, vcc_lo
	s_delay_alu instid0(VALU_DEP_4) | instskip(NEXT) | instid1(VALU_DEP_3)
	v_xor_b32_e32 v19, v12, v21
	v_add_co_u32 v18, vcc_lo, v3, v13
	s_delay_alu instid0(VALU_DEP_3) | instskip(SKIP_1) | instid1(VALU_DEP_3)
	v_add_co_ci_u32_e32 v20, vcc_lo, v4, v17, vcc_lo
	v_xor_b32_e32 v5, v5, v21
	v_mul_hi_u32 v22, v19, v18
	s_delay_alu instid0(VALU_DEP_3) | instskip(NEXT) | instid1(VALU_DEP_3)
	v_mad_u64_u32 v[3:4], null, v19, v20, 0
	v_mad_u64_u32 v[12:13], null, v5, v18, 0
	;; [unrolled: 1-line block ×3, first 2 shown]
	s_delay_alu instid0(VALU_DEP_3) | instskip(NEXT) | instid1(VALU_DEP_4)
	v_add_co_u32 v3, vcc_lo, v22, v3
	v_add_co_ci_u32_e32 v4, vcc_lo, 0, v4, vcc_lo
	s_delay_alu instid0(VALU_DEP_2) | instskip(NEXT) | instid1(VALU_DEP_2)
	v_add_co_u32 v3, vcc_lo, v3, v12
	v_add_co_ci_u32_e32 v3, vcc_lo, v4, v13, vcc_lo
	v_add_co_ci_u32_e32 v4, vcc_lo, 0, v18, vcc_lo
	s_delay_alu instid0(VALU_DEP_2) | instskip(NEXT) | instid1(VALU_DEP_2)
	v_add_co_u32 v17, vcc_lo, v3, v17
	v_add_co_ci_u32_e32 v18, vcc_lo, 0, v4, vcc_lo
	s_delay_alu instid0(VALU_DEP_2) | instskip(NEXT) | instid1(VALU_DEP_1)
	v_mad_u64_u32 v[3:4], null, s3, v17, 0
	v_mad_u64_u32 v[12:13], null, s3, v18, v[4:5]
	s_delay_alu instid0(VALU_DEP_2) | instskip(NEXT) | instid1(VALU_DEP_2)
	v_sub_co_u32 v3, vcc_lo, v19, v3
	v_sub_co_ci_u32_e32 v4, vcc_lo, v5, v12, vcc_lo
	s_delay_alu instid0(VALU_DEP_2) | instskip(NEXT) | instid1(VALU_DEP_2)
	v_sub_co_u32 v5, vcc_lo, v3, s3
	v_subrev_co_ci_u32_e32 v12, vcc_lo, 0, v4, vcc_lo
	s_delay_alu instid0(VALU_DEP_2)
	v_cmp_le_u32_e32 vcc_lo, s3, v5
	v_cmp_eq_u32_e64 s0, 0, v4
	v_cndmask_b32_e64 v5, 0, -1, vcc_lo
	v_add_co_u32 v13, vcc_lo, v17, 2
	v_add_co_ci_u32_e32 v19, vcc_lo, 0, v18, vcc_lo
	v_cmp_le_u32_e32 vcc_lo, s3, v3
	v_cndmask_b32_e64 v3, 0, -1, vcc_lo
	v_cmp_eq_u32_e32 vcc_lo, 0, v12
	s_delay_alu instid0(VALU_DEP_2) | instskip(SKIP_3) | instid1(VALU_DEP_3)
	v_cndmask_b32_e64 v3, -1, v3, s0
	v_cndmask_b32_e32 v5, -1, v5, vcc_lo
	v_add_co_u32 v12, vcc_lo, v17, 1
	v_add_co_ci_u32_e32 v20, vcc_lo, 0, v18, vcc_lo
	v_cmp_ne_u32_e32 vcc_lo, 0, v5
	s_delay_alu instid0(VALU_DEP_2) | instskip(NEXT) | instid1(VALU_DEP_4)
	v_cndmask_b32_e32 v4, v20, v19, vcc_lo
	v_cndmask_b32_e32 v5, v12, v13, vcc_lo
	v_cmp_ne_u32_e32 vcc_lo, 0, v3
                                        ; implicit-def: $vgpr12
	s_delay_alu instid0(VALU_DEP_2) | instskip(NEXT) | instid1(VALU_DEP_1)
	v_dual_cndmask_b32 v3, v18, v4 :: v_dual_cndmask_b32 v4, v17, v5
	v_xor_b32_e32 v5, v3, v21
	s_delay_alu instid0(VALU_DEP_2) | instskip(NEXT) | instid1(VALU_DEP_1)
	v_xor_b32_e32 v4, v4, v21
	v_sub_co_u32 v3, vcc_lo, v4, v21
	s_delay_alu instid0(VALU_DEP_3)
	v_sub_co_ci_u32_e32 v4, vcc_lo, v5, v21, vcc_lo
.LBB53_129:
	s_and_not1_saveexec_b32 s0, s5
	s_cbranch_execz .LBB53_131
; %bb.130:
	v_cvt_f32_u32_e32 v3, s3
	s_delay_alu instid0(VALU_DEP_1) | instskip(SKIP_2) | instid1(VALU_DEP_1)
	v_rcp_iflag_f32_e32 v3, v3
	s_waitcnt_depctr 0xfff
	v_mul_f32_e32 v3, 0x4f7ffffe, v3
	v_cvt_u32_f32_e32 v3, v3
	s_delay_alu instid0(VALU_DEP_1) | instskip(NEXT) | instid1(VALU_DEP_1)
	v_mul_lo_u32 v4, s1, v3
	v_mul_hi_u32 v4, v3, v4
	s_delay_alu instid0(VALU_DEP_1) | instskip(NEXT) | instid1(VALU_DEP_1)
	v_add_nc_u32_e32 v3, v3, v4
	v_mul_hi_u32 v3, v12, v3
	s_delay_alu instid0(VALU_DEP_1) | instskip(SKIP_1) | instid1(VALU_DEP_2)
	v_mul_lo_u32 v4, v3, s3
	v_add_nc_u32_e32 v5, 1, v3
	v_sub_nc_u32_e32 v4, v12, v4
	s_delay_alu instid0(VALU_DEP_1) | instskip(SKIP_1) | instid1(VALU_DEP_2)
	v_subrev_nc_u32_e32 v12, s3, v4
	v_cmp_le_u32_e32 vcc_lo, s3, v4
	v_dual_cndmask_b32 v4, v4, v12 :: v_dual_cndmask_b32 v3, v3, v5
	s_delay_alu instid0(VALU_DEP_1) | instskip(NEXT) | instid1(VALU_DEP_2)
	v_cmp_le_u32_e32 vcc_lo, s3, v4
	v_dual_mov_b32 v4, 0 :: v_dual_add_nc_u32 v5, 1, v3
	s_delay_alu instid0(VALU_DEP_1)
	v_cndmask_b32_e32 v3, v3, v5, vcc_lo
.LBB53_131:
	s_or_b32 exec_lo, exec_lo, s0
	v_mov_b32_e32 v5, 0
	s_mov_b32 s5, exec_lo
	v_cmpx_gt_i64_e64 s[22:23], v[10:11]
	s_cbranch_execz .LBB53_145
; %bb.132:
	s_add_i32 s0, s3, -1
	s_mov_b32 s6, exec_lo
	v_dual_mov_b32 v5, 0 :: v_dual_and_b32 v10, s0, v0
	v_cmpx_lt_i64_e32 0, v[3:4]
	s_cbranch_execz .LBB53_142
; %bb.133:
	v_mov_b32_e32 v11, 0
	v_dual_mov_b32 v12, 0 :: v_dual_mov_b32 v5, 0
	s_mov_b32 s7, exec_lo
	v_cmpx_lt_u64_e32 3, v[3:4]
	s_cbranch_execz .LBB53_137
; %bb.134:
	v_lshlrev_b32_e32 v5, 2, v2
	s_lshl_b32 s0, s3, 2
	s_lshl_b32 s1, s4, 2
	v_and_b32_e32 v12, 0x7fffffff, v4
	v_and_b32_e32 v11, -4, v3
	v_lshl_add_u32 v13, v10, 2, v5
	v_mov_b32_e32 v5, 0
	s_sub_i32 s8, s0, s1
	s_lshl_b32 s0, s3, 3
	s_mul_i32 s12, s3, 12
	s_lshl_b32 s9, s3, 4
	s_sub_i32 s11, s0, s1
	s_sub_i32 s12, s12, s1
	s_mov_b32 s13, 0
	s_sub_i32 s14, 0, s1
	s_mov_b64 s[0:1], 0
	.p2align	6
.LBB53_135:                             ; =>This Inner Loop Header: Depth=1
	v_add_nc_u32_e32 v17, s14, v13
	v_add_nc_u32_e32 v18, s8, v13
	;; [unrolled: 1-line block ×4, first 2 shown]
	s_add_u32 s0, s0, 4
	ds_load_b32 v17, v17
	ds_load_b32 v18, v18
	;; [unrolled: 1-line block ×4, first 2 shown]
	s_addc_u32 s1, s1, 0
	v_add_nc_u32_e32 v13, s9, v13
	v_cmp_eq_u64_e32 vcc_lo, s[0:1], v[11:12]
	s_or_b32 s13, vcc_lo, s13
	s_waitcnt lgkmcnt(2)
	v_add3_u32 v5, v17, v5, v18
	s_waitcnt lgkmcnt(0)
	s_delay_alu instid0(VALU_DEP_1)
	v_add3_u32 v5, v19, v5, v20
	s_and_not1_b32 exec_lo, exec_lo, s13
	s_cbranch_execnz .LBB53_135
; %bb.136:
	s_or_b32 exec_lo, exec_lo, s13
.LBB53_137:
	s_delay_alu instid0(SALU_CYCLE_1) | instskip(SKIP_2) | instid1(VALU_DEP_1)
	s_or_b32 exec_lo, exec_lo, s7
	v_dual_mov_b32 v13, 0 :: v_dual_and_b32 v12, 3, v3
	s_mov_b32 s0, exec_lo
	v_cmpx_ne_u64_e32 0, v[12:13]
	s_cbranch_execz .LBB53_141
; %bb.138:
	v_mul_lo_u32 v11, s3, v11
	s_mov_b32 s1, 0
	s_delay_alu instid0(VALU_DEP_1) | instskip(NEXT) | instid1(VALU_DEP_1)
	v_add3_u32 v2, v10, v11, v2
	v_subrev_nc_u32_e32 v2, s4, v2
	s_lshl_b32 s4, s3, 2
	s_delay_alu instid0(VALU_DEP_1)
	v_lshlrev_b32_e32 v2, 2, v2
.LBB53_139:                             ; =>This Inner Loop Header: Depth=1
	ds_load_b32 v11, v2
	v_add_co_u32 v12, vcc_lo, v12, -1
	v_add_co_ci_u32_e32 v13, vcc_lo, -1, v13, vcc_lo
	v_add_nc_u32_e32 v2, s4, v2
	s_delay_alu instid0(VALU_DEP_2)
	v_cmp_eq_u64_e32 vcc_lo, 0, v[12:13]
	s_or_b32 s1, vcc_lo, s1
	s_waitcnt lgkmcnt(0)
	v_add_nc_u32_e32 v5, v11, v5
	s_and_not1_b32 exec_lo, exec_lo, s1
	s_cbranch_execnz .LBB53_139
; %bb.140:
	s_or_b32 exec_lo, exec_lo, s1
.LBB53_141:
	s_delay_alu instid0(SALU_CYCLE_1)
	s_or_b32 exec_lo, exec_lo, s0
.LBB53_142:
	s_delay_alu instid0(SALU_CYCLE_1) | instskip(SKIP_3) | instid1(VALU_DEP_2)
	s_or_b32 exec_lo, exec_lo, s6
	v_mad_u64_u32 v[12:13], null, v3, s3, v[8:9]
	v_mov_b32_e32 v11, 0
	s_mov_b32 s0, exec_lo
	v_mov_b32_e32 v2, v13
	s_delay_alu instid0(VALU_DEP_1) | instskip(NEXT) | instid1(VALU_DEP_4)
	v_mad_u64_u32 v[8:9], null, v4, s3, v[2:3]
	v_sub_co_u32 v2, vcc_lo, v15, v12
	s_delay_alu instid0(VALU_DEP_2) | instskip(NEXT) | instid1(VALU_DEP_1)
	v_mov_b32_e32 v3, v8
	v_sub_co_ci_u32_e32 v3, vcc_lo, v16, v3, vcc_lo
	s_delay_alu instid0(VALU_DEP_1)
	v_cmpx_gt_i64_e64 v[2:3], v[10:11]
	s_cbranch_execz .LBB53_144
; %bb.143:
	v_add_lshl_u32 v2, v10, v12, 2
	ds_load_b32 v2, v2
	s_waitcnt lgkmcnt(0)
	v_add_nc_u32_e32 v5, v2, v5
.LBB53_144:
	s_or_b32 exec_lo, exec_lo, s0
.LBB53_145:
	s_delay_alu instid0(SALU_CYCLE_1)
	s_or_b32 exec_lo, exec_lo, s5
	s_waitcnt_vscnt null, 0x0
	s_barrier
	buffer_gl0_inv
	ds_store_b32 v14, v5
	s_waitcnt lgkmcnt(0)
	s_barrier
	buffer_gl0_inv
	s_mov_b32 s0, exec_lo
	v_cmpx_gt_i64_e64 s[22:23], v[0:1]
	s_cbranch_execz .LBB53_153
; %bb.146:
	v_mul_lo_u32 v2, s3, v0
	v_mov_b32_e32 v1, 0
	s_cmp_lt_u32 s3, 8
	s_mov_b32 s0, 0
	s_cbranch_scc1 .LBB53_149
; %bb.147:
	s_delay_alu instid0(VALU_DEP_2)
	v_lshlrev_b32_e32 v3, 2, v2
	v_mov_b32_e32 v1, 0
	s_and_b32 s0, s3, 0x7ffffff8
	s_mov_b32 s1, 0
	.p2align	6
.LBB53_148:                             ; =>This Inner Loop Header: Depth=1
	ds_load_2addr_b32 v[4:5], v3 offset1:1
	ds_load_2addr_b32 v[8:9], v3 offset0:2 offset1:3
	ds_load_2addr_b32 v[10:11], v3 offset0:4 offset1:5
	;; [unrolled: 1-line block ×3, first 2 shown]
	v_add_nc_u32_e32 v3, 32, v3
	s_add_i32 s1, s1, 8
	s_delay_alu instid0(SALU_CYCLE_1) | instskip(SKIP_3) | instid1(VALU_DEP_1)
	s_cmp_eq_u32 s0, s1
	s_waitcnt lgkmcnt(3)
	v_add3_u32 v1, v4, v1, v5
	s_waitcnt lgkmcnt(2)
	v_add3_u32 v1, v8, v1, v9
	s_waitcnt lgkmcnt(1)
	s_delay_alu instid0(VALU_DEP_1) | instskip(SKIP_1) | instid1(VALU_DEP_1)
	v_add3_u32 v1, v10, v1, v11
	s_waitcnt lgkmcnt(0)
	v_add3_u32 v1, v12, v1, v13
	s_cbranch_scc0 .LBB53_148
.LBB53_149:
	s_bfe_u32 s1, s2, 0x30001
	s_delay_alu instid0(SALU_CYCLE_1)
	s_cmp_eq_u32 s1, 0
	s_cbranch_scc1 .LBB53_152
; %bb.150:
	v_add_lshl_u32 v2, s0, v2, 2
.LBB53_151:                             ; =>This Inner Loop Header: Depth=1
	ds_load_b32 v3, v2
	v_add_nc_u32_e32 v2, 4, v2
	s_add_i32 s1, s1, -1
	s_delay_alu instid0(SALU_CYCLE_1)
	s_cmp_lg_u32 s1, 0
	s_waitcnt lgkmcnt(0)
	v_add_nc_u32_e32 v1, v3, v1
	s_cbranch_scc1 .LBB53_151
.LBB53_152:
	v_lshlrev_b32_e32 v0, 2, v0
	s_lshl_b32 s0, s10, 2
	v_lshlrev_b64 v[2:3], 2, v[6:7]
	s_delay_alu instid0(VALU_DEP_2)
	v_add3_u32 v0, 0x1000, s0, v0
	ds_load_b32 v0, v0
	s_waitcnt lgkmcnt(0)
	v_add_nc_u32_e32 v4, v0, v1
	v_add_co_u32 v0, vcc_lo, s20, v2
	v_add_co_ci_u32_e32 v1, vcc_lo, s21, v3, vcc_lo
	global_atomic_add_u32 v[0:1], v4, off
.LBB53_153:
	s_nop 0
	s_sendmsg sendmsg(MSG_DEALLOC_VGPRS)
	s_endpgm
	.section	.rodata,"a",@progbits
	.p2align	6, 0x0
	.amdhsa_kernel _ZN9rocsparseL27csrmvn_symm_adaptive_kernelIllaaiiEEvbT_S1_PKS1_NS_24const_host_device_scalarIT4_EES3_PKT0_PKT1_PKT2_S6_PT3_21rocsparse_index_base_b
		.amdhsa_group_segment_fixed_size 4096
		.amdhsa_private_segment_fixed_size 0
		.amdhsa_kernarg_size 352
		.amdhsa_user_sgpr_count 15
		.amdhsa_user_sgpr_dispatch_ptr 0
		.amdhsa_user_sgpr_queue_ptr 0
		.amdhsa_user_sgpr_kernarg_segment_ptr 1
		.amdhsa_user_sgpr_dispatch_id 0
		.amdhsa_user_sgpr_private_segment_size 0
		.amdhsa_wavefront_size32 1
		.amdhsa_uses_dynamic_stack 0
		.amdhsa_enable_private_segment 0
		.amdhsa_system_sgpr_workgroup_id_x 1
		.amdhsa_system_sgpr_workgroup_id_y 0
		.amdhsa_system_sgpr_workgroup_id_z 0
		.amdhsa_system_sgpr_workgroup_info 0
		.amdhsa_system_vgpr_workitem_id 0
		.amdhsa_next_free_vgpr 24
		.amdhsa_next_free_sgpr 41
		.amdhsa_reserve_vcc 1
		.amdhsa_float_round_mode_32 0
		.amdhsa_float_round_mode_16_64 0
		.amdhsa_float_denorm_mode_32 3
		.amdhsa_float_denorm_mode_16_64 3
		.amdhsa_dx10_clamp 1
		.amdhsa_ieee_mode 1
		.amdhsa_fp16_overflow 0
		.amdhsa_workgroup_processor_mode 1
		.amdhsa_memory_ordered 1
		.amdhsa_forward_progress 0
		.amdhsa_shared_vgpr_count 0
		.amdhsa_exception_fp_ieee_invalid_op 0
		.amdhsa_exception_fp_denorm_src 0
		.amdhsa_exception_fp_ieee_div_zero 0
		.amdhsa_exception_fp_ieee_overflow 0
		.amdhsa_exception_fp_ieee_underflow 0
		.amdhsa_exception_fp_ieee_inexact 0
		.amdhsa_exception_int_div_zero 0
	.end_amdhsa_kernel
	.section	.text._ZN9rocsparseL27csrmvn_symm_adaptive_kernelIllaaiiEEvbT_S1_PKS1_NS_24const_host_device_scalarIT4_EES3_PKT0_PKT1_PKT2_S6_PT3_21rocsparse_index_base_b,"axG",@progbits,_ZN9rocsparseL27csrmvn_symm_adaptive_kernelIllaaiiEEvbT_S1_PKS1_NS_24const_host_device_scalarIT4_EES3_PKT0_PKT1_PKT2_S6_PT3_21rocsparse_index_base_b,comdat
.Lfunc_end53:
	.size	_ZN9rocsparseL27csrmvn_symm_adaptive_kernelIllaaiiEEvbT_S1_PKS1_NS_24const_host_device_scalarIT4_EES3_PKT0_PKT1_PKT2_S6_PT3_21rocsparse_index_base_b, .Lfunc_end53-_ZN9rocsparseL27csrmvn_symm_adaptive_kernelIllaaiiEEvbT_S1_PKS1_NS_24const_host_device_scalarIT4_EES3_PKT0_PKT1_PKT2_S6_PT3_21rocsparse_index_base_b
                                        ; -- End function
	.section	.AMDGPU.csdata,"",@progbits
; Kernel info:
; codeLenInByte = 8772
; NumSgprs: 43
; NumVgprs: 24
; ScratchSize: 0
; MemoryBound: 0
; FloatMode: 240
; IeeeMode: 1
; LDSByteSize: 4096 bytes/workgroup (compile time only)
; SGPRBlocks: 5
; VGPRBlocks: 2
; NumSGPRsForWavesPerEU: 43
; NumVGPRsForWavesPerEU: 24
; Occupancy: 16
; WaveLimiterHint : 1
; COMPUTE_PGM_RSRC2:SCRATCH_EN: 0
; COMPUTE_PGM_RSRC2:USER_SGPR: 15
; COMPUTE_PGM_RSRC2:TRAP_HANDLER: 0
; COMPUTE_PGM_RSRC2:TGID_X_EN: 1
; COMPUTE_PGM_RSRC2:TGID_Y_EN: 0
; COMPUTE_PGM_RSRC2:TGID_Z_EN: 0
; COMPUTE_PGM_RSRC2:TIDIG_COMP_CNT: 0
	.section	.text._ZL33csrmvn_symm_large_adaptive_kernelIllaaiiEvbT_PKS0_N9rocsparse24const_host_device_scalarIT4_EES2_PKT0_PKT1_PKT2_S6_PT3_21rocsparse_index_base_b,"axG",@progbits,_ZL33csrmvn_symm_large_adaptive_kernelIllaaiiEvbT_PKS0_N9rocsparse24const_host_device_scalarIT4_EES2_PKT0_PKT1_PKT2_S6_PT3_21rocsparse_index_base_b,comdat
	.globl	_ZL33csrmvn_symm_large_adaptive_kernelIllaaiiEvbT_PKS0_N9rocsparse24const_host_device_scalarIT4_EES2_PKT0_PKT1_PKT2_S6_PT3_21rocsparse_index_base_b ; -- Begin function _ZL33csrmvn_symm_large_adaptive_kernelIllaaiiEvbT_PKS0_N9rocsparse24const_host_device_scalarIT4_EES2_PKT0_PKT1_PKT2_S6_PT3_21rocsparse_index_base_b
	.p2align	8
	.type	_ZL33csrmvn_symm_large_adaptive_kernelIllaaiiEvbT_PKS0_N9rocsparse24const_host_device_scalarIT4_EES2_PKT0_PKT1_PKT2_S6_PT3_21rocsparse_index_base_b,@function
_ZL33csrmvn_symm_large_adaptive_kernelIllaaiiEvbT_PKS0_N9rocsparse24const_host_device_scalarIT4_EES2_PKT0_PKT1_PKT2_S6_PT3_21rocsparse_index_base_b: ; @_ZL33csrmvn_symm_large_adaptive_kernelIllaaiiEvbT_PKS0_N9rocsparse24const_host_device_scalarIT4_EES2_PKT0_PKT1_PKT2_S6_PT3_21rocsparse_index_base_b
; %bb.0:
	s_clause 0x1
	s_load_b64 s[6:7], s[0:1], 0x50
	s_load_b64 s[8:9], s[0:1], 0x18
	s_mov_b32 s2, s15
	s_mov_b32 s10, -1
	s_waitcnt lgkmcnt(0)
	s_bitcmp1_b32 s7, 0
                                        ; implicit-def: $sgpr7
	s_cselect_b32 s3, -1, 0
	s_delay_alu instid0(SALU_CYCLE_1) | instskip(NEXT) | instid1(SALU_CYCLE_1)
	s_xor_b32 s3, s3, -1
	s_and_b32 vcc_lo, exec_lo, s3
	s_cbranch_vccnz .LBB54_4
; %bb.1:
	s_load_b64 s[4:5], s[0:1], 0x40
	s_and_not1_b32 vcc_lo, exec_lo, s10
	s_cbranch_vccz .LBB54_5
.LBB54_2:
	s_and_b32 vcc_lo, exec_lo, s3
	s_cbranch_vccz .LBB54_6
.LBB54_3:
	s_waitcnt lgkmcnt(0)
	s_load_b32 s3, s[4:5], 0x0
	s_cbranch_execz .LBB54_7
	s_branch .LBB54_8
.LBB54_4:
	s_load_b32 s7, s[8:9], 0x0
	s_load_b64 s[4:5], s[0:1], 0x40
	s_cbranch_execnz .LBB54_2
.LBB54_5:
	s_waitcnt lgkmcnt(0)
	s_mov_b32 s7, s8
	s_and_b32 vcc_lo, exec_lo, s3
	s_cbranch_vccnz .LBB54_3
.LBB54_6:
	s_waitcnt lgkmcnt(0)
                                        ; implicit-def: $sgpr3
.LBB54_7:
	s_waitcnt lgkmcnt(0)
	s_mov_b32 s3, s4
.LBB54_8:
	s_cmp_lg_u32 s7, 0
	s_cselect_b32 s4, -1, 0
	s_waitcnt lgkmcnt(0)
	s_cmp_lg_u32 s3, 1
	s_cselect_b32 s3, -1, 0
	s_delay_alu instid0(SALU_CYCLE_1) | instskip(NEXT) | instid1(SALU_CYCLE_1)
	s_or_b32 s3, s4, s3
	s_and_not1_b32 vcc_lo, exec_lo, s3
	s_cbranch_vccnz .LBB54_40
; %bb.9:
	s_load_b64 s[4:5], s[0:1], 0x10
	s_ashr_i32 s3, s2, 31
	v_dual_mov_b32 v1, 0 :: v_dual_lshlrev_b32 v4, 2, v0
	s_lshl_b64 s[2:3], s[2:3], 3
	ds_store_2addr_stride64_b32 v4, v1, v1 offset1:4
	ds_store_2addr_stride64_b32 v4, v1, v1 offset0:8 offset1:12
	s_waitcnt lgkmcnt(0)
	s_barrier
	buffer_gl0_inv
	s_add_u32 s2, s4, s2
	s_addc_u32 s3, s5, s3
	s_load_b128 s[16:19], s[2:3], 0x0
	s_clause 0x1
	s_load_b256 s[8:15], s[0:1], 0x20
	s_load_b64 s[20:21], s[0:1], 0x48
	v_sub_co_u32 v5, s1, v0, s6
	s_delay_alu instid0(VALU_DEP_1) | instskip(SKIP_2) | instid1(VALU_DEP_1)
	v_sub_co_ci_u32_e64 v6, null, 0, 0, s1
	s_waitcnt lgkmcnt(0)
	v_cmp_lt_i64_e64 s0, s[16:17], s[18:19]
	s_and_b32 vcc_lo, exec_lo, s0
	s_cbranch_vccnz .LBB54_11
; %bb.10:
	s_lshl_b64 s[0:1], s[16:17], 3
	s_delay_alu instid0(SALU_CYCLE_1)
	s_add_u32 s0, s8, s0
	s_addc_u32 s1, s9, s1
	s_load_b64 s[22:23], s[0:1], 0x0
	s_cbranch_execz .LBB54_12
	s_branch .LBB54_31
.LBB54_11:
                                        ; implicit-def: $sgpr22_sgpr23
.LBB54_12:
	s_lshl_b64 s[0:1], s[16:17], 3
	v_cmp_gt_u32_e64 s2, 16, v0
	s_add_u32 s0, s8, s0
	s_addc_u32 s1, s9, s1
	v_cmp_gt_u32_e64 s3, 4, v0
	s_waitcnt lgkmcnt(0)
	s_load_b64 s[22:23], s[0:1], 0x0
	v_cmp_gt_u32_e64 s0, 0x100, v0
	v_cmp_gt_u32_e64 s1, 64, v0
	v_cmp_eq_u32_e64 s4, 0, v0
	v_mov_b32_e32 v7, 0
	s_add_u32 s30, s8, 8
	s_addc_u32 s31, s9, 0
	s_mov_b64 s[24:25], s[16:17]
	s_waitcnt lgkmcnt(0)
	s_mov_b64 s[26:27], s[22:23]
	s_branch .LBB54_14
.LBB54_13:                              ;   in Loop: Header=BB54_14 Depth=1
	s_or_b32 exec_lo, exec_lo, s5
	s_add_u32 s24, s24, 1
	s_addc_u32 s25, s25, 0
	s_delay_alu instid0(SALU_CYCLE_1) | instskip(NEXT) | instid1(VALU_DEP_1)
	v_cmp_ge_i64_e64 s5, s[24:25], s[18:19]
	s_and_b32 vcc_lo, exec_lo, s5
	s_cbranch_vccnz .LBB54_31
.LBB54_14:                              ; =>This Loop Header: Depth=1
                                        ;     Child Loop BB54_16 Depth 2
	s_lshl_b64 s[28:29], s[24:25], 3
	s_mov_b64 s[34:35], s[26:27]
	s_add_u32 s28, s30, s28
	s_addc_u32 s29, s31, s29
	v_add_co_u32 v0, vcc_lo, s34, v5
	s_load_b64 s[26:27], s[28:29], 0x0
	v_add_co_ci_u32_e32 v1, vcc_lo, s35, v6, vcc_lo
	v_mov_b32_e32 v8, 0
	s_mov_b32 s33, exec_lo
	s_waitcnt lgkmcnt(0)
	s_sub_u32 s28, s26, s6
	s_subb_u32 s29, s27, 0
	s_delay_alu instid0(SALU_CYCLE_1)
	v_cmpx_gt_i64_e64 s[28:29], v[0:1]
	s_cbranch_execz .LBB54_18
; %bb.15:                               ;   in Loop: Header=BB54_14 Depth=1
	v_lshlrev_b64 v[2:3], 3, v[0:1]
	v_mov_b32_e32 v8, 0
	s_mov_b32 s34, 0
	s_delay_alu instid0(VALU_DEP_2) | instskip(NEXT) | instid1(VALU_DEP_3)
	v_add_co_u32 v2, vcc_lo, s10, v2
	v_add_co_ci_u32_e32 v3, vcc_lo, s11, v3, vcc_lo
	.p2align	6
.LBB54_16:                              ;   Parent Loop BB54_14 Depth=1
                                        ; =>  This Inner Loop Header: Depth=2
	global_load_b64 v[9:10], v[2:3], off
	v_add_co_u32 v11, vcc_lo, s12, v0
	v_add_co_ci_u32_e32 v12, vcc_lo, s13, v1, vcc_lo
	s_waitcnt vmcnt(0)
	v_sub_co_u32 v9, s5, v9, s6
	s_delay_alu instid0(VALU_DEP_1) | instskip(SKIP_1) | instid1(VALU_DEP_3)
	v_subrev_co_ci_u32_e64 v10, s5, 0, v10, s5
	v_add_co_u32 v2, s5, 0x800, v2
	v_add_co_u32 v9, vcc_lo, s14, v9
	s_delay_alu instid0(VALU_DEP_3)
	v_add_co_ci_u32_e32 v10, vcc_lo, s15, v10, vcc_lo
	v_add_co_u32 v0, vcc_lo, 0x100, v0
	global_load_i8 v11, v[11:12], off
	global_load_i8 v9, v[9:10], off
	v_add_co_ci_u32_e32 v1, vcc_lo, 0, v1, vcc_lo
	v_add_co_ci_u32_e64 v3, s5, 0, v3, s5
	s_delay_alu instid0(VALU_DEP_2)
	v_cmp_le_i64_e32 vcc_lo, s[28:29], v[0:1]
	s_or_b32 s34, vcc_lo, s34
	s_waitcnt vmcnt(0)
	v_mad_i32_i24 v8, v9, v11, v8
	s_and_not1_b32 exec_lo, exec_lo, s34
	s_cbranch_execnz .LBB54_16
; %bb.17:                               ;   in Loop: Header=BB54_14 Depth=1
	s_or_b32 exec_lo, exec_lo, s34
.LBB54_18:                              ;   in Loop: Header=BB54_14 Depth=1
	s_delay_alu instid0(SALU_CYCLE_1)
	s_or_b32 exec_lo, exec_lo, s33
	ds_store_b32 v4, v8
	s_waitcnt lgkmcnt(0)
	s_waitcnt_vscnt null, 0x0
	s_barrier
	buffer_gl0_inv
	s_and_saveexec_b32 s5, s0
	s_cbranch_execz .LBB54_20
; %bb.19:                               ;   in Loop: Header=BB54_14 Depth=1
	ds_load_2addr_stride64_b32 v[0:1], v4 offset1:4
	ds_load_2addr_stride64_b32 v[2:3], v4 offset0:8 offset1:12
	s_waitcnt lgkmcnt(0)
	v_add_nc_u32_e32 v1, v2, v1
	s_delay_alu instid0(VALU_DEP_1)
	v_add3_u32 v0, v1, v3, v0
	ds_store_b32 v4, v0
.LBB54_20:                              ;   in Loop: Header=BB54_14 Depth=1
	s_or_b32 exec_lo, exec_lo, s5
	s_waitcnt lgkmcnt(0)
	s_barrier
	buffer_gl0_inv
	s_and_saveexec_b32 s5, s1
	s_cbranch_execz .LBB54_22
; %bb.21:                               ;   in Loop: Header=BB54_14 Depth=1
	ds_load_2addr_stride64_b32 v[0:1], v4 offset1:1
	ds_load_2addr_stride64_b32 v[2:3], v4 offset0:2 offset1:3
	s_waitcnt lgkmcnt(0)
	v_add_nc_u32_e32 v1, v2, v1
	s_delay_alu instid0(VALU_DEP_1)
	v_add3_u32 v0, v1, v3, v0
	ds_store_b32 v4, v0
.LBB54_22:                              ;   in Loop: Header=BB54_14 Depth=1
	s_or_b32 exec_lo, exec_lo, s5
	s_waitcnt lgkmcnt(0)
	s_barrier
	buffer_gl0_inv
	s_and_saveexec_b32 s5, s2
	s_cbranch_execz .LBB54_24
; %bb.23:                               ;   in Loop: Header=BB54_14 Depth=1
	ds_load_2addr_b32 v[0:1], v4 offset1:16
	ds_load_2addr_b32 v[2:3], v4 offset0:32 offset1:48
	s_waitcnt lgkmcnt(0)
	v_add_nc_u32_e32 v1, v2, v1
	s_delay_alu instid0(VALU_DEP_1)
	v_add3_u32 v0, v1, v3, v0
	ds_store_b32 v4, v0
.LBB54_24:                              ;   in Loop: Header=BB54_14 Depth=1
	s_or_b32 exec_lo, exec_lo, s5
	s_waitcnt lgkmcnt(0)
	s_barrier
	buffer_gl0_inv
	s_and_saveexec_b32 s5, s3
	s_cbranch_execz .LBB54_26
; %bb.25:                               ;   in Loop: Header=BB54_14 Depth=1
	ds_load_2addr_b32 v[0:1], v4 offset1:4
	ds_load_2addr_b32 v[2:3], v4 offset0:8 offset1:12
	s_waitcnt lgkmcnt(0)
	v_add_nc_u32_e32 v1, v2, v1
	s_delay_alu instid0(VALU_DEP_1)
	v_add3_u32 v0, v1, v3, v0
	ds_store_b32 v4, v0
.LBB54_26:                              ;   in Loop: Header=BB54_14 Depth=1
	s_or_b32 exec_lo, exec_lo, s5
	s_waitcnt lgkmcnt(0)
	s_barrier
	buffer_gl0_inv
	s_and_saveexec_b32 s5, s4
	s_cbranch_execz .LBB54_28
; %bb.27:                               ;   in Loop: Header=BB54_14 Depth=1
	ds_load_2addr_b32 v[0:1], v7 offset0:1 offset1:2
	ds_load_b32 v2, v7 offset:12
	ds_load_b32 v3, v4
	s_waitcnt lgkmcnt(2)
	v_add_nc_u32_e32 v0, v1, v0
	s_waitcnt lgkmcnt(0)
	s_delay_alu instid0(VALU_DEP_1)
	v_add3_u32 v0, v0, v2, v3
	ds_store_b32 v4, v0
.LBB54_28:                              ;   in Loop: Header=BB54_14 Depth=1
	s_or_b32 exec_lo, exec_lo, s5
	s_waitcnt lgkmcnt(0)
	s_barrier
	buffer_gl0_inv
	s_and_saveexec_b32 s5, s4
	s_cbranch_execz .LBB54_13
; %bb.29:                               ;   in Loop: Header=BB54_14 Depth=1
	s_mov_b32 s28, exec_lo
	s_delay_alu instid0(SALU_CYCLE_1) | instskip(NEXT) | instid1(VALU_DEP_1)
	v_mbcnt_lo_u32_b32 v0, s28, 0
	v_cmp_eq_u32_e32 vcc_lo, 0, v0
	s_and_b32 s29, exec_lo, vcc_lo
	s_delay_alu instid0(SALU_CYCLE_1)
	s_mov_b32 exec_lo, s29
	s_cbranch_execz .LBB54_13
; %bb.30:                               ;   in Loop: Header=BB54_14 Depth=1
	ds_load_b32 v0, v7
	s_lshl_b64 s[34:35], s[24:25], 2
	s_delay_alu instid0(SALU_CYCLE_1) | instskip(SKIP_4) | instid1(VALU_DEP_1)
	s_add_u32 s34, s20, s34
	s_addc_u32 s35, s21, s35
	s_bcnt1_i32_b32 s28, s28
	s_waitcnt lgkmcnt(0)
	v_mul_lo_u32 v0, v0, s7
	v_mul_lo_u32 v0, v0, s28
	global_atomic_add_u32 v7, v0, s[34:35]
	s_branch .LBB54_13
.LBB54_31:
	s_lshl_b64 s[0:1], s[18:19], 3
	s_waitcnt lgkmcnt(0)
	v_add_co_u32 v0, vcc_lo, s22, v5
	s_add_u32 s0, s8, s0
	s_addc_u32 s1, s9, s1
	v_add_co_ci_u32_e32 v1, vcc_lo, s23, v6, vcc_lo
	s_load_b64 s[0:1], s[0:1], 0x0
	s_waitcnt lgkmcnt(0)
	s_sub_u32 s2, s0, s6
	s_subb_u32 s3, s1, 0
	s_mov_b32 s0, exec_lo
	v_cmpx_gt_i64_e64 s[2:3], v[0:1]
	s_cbranch_execz .LBB54_40
; %bb.32:
	s_add_u32 s4, s18, -1
	s_addc_u32 s5, s19, -1
	s_add_u32 s0, s18, -2
	v_cmp_gt_i64_e64 s18, s[4:5], s[16:17]
	s_addc_u32 s1, s19, -1
	s_delay_alu instid0(SALU_CYCLE_1)
	s_cmp_lg_u64 s[0:1], s[16:17]
	s_cselect_b32 s0, -1, 0
	s_delay_alu instid0(VALU_DEP_1) | instid1(SALU_CYCLE_1)
	s_and_b32 s1, s18, s0
	s_mov_b32 s18, 0
	s_branch .LBB54_34
.LBB54_33:                              ;   in Loop: Header=BB54_34 Depth=1
	s_or_b32 exec_lo, exec_lo, s0
	v_add_co_u32 v0, vcc_lo, 0x100, v0
	v_add_co_ci_u32_e32 v1, vcc_lo, 0, v1, vcc_lo
	s_delay_alu instid0(VALU_DEP_1) | instskip(SKIP_1) | instid1(SALU_CYCLE_1)
	v_cmp_le_i64_e32 vcc_lo, s[2:3], v[0:1]
	s_or_b32 s18, vcc_lo, s18
	s_and_not1_b32 exec_lo, exec_lo, s18
	s_cbranch_execz .LBB54_40
.LBB54_34:                              ; =>This Loop Header: Depth=1
                                        ;     Child Loop BB54_36 Depth 2
	v_dual_mov_b32 v2, s16 :: v_dual_mov_b32 v3, s17
	v_dual_mov_b32 v4, s4 :: v_dual_mov_b32 v5, s5
	s_and_not1_b32 vcc_lo, exec_lo, s1
	s_cbranch_vccnz .LBB54_38
; %bb.35:                               ;   in Loop: Header=BB54_34 Depth=1
	v_dual_mov_b32 v2, s16 :: v_dual_mov_b32 v3, s17
	v_dual_mov_b32 v4, s4 :: v_dual_mov_b32 v5, s5
	s_mov_b32 s19, 0
	s_set_inst_prefetch_distance 0x1
	.p2align	6
.LBB54_36:                              ;   Parent Loop BB54_34 Depth=1
                                        ; =>  This Inner Loop Header: Depth=2
	s_delay_alu instid0(VALU_DEP_1) | instskip(NEXT) | instid1(VALU_DEP_2)
	v_add_co_u32 v6, vcc_lo, v4, v2
	v_add_co_ci_u32_e32 v7, vcc_lo, v5, v3, vcc_lo
	s_delay_alu instid0(VALU_DEP_1) | instskip(NEXT) | instid1(VALU_DEP_1)
	v_lshrrev_b32_e32 v8, 31, v7
	v_add_co_u32 v6, vcc_lo, v6, v8
	v_add_co_ci_u32_e32 v7, vcc_lo, 0, v7, vcc_lo
	s_delay_alu instid0(VALU_DEP_1) | instskip(NEXT) | instid1(VALU_DEP_1)
	v_ashrrev_i64 v[6:7], 1, v[6:7]
	v_lshlrev_b64 v[8:9], 3, v[6:7]
	s_delay_alu instid0(VALU_DEP_1) | instskip(NEXT) | instid1(VALU_DEP_2)
	v_add_co_u32 v8, vcc_lo, s8, v8
	v_add_co_ci_u32_e32 v9, vcc_lo, s9, v9, vcc_lo
	global_load_b64 v[8:9], v[8:9], off
	s_waitcnt vmcnt(0)
	v_sub_co_u32 v8, vcc_lo, v8, s6
	v_subrev_co_ci_u32_e32 v9, vcc_lo, 0, v9, vcc_lo
	s_delay_alu instid0(VALU_DEP_1) | instskip(SKIP_2) | instid1(VALU_DEP_2)
	v_cmp_gt_i64_e32 vcc_lo, v[8:9], v[0:1]
	v_dual_cndmask_b32 v5, v5, v7 :: v_dual_cndmask_b32 v4, v4, v6
	v_dual_cndmask_b32 v3, v7, v3 :: v_dual_cndmask_b32 v2, v6, v2
	v_add_co_u32 v6, vcc_lo, v4, -1
	s_delay_alu instid0(VALU_DEP_3) | instskip(NEXT) | instid1(VALU_DEP_3)
	v_add_co_ci_u32_e32 v7, vcc_lo, -1, v5, vcc_lo
	v_cmp_ge_i64_e32 vcc_lo, v[2:3], v[4:5]
	s_delay_alu instid0(VALU_DEP_2) | instskip(NEXT) | instid1(VALU_DEP_1)
	v_cmp_eq_u64_e64 s0, v[2:3], v[6:7]
	s_or_b32 s0, vcc_lo, s0
	s_delay_alu instid0(SALU_CYCLE_1) | instskip(NEXT) | instid1(SALU_CYCLE_1)
	s_and_b32 s0, exec_lo, s0
	s_or_b32 s19, s0, s19
	s_delay_alu instid0(SALU_CYCLE_1)
	s_and_not1_b32 exec_lo, exec_lo, s19
	s_cbranch_execnz .LBB54_36
; %bb.37:                               ;   in Loop: Header=BB54_34 Depth=1
	s_set_inst_prefetch_distance 0x2
	s_or_b32 exec_lo, exec_lo, s19
.LBB54_38:                              ;   in Loop: Header=BB54_34 Depth=1
	s_delay_alu instid0(VALU_DEP_1) | instskip(SKIP_2) | instid1(VALU_DEP_2)
	v_lshlrev_b64 v[6:7], 3, v[4:5]
	v_lshlrev_b64 v[8:9], 3, v[0:1]
	s_mov_b32 s0, exec_lo
	v_add_co_u32 v6, vcc_lo, s8, v6
	s_delay_alu instid0(VALU_DEP_3) | instskip(NEXT) | instid1(VALU_DEP_3)
	v_add_co_ci_u32_e32 v7, vcc_lo, s9, v7, vcc_lo
	v_add_co_u32 v8, vcc_lo, s10, v8
	s_delay_alu instid0(VALU_DEP_4)
	v_add_co_ci_u32_e32 v9, vcc_lo, s11, v9, vcc_lo
	global_load_b64 v[6:7], v[6:7], off
	global_load_b64 v[8:9], v[8:9], off
	s_waitcnt vmcnt(1)
	v_sub_co_u32 v6, vcc_lo, v6, s6
	v_subrev_co_ci_u32_e32 v7, vcc_lo, 0, v7, vcc_lo
	s_delay_alu instid0(VALU_DEP_1) | instskip(SKIP_4) | instid1(VALU_DEP_1)
	v_cmp_gt_i64_e32 vcc_lo, v[6:7], v[0:1]
	v_dual_cndmask_b32 v5, v5, v3 :: v_dual_cndmask_b32 v4, v4, v2
	s_waitcnt vmcnt(0)
	v_sub_co_u32 v2, vcc_lo, v8, s6
	v_subrev_co_ci_u32_e32 v3, vcc_lo, 0, v9, vcc_lo
	v_cmpx_ne_u64_e64 v[2:3], v[4:5]
	s_cbranch_execz .LBB54_33
; %bb.39:                               ;   in Loop: Header=BB54_34 Depth=1
	v_add_co_u32 v6, vcc_lo, s12, v0
	v_add_co_ci_u32_e32 v7, vcc_lo, s13, v1, vcc_lo
	v_add_co_u32 v4, vcc_lo, s14, v4
	v_add_co_ci_u32_e32 v5, vcc_lo, s15, v5, vcc_lo
	global_load_i8 v6, v[6:7], off
	v_lshlrev_b64 v[2:3], 2, v[2:3]
	global_load_i8 v4, v[4:5], off
	v_add_co_u32 v2, vcc_lo, s20, v2
	v_add_co_ci_u32_e32 v3, vcc_lo, s21, v3, vcc_lo
	s_waitcnt vmcnt(1)
	v_mul_lo_u32 v5, s7, v6
	s_waitcnt vmcnt(0)
	s_delay_alu instid0(VALU_DEP_1)
	v_mul_lo_u32 v4, v5, v4
	global_atomic_add_u32 v[2:3], v4, off
	s_branch .LBB54_33
.LBB54_40:
	s_nop 0
	s_sendmsg sendmsg(MSG_DEALLOC_VGPRS)
	s_endpgm
	.section	.rodata,"a",@progbits
	.p2align	6, 0x0
	.amdhsa_kernel _ZL33csrmvn_symm_large_adaptive_kernelIllaaiiEvbT_PKS0_N9rocsparse24const_host_device_scalarIT4_EES2_PKT0_PKT1_PKT2_S6_PT3_21rocsparse_index_base_b
		.amdhsa_group_segment_fixed_size 4096
		.amdhsa_private_segment_fixed_size 0
		.amdhsa_kernarg_size 88
		.amdhsa_user_sgpr_count 15
		.amdhsa_user_sgpr_dispatch_ptr 0
		.amdhsa_user_sgpr_queue_ptr 0
		.amdhsa_user_sgpr_kernarg_segment_ptr 1
		.amdhsa_user_sgpr_dispatch_id 0
		.amdhsa_user_sgpr_private_segment_size 0
		.amdhsa_wavefront_size32 1
		.amdhsa_uses_dynamic_stack 0
		.amdhsa_enable_private_segment 0
		.amdhsa_system_sgpr_workgroup_id_x 1
		.amdhsa_system_sgpr_workgroup_id_y 0
		.amdhsa_system_sgpr_workgroup_id_z 0
		.amdhsa_system_sgpr_workgroup_info 0
		.amdhsa_system_vgpr_workitem_id 0
		.amdhsa_next_free_vgpr 13
		.amdhsa_next_free_sgpr 36
		.amdhsa_reserve_vcc 1
		.amdhsa_float_round_mode_32 0
		.amdhsa_float_round_mode_16_64 0
		.amdhsa_float_denorm_mode_32 3
		.amdhsa_float_denorm_mode_16_64 3
		.amdhsa_dx10_clamp 1
		.amdhsa_ieee_mode 1
		.amdhsa_fp16_overflow 0
		.amdhsa_workgroup_processor_mode 1
		.amdhsa_memory_ordered 1
		.amdhsa_forward_progress 0
		.amdhsa_shared_vgpr_count 0
		.amdhsa_exception_fp_ieee_invalid_op 0
		.amdhsa_exception_fp_denorm_src 0
		.amdhsa_exception_fp_ieee_div_zero 0
		.amdhsa_exception_fp_ieee_overflow 0
		.amdhsa_exception_fp_ieee_underflow 0
		.amdhsa_exception_fp_ieee_inexact 0
		.amdhsa_exception_int_div_zero 0
	.end_amdhsa_kernel
	.section	.text._ZL33csrmvn_symm_large_adaptive_kernelIllaaiiEvbT_PKS0_N9rocsparse24const_host_device_scalarIT4_EES2_PKT0_PKT1_PKT2_S6_PT3_21rocsparse_index_base_b,"axG",@progbits,_ZL33csrmvn_symm_large_adaptive_kernelIllaaiiEvbT_PKS0_N9rocsparse24const_host_device_scalarIT4_EES2_PKT0_PKT1_PKT2_S6_PT3_21rocsparse_index_base_b,comdat
.Lfunc_end54:
	.size	_ZL33csrmvn_symm_large_adaptive_kernelIllaaiiEvbT_PKS0_N9rocsparse24const_host_device_scalarIT4_EES2_PKT0_PKT1_PKT2_S6_PT3_21rocsparse_index_base_b, .Lfunc_end54-_ZL33csrmvn_symm_large_adaptive_kernelIllaaiiEvbT_PKS0_N9rocsparse24const_host_device_scalarIT4_EES2_PKT0_PKT1_PKT2_S6_PT3_21rocsparse_index_base_b
                                        ; -- End function
	.section	.AMDGPU.csdata,"",@progbits
; Kernel info:
; codeLenInByte = 1876
; NumSgprs: 38
; NumVgprs: 13
; ScratchSize: 0
; MemoryBound: 0
; FloatMode: 240
; IeeeMode: 1
; LDSByteSize: 4096 bytes/workgroup (compile time only)
; SGPRBlocks: 4
; VGPRBlocks: 1
; NumSGPRsForWavesPerEU: 38
; NumVGPRsForWavesPerEU: 13
; Occupancy: 16
; WaveLimiterHint : 1
; COMPUTE_PGM_RSRC2:SCRATCH_EN: 0
; COMPUTE_PGM_RSRC2:USER_SGPR: 15
; COMPUTE_PGM_RSRC2:TRAP_HANDLER: 0
; COMPUTE_PGM_RSRC2:TGID_X_EN: 1
; COMPUTE_PGM_RSRC2:TGID_Y_EN: 0
; COMPUTE_PGM_RSRC2:TGID_Z_EN: 0
; COMPUTE_PGM_RSRC2:TIDIG_COMP_CNT: 0
	.section	.text._ZN9rocsparseL22csrmvn_adaptive_kernelIiiaaffEEvbT_PKS1_PjPKT0_NS_24const_host_device_scalarIT4_EES3_S7_PKT1_PKT2_SA_PT3_21rocsparse_index_base_b,"axG",@progbits,_ZN9rocsparseL22csrmvn_adaptive_kernelIiiaaffEEvbT_PKS1_PjPKT0_NS_24const_host_device_scalarIT4_EES3_S7_PKT1_PKT2_SA_PT3_21rocsparse_index_base_b,comdat
	.globl	_ZN9rocsparseL22csrmvn_adaptive_kernelIiiaaffEEvbT_PKS1_PjPKT0_NS_24const_host_device_scalarIT4_EES3_S7_PKT1_PKT2_SA_PT3_21rocsparse_index_base_b ; -- Begin function _ZN9rocsparseL22csrmvn_adaptive_kernelIiiaaffEEvbT_PKS1_PjPKT0_NS_24const_host_device_scalarIT4_EES3_S7_PKT1_PKT2_SA_PT3_21rocsparse_index_base_b
	.p2align	8
	.type	_ZN9rocsparseL22csrmvn_adaptive_kernelIiiaaffEEvbT_PKS1_PjPKT0_NS_24const_host_device_scalarIT4_EES3_S7_PKT1_PKT2_SA_PT3_21rocsparse_index_base_b,@function
_ZN9rocsparseL22csrmvn_adaptive_kernelIiiaaffEEvbT_PKS1_PjPKT0_NS_24const_host_device_scalarIT4_EES3_S7_PKT1_PKT2_SA_PT3_21rocsparse_index_base_b: ; @_ZN9rocsparseL22csrmvn_adaptive_kernelIiiaaffEEvbT_PKS1_PjPKT0_NS_24const_host_device_scalarIT4_EES3_S7_PKT1_PKT2_SA_PT3_21rocsparse_index_base_b
; %bb.0:
	s_clause 0x2
	s_load_b64 s[30:31], s[0:1], 0x58
	s_load_b64 s[28:29], s[0:1], 0x20
	;; [unrolled: 1-line block ×3, first 2 shown]
	s_mov_b32 s36, s15
	s_waitcnt lgkmcnt(0)
	s_bitcmp1_b32 s31, 0
	s_cselect_b32 s2, -1, 0
	s_delay_alu instid0(SALU_CYCLE_1)
	s_and_b32 vcc_lo, exec_lo, s2
	s_xor_b32 s2, s2, -1
	s_cbranch_vccnz .LBB55_2
; %bb.1:
	s_load_b32 s28, s[28:29], 0x0
.LBB55_2:
	s_and_not1_b32 vcc_lo, exec_lo, s2
	s_cbranch_vccnz .LBB55_4
; %bb.3:
	s_load_b32 s20, s[20:21], 0x0
.LBB55_4:
	s_waitcnt lgkmcnt(0)
	v_cmp_neq_f32_e64 s2, s28, 0
	v_cmp_neq_f32_e64 s3, s20, 1.0
	s_delay_alu instid0(VALU_DEP_1) | instskip(NEXT) | instid1(SALU_CYCLE_1)
	s_or_b32 s2, s2, s3
	s_and_not1_b32 vcc_lo, exec_lo, s2
	s_cbranch_vccnz .LBB55_116
; %bb.5:
	s_clause 0x2
	s_load_b64 s[2:3], s[0:1], 0x8
	s_load_b64 s[4:5], s[0:1], 0x18
	;; [unrolled: 1-line block ×3, first 2 shown]
	s_ashr_i32 s37, s36, 31
	s_delay_alu instid0(SALU_CYCLE_1)
	s_lshl_b64 s[38:39], s[36:37], 2
	s_waitcnt lgkmcnt(0)
	s_add_u32 s2, s2, s38
	s_addc_u32 s3, s3, s39
	s_load_b64 s[24:25], s[2:3], 0x0
	s_load_b256 s[12:19], s[0:1], 0x28
	s_mov_b32 s3, -1
	s_waitcnt lgkmcnt(0)
	s_sub_i32 s2, s25, s24
	s_add_u32 s4, s4, s38
	s_addc_u32 s5, s5, s39
	s_ashr_i32 s7, s24, 31
	s_mov_b32 s6, s24
	s_delay_alu instid0(SALU_CYCLE_1) | instskip(NEXT) | instid1(SALU_CYCLE_1)
	s_lshl_b64 s[34:35], s[6:7], 2
	s_add_u32 s26, s12, s34
	s_addc_u32 s27, s13, s35
	s_load_b32 s11, s[4:5], 0x0
	s_load_b32 s21, s[26:27], 0x0
	s_cmp_lt_i32 s2, 2
	s_cbranch_scc0 .LBB55_72
; %bb.6:
	s_cmp_lg_u32 s2, 1
	s_cselect_b32 s2, -1, 0
	s_waitcnt lgkmcnt(0)
	s_cmp_lg_u32 s11, 0
	s_cselect_b32 s3, -1, 0
	s_delay_alu instid0(SALU_CYCLE_1) | instskip(NEXT) | instid1(SALU_CYCLE_1)
	s_or_b32 s2, s2, s3
	s_and_b32 vcc_lo, exec_lo, s2
	s_mov_b32 s2, -1
	s_cbranch_vccnz .LBB55_35
; %bb.7:
	s_cmp_le_i32 s25, s24
	s_cbranch_scc1 .LBB55_34
; %bb.8:
	v_subrev_nc_u32_e32 v7, s30, v0
	v_dual_mov_b32 v9, 0 :: v_dual_lshlrev_b32 v8, 2, v0
	v_cmp_gt_u32_e64 s2, 0x80, v0
	v_cmp_gt_u32_e64 s3, 64, v0
	;; [unrolled: 1-line block ×7, first 2 shown]
	v_cmp_eq_u32_e64 s9, 0, v0
	v_cmp_neq_f32_e64 s31, s20, 0
	s_add_u32 s29, s12, 4
	s_addc_u32 s33, s13, 0
	s_mov_b32 s37, s21
	s_mov_b32 s40, s24
	s_branch .LBB55_11
.LBB55_9:                               ;   in Loop: Header=BB55_11 Depth=1
	s_add_u32 s42, s22, s42
	s_addc_u32 s43, s23, s43
	s_waitcnt lgkmcnt(0)
	global_store_b32 v9, v1, s[42:43]
.LBB55_10:                              ;   in Loop: Header=BB55_11 Depth=1
	s_or_b32 exec_lo, exec_lo, s10
	s_add_i32 s40, s40, 1
	s_delay_alu instid0(SALU_CYCLE_1)
	s_cmp_ge_i32 s40, s25
	s_cbranch_scc1 .LBB55_34
.LBB55_11:                              ; =>This Loop Header: Depth=1
                                        ;     Child Loop BB55_13 Depth 2
	s_ashr_i32 s41, s40, 31
	s_mov_b32 s10, s37
	s_lshl_b64 s[42:43], s[40:41], 2
	v_dual_mov_b32 v2, 0 :: v_dual_add_nc_u32 v1, s10, v7
	s_add_u32 s44, s29, s42
	s_addc_u32 s45, s33, s43
	s_mov_b32 s41, exec_lo
	s_load_b32 s37, s[44:45], 0x0
	s_waitcnt lgkmcnt(0)
	s_sub_i32 s44, s37, s30
	s_delay_alu instid0(SALU_CYCLE_1)
	v_cmpx_gt_i32_e64 s44, v1
	s_cbranch_execz .LBB55_15
; %bb.12:                               ;   in Loop: Header=BB55_11 Depth=1
	v_ashrrev_i32_e32 v2, 31, v1
	v_add_co_u32 v3, vcc_lo, s16, v1
	s_mov_b32 s45, 0
	s_delay_alu instid0(VALU_DEP_2) | instskip(SKIP_2) | instid1(VALU_DEP_3)
	v_lshlrev_b64 v[5:6], 2, v[1:2]
	v_add_co_ci_u32_e32 v4, vcc_lo, s17, v2, vcc_lo
	v_mov_b32_e32 v2, 0
	v_add_co_u32 v5, vcc_lo, s14, v5
	s_delay_alu instid0(VALU_DEP_4)
	v_add_co_ci_u32_e32 v6, vcc_lo, s15, v6, vcc_lo
	.p2align	6
.LBB55_13:                              ;   Parent Loop BB55_11 Depth=1
                                        ; =>  This Inner Loop Header: Depth=2
	global_load_b32 v10, v[5:6], off
	global_load_i8 v12, v[3:4], off
	s_waitcnt vmcnt(1)
	v_subrev_nc_u32_e32 v10, s30, v10
	s_delay_alu instid0(VALU_DEP_1) | instskip(SKIP_1) | instid1(VALU_DEP_2)
	v_ashrrev_i32_e32 v11, 31, v10
	v_add_co_u32 v10, vcc_lo, s18, v10
	v_add_co_ci_u32_e32 v11, vcc_lo, s19, v11, vcc_lo
	v_add_co_u32 v3, vcc_lo, 0x100, v3
	v_add_co_ci_u32_e32 v4, vcc_lo, 0, v4, vcc_lo
	global_load_i8 v10, v[10:11], off
	s_waitcnt vmcnt(1)
	v_cvt_f32_i32_e32 v11, v12
	v_add_co_u32 v5, vcc_lo, 0x400, v5
	v_add_co_ci_u32_e32 v6, vcc_lo, 0, v6, vcc_lo
	s_delay_alu instid0(VALU_DEP_3) | instskip(SKIP_2) | instid1(VALU_DEP_1)
	v_mul_f32_e32 v11, s28, v11
	s_waitcnt vmcnt(0)
	v_cvt_f32_i32_e32 v10, v10
	v_dual_fmac_f32 v2, v11, v10 :: v_dual_add_nc_u32 v1, 0x100, v1
	s_delay_alu instid0(VALU_DEP_1) | instskip(NEXT) | instid1(VALU_DEP_1)
	v_cmp_le_i32_e64 s10, s44, v1
	s_or_b32 s45, s10, s45
	s_delay_alu instid0(SALU_CYCLE_1)
	s_and_not1_b32 exec_lo, exec_lo, s45
	s_cbranch_execnz .LBB55_13
; %bb.14:                               ;   in Loop: Header=BB55_11 Depth=1
	s_or_b32 exec_lo, exec_lo, s45
.LBB55_15:                              ;   in Loop: Header=BB55_11 Depth=1
	s_delay_alu instid0(SALU_CYCLE_1)
	s_or_b32 exec_lo, exec_lo, s41
	ds_store_b32 v8, v2
	s_waitcnt lgkmcnt(0)
	s_waitcnt_vscnt null, 0x0
	s_barrier
	buffer_gl0_inv
	s_and_saveexec_b32 s10, s2
	s_cbranch_execz .LBB55_17
; %bb.16:                               ;   in Loop: Header=BB55_11 Depth=1
	ds_load_2addr_stride64_b32 v[1:2], v8 offset1:2
	s_waitcnt lgkmcnt(0)
	v_add_f32_e32 v1, v1, v2
	ds_store_b32 v8, v1
.LBB55_17:                              ;   in Loop: Header=BB55_11 Depth=1
	s_or_b32 exec_lo, exec_lo, s10
	s_waitcnt lgkmcnt(0)
	s_barrier
	buffer_gl0_inv
	s_and_saveexec_b32 s10, s3
	s_cbranch_execz .LBB55_19
; %bb.18:                               ;   in Loop: Header=BB55_11 Depth=1
	ds_load_2addr_stride64_b32 v[1:2], v8 offset1:1
	s_waitcnt lgkmcnt(0)
	v_add_f32_e32 v1, v1, v2
	ds_store_b32 v8, v1
.LBB55_19:                              ;   in Loop: Header=BB55_11 Depth=1
	s_or_b32 exec_lo, exec_lo, s10
	s_waitcnt lgkmcnt(0)
	s_barrier
	buffer_gl0_inv
	s_and_saveexec_b32 s10, s4
	s_cbranch_execz .LBB55_21
; %bb.20:                               ;   in Loop: Header=BB55_11 Depth=1
	ds_load_2addr_b32 v[1:2], v8 offset1:32
	s_waitcnt lgkmcnt(0)
	v_add_f32_e32 v1, v1, v2
	ds_store_b32 v8, v1
.LBB55_21:                              ;   in Loop: Header=BB55_11 Depth=1
	s_or_b32 exec_lo, exec_lo, s10
	s_waitcnt lgkmcnt(0)
	s_barrier
	buffer_gl0_inv
	s_and_saveexec_b32 s10, s5
	s_cbranch_execz .LBB55_23
; %bb.22:                               ;   in Loop: Header=BB55_11 Depth=1
	ds_load_2addr_b32 v[1:2], v8 offset1:16
	s_waitcnt lgkmcnt(0)
	v_add_f32_e32 v1, v1, v2
	ds_store_b32 v8, v1
.LBB55_23:                              ;   in Loop: Header=BB55_11 Depth=1
	;; [unrolled: 12-line block ×5, first 2 shown]
	s_or_b32 exec_lo, exec_lo, s10
	s_waitcnt lgkmcnt(0)
	s_barrier
	buffer_gl0_inv
	s_and_saveexec_b32 s10, s9
	s_cbranch_execz .LBB55_31
; %bb.30:                               ;   in Loop: Header=BB55_11 Depth=1
	ds_load_b64 v[1:2], v9
	s_waitcnt lgkmcnt(0)
	v_add_f32_e32 v1, v1, v2
	ds_store_b32 v9, v1
.LBB55_31:                              ;   in Loop: Header=BB55_11 Depth=1
	s_or_b32 exec_lo, exec_lo, s10
	s_waitcnt lgkmcnt(0)
	s_barrier
	buffer_gl0_inv
	s_and_saveexec_b32 s10, s9
	s_cbranch_execz .LBB55_10
; %bb.32:                               ;   in Loop: Header=BB55_11 Depth=1
	ds_load_b32 v1, v9
	s_and_not1_b32 vcc_lo, exec_lo, s31
	s_cbranch_vccnz .LBB55_9
; %bb.33:                               ;   in Loop: Header=BB55_11 Depth=1
	s_add_u32 s44, s22, s42
	s_addc_u32 s45, s23, s43
	global_load_b32 v2, v9, s[44:45]
	s_waitcnt vmcnt(0) lgkmcnt(0)
	v_fmac_f32_e32 v1, s20, v2
	s_branch .LBB55_9
.LBB55_34:
	s_mov_b32 s2, 0
.LBB55_35:
	s_delay_alu instid0(SALU_CYCLE_1)
	s_and_not1_b32 vcc_lo, exec_lo, s2
	s_cbranch_vccnz .LBB55_71
; %bb.36:
	s_load_b64 s[6:7], s[0:1], 0x10
	s_sub_i32 s8, s36, s11
	v_or_b32_e32 v1, s11, v0
	v_mov_b32_e32 v7, 0
	s_mov_b32 s2, exec_lo
	s_waitcnt lgkmcnt(0)
	s_add_u32 s4, s6, s38
	s_addc_u32 s5, s7, s39
	s_load_b32 s10, s[4:5], 0x0
	v_cmpx_eq_u32_e32 0, v1
	s_cbranch_execz .LBB55_40
; %bb.37:
	s_add_u32 s36, s22, s34
	s_addc_u32 s37, s23, s35
	s_mov_b32 s29, exec_lo
	s_load_b32 s3, s[36:37], 0x0
	v_mbcnt_lo_u32_b32 v2, s29, 0
	v_add_f32_e64 v1, s20, -1.0
	s_mov_b32 s31, exec_lo
	s_waitcnt vmcnt(0) expcnt(0) lgkmcnt(0)
	s_waitcnt_vscnt null, 0x0
	v_cmpx_eq_u32_e32 0, v2
	s_cbranch_execz .LBB55_39
; %bb.38:
	s_ashr_i32 s9, s8, 31
	s_delay_alu instid0(SALU_CYCLE_1) | instskip(NEXT) | instid1(SALU_CYCLE_1)
	s_lshl_b64 s[36:37], s[8:9], 2
	s_add_u32 s36, s6, s36
	s_addc_u32 s37, s7, s37
	s_bcnt1_i32_b32 s9, s29
	s_delay_alu instid0(SALU_CYCLE_1) | instskip(NEXT) | instid1(SALU_CYCLE_1)
	s_and_b32 s9, s9, 1
	v_dual_mov_b32 v2, 0 :: v_dual_mov_b32 v3, s9
	global_atomic_xor_b32 v2, v3, s[36:37]
.LBB55_39:
	s_or_b32 exec_lo, exec_lo, s31
	v_mul_f32_e32 v7, s3, v1
.LBB55_40:
	s_or_b32 exec_lo, exec_lo, s2
	s_load_b32 s2, s[26:27], 0x4
	s_mul_i32 s3, s11, 0xc00
	s_sub_i32 s9, s21, s30
	s_delay_alu instid0(SALU_CYCLE_1)
	s_add_i32 s9, s9, s3
	s_mov_b32 s3, exec_lo
	v_add_nc_u32_e32 v1, s9, v0
	s_waitcnt lgkmcnt(0)
	s_sub_i32 s2, s2, s30
	s_delay_alu instid0(VALU_DEP_1) | instid1(SALU_CYCLE_1)
	v_cmpx_gt_i32_e64 s2, v1
	s_cbranch_execz .LBB55_44
; %bb.41:
	v_ashrrev_i32_e32 v2, 31, v1
	v_add_co_u32 v3, vcc_lo, s16, v1
	s_addk_i32 s9, 0xc00
	s_mov_b32 s29, 0
	s_delay_alu instid0(VALU_DEP_2) | instskip(SKIP_2) | instid1(VALU_DEP_2)
	v_lshlrev_b64 v[5:6], 2, v[1:2]
	v_add_co_ci_u32_e32 v4, vcc_lo, s17, v2, vcc_lo
	s_min_i32 s9, s9, s2
	v_add_co_u32 v5, vcc_lo, s14, v5
	s_delay_alu instid0(VALU_DEP_3)
	v_add_co_ci_u32_e32 v6, vcc_lo, s15, v6, vcc_lo
	.p2align	6
.LBB55_42:                              ; =>This Inner Loop Header: Depth=1
	global_load_b32 v2, v[5:6], off
	global_load_i8 v10, v[3:4], off
	s_waitcnt vmcnt(1)
	v_subrev_nc_u32_e32 v2, s30, v2
	s_delay_alu instid0(VALU_DEP_1) | instskip(SKIP_1) | instid1(VALU_DEP_2)
	v_ashrrev_i32_e32 v9, 31, v2
	v_add_co_u32 v8, vcc_lo, s18, v2
	v_add_co_ci_u32_e32 v9, vcc_lo, s19, v9, vcc_lo
	v_add_co_u32 v3, vcc_lo, 0x100, v3
	v_add_co_ci_u32_e32 v4, vcc_lo, 0, v4, vcc_lo
	global_load_i8 v2, v[8:9], off
	s_waitcnt vmcnt(1)
	v_cvt_f32_i32_e32 v8, v10
	v_add_nc_u32_e32 v1, 0x100, v1
	v_add_co_u32 v5, vcc_lo, 0x400, v5
	v_add_co_ci_u32_e32 v6, vcc_lo, 0, v6, vcc_lo
	s_delay_alu instid0(VALU_DEP_4) | instskip(NEXT) | instid1(VALU_DEP_4)
	v_mul_f32_e32 v8, s28, v8
	v_cmp_le_i32_e64 s2, s9, v1
	s_delay_alu instid0(VALU_DEP_1) | instskip(SKIP_2) | instid1(VALU_DEP_1)
	s_or_b32 s29, s2, s29
	s_waitcnt vmcnt(0)
	v_cvt_f32_i32_e32 v2, v2
	v_fmac_f32_e32 v7, v8, v2
	s_and_not1_b32 exec_lo, exec_lo, s29
	s_cbranch_execnz .LBB55_42
; %bb.43:
	s_or_b32 exec_lo, exec_lo, s29
.LBB55_44:
	s_delay_alu instid0(SALU_CYCLE_1)
	s_or_b32 exec_lo, exec_lo, s3
	v_lshlrev_b32_e32 v1, 2, v0
	s_mov_b32 s2, exec_lo
	ds_store_b32 v1, v7
	s_waitcnt lgkmcnt(0)
	s_waitcnt_vscnt null, 0x0
	s_barrier
	buffer_gl0_inv
	v_cmpx_gt_u32_e32 0x80, v0
	s_cbranch_execz .LBB55_46
; %bb.45:
	ds_load_2addr_stride64_b32 v[2:3], v1 offset1:2
	s_waitcnt lgkmcnt(0)
	v_add_f32_e32 v2, v2, v3
	ds_store_b32 v1, v2
.LBB55_46:
	s_or_b32 exec_lo, exec_lo, s2
	s_delay_alu instid0(SALU_CYCLE_1)
	s_mov_b32 s2, exec_lo
	s_waitcnt lgkmcnt(0)
	s_barrier
	buffer_gl0_inv
	v_cmpx_gt_u32_e32 64, v0
	s_cbranch_execz .LBB55_48
; %bb.47:
	ds_load_2addr_stride64_b32 v[2:3], v1 offset1:1
	s_waitcnt lgkmcnt(0)
	v_add_f32_e32 v2, v2, v3
	ds_store_b32 v1, v2
.LBB55_48:
	s_or_b32 exec_lo, exec_lo, s2
	s_delay_alu instid0(SALU_CYCLE_1)
	s_mov_b32 s2, exec_lo
	s_waitcnt lgkmcnt(0)
	s_barrier
	buffer_gl0_inv
	v_cmpx_gt_u32_e32 32, v0
	s_cbranch_execz .LBB55_50
; %bb.49:
	ds_load_2addr_b32 v[2:3], v1 offset1:32
	s_waitcnt lgkmcnt(0)
	v_add_f32_e32 v2, v2, v3
	ds_store_b32 v1, v2
.LBB55_50:
	s_or_b32 exec_lo, exec_lo, s2
	s_delay_alu instid0(SALU_CYCLE_1)
	s_mov_b32 s2, exec_lo
	s_waitcnt lgkmcnt(0)
	s_barrier
	buffer_gl0_inv
	v_cmpx_gt_u32_e32 16, v0
	s_cbranch_execz .LBB55_52
; %bb.51:
	ds_load_2addr_b32 v[2:3], v1 offset1:16
	s_waitcnt lgkmcnt(0)
	v_add_f32_e32 v2, v2, v3
	ds_store_b32 v1, v2
.LBB55_52:
	;; [unrolled: 14-line block ×5, first 2 shown]
	s_or_b32 exec_lo, exec_lo, s2
	v_cmp_eq_u32_e32 vcc_lo, 0, v0
	s_waitcnt lgkmcnt(0)
	s_barrier
	buffer_gl0_inv
	s_and_saveexec_b32 s2, vcc_lo
	s_cbranch_execz .LBB55_60
; %bb.59:
	v_mov_b32_e32 v3, 0
	ds_load_b64 v[1:2], v3
	s_waitcnt lgkmcnt(0)
	v_add_f32_e32 v1, v1, v2
	ds_store_b32 v3, v1
.LBB55_60:
	s_or_b32 exec_lo, exec_lo, s2
	s_waitcnt lgkmcnt(0)
	s_barrier
	buffer_gl0_inv
	s_and_saveexec_b32 s29, vcc_lo
	s_cbranch_execz .LBB55_70
; %bb.61:
	s_cmp_eq_u32 s11, 0
	s_cbranch_scc1 .LBB55_67
; %bb.62:
	s_ashr_i32 s9, s8, 31
	v_mov_b32_e32 v1, 0
	s_lshl_b64 s[2:3], s[8:9], 2
	s_delay_alu instid0(SALU_CYCLE_1)
	s_add_u32 s2, s6, s2
	s_addc_u32 s3, s7, s3
	s_branch .LBB55_64
.LBB55_63:                              ;   in Loop: Header=BB55_64 Depth=1
	s_or_b32 exec_lo, exec_lo, s6
	s_waitcnt vmcnt(0)
	v_readfirstlane_b32 s6, v2
	s_delay_alu instid0(VALU_DEP_1)
	s_cmp_eq_u32 s6, s10
	s_cbranch_scc0 .LBB55_66
.LBB55_64:                              ; =>This Inner Loop Header: Depth=1
	v_mbcnt_lo_u32_b32 v2, exec_lo, 0
	s_delay_alu instid0(VALU_DEP_1)
	v_cmp_eq_u32_e32 vcc_lo, 0, v2
                                        ; implicit-def: $vgpr2
	s_and_saveexec_b32 s6, vcc_lo
	s_cbranch_execz .LBB55_63
; %bb.65:                               ;   in Loop: Header=BB55_64 Depth=1
	global_load_b32 v2, v1, s[2:3] glc
	s_branch .LBB55_63
.LBB55_66:
	v_mov_b32_e32 v1, 0
	global_load_b32 v2, v1, s[4:5]
	s_waitcnt vmcnt(0)
	v_xor_b32_e32 v2, 1, v2
	global_store_b32 v1, v2, s[4:5]
.LBB55_67:
	s_mov_b32 s4, exec_lo
	s_delay_alu instid0(SALU_CYCLE_1) | instskip(NEXT) | instid1(VALU_DEP_1)
	v_mbcnt_lo_u32_b32 v1, s4, 0
	v_cmp_eq_u32_e32 vcc_lo, 0, v1
	s_and_b32 s2, exec_lo, vcc_lo
	s_delay_alu instid0(SALU_CYCLE_1)
	s_mov_b32 exec_lo, s2
	s_cbranch_execz .LBB55_70
; %bb.68:
	s_add_u32 s2, s22, s34
	s_addc_u32 s3, s23, s35
	s_bcnt1_i32_b32 s4, s4
	s_delay_alu instid0(SALU_CYCLE_1)
	v_cvt_f32_ubyte0_e32 v4, s4
	v_mov_b32_e32 v3, 0
	s_mov_b32 s4, 0
	global_load_b32 v2, v3, s[2:3]
	ds_load_b32 v1, v3
	s_waitcnt lgkmcnt(0)
	v_mul_f32_e32 v4, v1, v4
.LBB55_69:                              ; =>This Inner Loop Header: Depth=1
	s_waitcnt vmcnt(0)
	s_delay_alu instid0(VALU_DEP_1)
	v_add_f32_e32 v1, v2, v4
	global_atomic_cmpswap_b32 v1, v3, v[1:2], s[2:3] glc
	s_waitcnt vmcnt(0)
	v_cmp_eq_u32_e32 vcc_lo, v1, v2
	v_mov_b32_e32 v2, v1
	s_or_b32 s4, vcc_lo, s4
	s_delay_alu instid0(SALU_CYCLE_1)
	s_and_not1_b32 exec_lo, exec_lo, s4
	s_cbranch_execnz .LBB55_69
.LBB55_70:
	s_or_b32 exec_lo, exec_lo, s29
.LBB55_71:
	s_mov_b32 s3, 0
.LBB55_72:
	s_delay_alu instid0(SALU_CYCLE_1)
	s_and_not1_b32 vcc_lo, exec_lo, s3
	s_cbranch_vccnz .LBB55_116
; %bb.73:
	s_load_b32 s0, s[0:1], 0x4
	v_subrev_nc_u32_e32 v1, s30, v0
	s_waitcnt lgkmcnt(0)
	s_delay_alu instid0(VALU_DEP_1) | instskip(NEXT) | instid1(VALU_DEP_1)
	v_add_nc_u32_e32 v1, s21, v1
	v_add_nc_u32_e32 v2, 0x300, v1
	s_delay_alu instid0(VALU_DEP_1) | instskip(SKIP_1) | instid1(SALU_CYCLE_1)
	v_cmp_le_i32_e32 vcc_lo, s0, v2
	s_and_saveexec_b32 s0, vcc_lo
	s_xor_b32 s0, exec_lo, s0
	s_cbranch_execz .LBB55_78
; %bb.74:
	s_ashr_i32 s3, s25, 31
	s_mov_b32 s2, s25
	s_delay_alu instid0(SALU_CYCLE_1) | instskip(NEXT) | instid1(SALU_CYCLE_1)
	s_lshl_b64 s[2:3], s[2:3], 2
	s_add_u32 s2, s12, s2
	s_addc_u32 s3, s13, s3
	s_load_b32 s1, s[2:3], 0x0
	s_mov_b32 s2, exec_lo
	s_waitcnt lgkmcnt(0)
	s_sub_i32 s1, s1, s30
	s_delay_alu instid0(SALU_CYCLE_1)
	v_cmpx_gt_i32_e64 s1, v1
	s_cbranch_execz .LBB55_77
; %bb.75:
	v_lshlrev_b32_e32 v3, 2, v0
	s_mov_b32 s3, 0
	s_set_inst_prefetch_distance 0x1
	.p2align	6
.LBB55_76:                              ; =>This Inner Loop Header: Depth=1
	v_ashrrev_i32_e32 v2, 31, v1
	s_delay_alu instid0(VALU_DEP_1) | instskip(NEXT) | instid1(VALU_DEP_1)
	v_lshlrev_b64 v[4:5], 2, v[1:2]
	v_add_co_u32 v4, vcc_lo, s14, v4
	s_delay_alu instid0(VALU_DEP_2)
	v_add_co_ci_u32_e32 v5, vcc_lo, s15, v5, vcc_lo
	global_load_b32 v5, v[4:5], off
	v_add_co_u32 v4, vcc_lo, s16, v1
	v_add_nc_u32_e32 v1, 0x100, v1
	s_waitcnt vmcnt(0)
	v_subrev_nc_u32_e32 v6, s30, v5
	v_add_co_ci_u32_e32 v5, vcc_lo, s17, v2, vcc_lo
	global_load_i8 v2, v[4:5], off
	v_ashrrev_i32_e32 v5, 31, v6
	v_add_co_u32 v4, vcc_lo, s18, v6
	s_delay_alu instid0(VALU_DEP_2)
	v_add_co_ci_u32_e32 v5, vcc_lo, s19, v5, vcc_lo
	v_cmp_le_i32_e32 vcc_lo, s1, v1
	global_load_i8 v4, v[4:5], off
	s_or_b32 s3, vcc_lo, s3
	s_waitcnt vmcnt(1)
	v_cvt_f32_i32_e32 v2, v2
	s_delay_alu instid0(VALU_DEP_1) | instskip(SKIP_2) | instid1(VALU_DEP_1)
	v_mul_f32_e32 v2, s28, v2
	s_waitcnt vmcnt(0)
	v_cvt_f32_i32_e32 v4, v4
	v_mul_f32_e32 v2, v2, v4
	ds_store_b32 v3, v2
	v_add_nc_u32_e32 v3, 0x400, v3
	s_and_not1_b32 exec_lo, exec_lo, s3
	s_cbranch_execnz .LBB55_76
.LBB55_77:
	s_set_inst_prefetch_distance 0x2
	s_or_b32 exec_lo, exec_lo, s2
                                        ; implicit-def: $vgpr1
.LBB55_78:
	s_or_saveexec_b32 s0, s0
	v_lshlrev_b32_e32 v6, 2, v0
	s_xor_b32 exec_lo, exec_lo, s0
	s_cbranch_execz .LBB55_80
; %bb.79:
	v_ashrrev_i32_e32 v2, 31, v1
	s_delay_alu instid0(VALU_DEP_1) | instskip(NEXT) | instid1(VALU_DEP_1)
	v_lshlrev_b64 v[3:4], 2, v[1:2]
	v_add_co_u32 v3, vcc_lo, s14, v3
	s_delay_alu instid0(VALU_DEP_2)
	v_add_co_ci_u32_e32 v4, vcc_lo, s15, v4, vcc_lo
	v_add_co_u32 v1, vcc_lo, s16, v1
	v_add_co_ci_u32_e32 v2, vcc_lo, s17, v2, vcc_lo
	s_clause 0x3
	global_load_b32 v5, v[3:4], off
	global_load_b32 v7, v[3:4], off offset:1024
	global_load_b32 v8, v[3:4], off offset:2048
	;; [unrolled: 1-line block ×3, first 2 shown]
	s_clause 0x3
	global_load_i8 v11, v[1:2], off
	global_load_i8 v12, v[1:2], off offset:256
	global_load_i8 v13, v[1:2], off offset:512
	;; [unrolled: 1-line block ×3, first 2 shown]
	s_waitcnt vmcnt(7)
	v_subrev_nc_u32_e32 v4, s30, v5
	s_waitcnt vmcnt(6)
	v_subrev_nc_u32_e32 v5, s30, v7
	;; [unrolled: 2-line block ×4, first 2 shown]
	v_ashrrev_i32_e32 v2, 31, v4
	v_ashrrev_i32_e32 v8, 31, v5
	v_add_co_u32 v1, vcc_lo, s18, v4
	v_ashrrev_i32_e32 v10, 31, v7
	s_delay_alu instid0(VALU_DEP_4)
	v_add_co_ci_u32_e32 v2, vcc_lo, s19, v2, vcc_lo
	v_add_co_u32 v3, vcc_lo, s18, v5
	v_add_co_ci_u32_e32 v4, vcc_lo, s19, v8, vcc_lo
	v_ashrrev_i32_e32 v15, 31, v9
	v_add_co_u32 v7, vcc_lo, s18, v7
	v_add_co_ci_u32_e32 v8, vcc_lo, s19, v10, vcc_lo
	v_add_co_u32 v9, vcc_lo, s18, v9
	s_delay_alu instid0(VALU_DEP_4)
	v_add_co_ci_u32_e32 v10, vcc_lo, s19, v15, vcc_lo
	s_clause 0x3
	global_load_i8 v1, v[1:2], off
	global_load_i8 v2, v[3:4], off
	;; [unrolled: 1-line block ×4, first 2 shown]
	s_waitcnt vmcnt(7)
	v_cvt_f32_i32_e32 v5, v11
	s_waitcnt vmcnt(6)
	v_cvt_f32_i32_e32 v7, v12
	;; [unrolled: 2-line block ×3, first 2 shown]
	v_cvt_f32_i32_e32 v8, v13
	s_delay_alu instid0(VALU_DEP_1)
	v_dual_mul_f32 v5, s28, v5 :: v_dual_mul_f32 v8, s28, v8
	s_waitcnt vmcnt(3)
	v_cvt_f32_i32_e32 v1, v1
	s_waitcnt vmcnt(2)
	v_cvt_f32_i32_e32 v2, v2
	v_mul_f32_e32 v9, s28, v9
	s_waitcnt vmcnt(0)
	v_cvt_f32_i32_e32 v4, v4
	v_mul_f32_e32 v7, s28, v7
	v_cvt_f32_i32_e32 v3, v3
	v_mul_f32_e32 v1, v5, v1
	s_delay_alu instid0(VALU_DEP_4) | instskip(NEXT) | instid1(VALU_DEP_3)
	v_mul_f32_e32 v4, v9, v4
	v_dual_mul_f32 v2, v7, v2 :: v_dual_mul_f32 v3, v8, v3
	ds_store_2addr_stride64_b32 v6, v1, v2 offset1:4
	ds_store_2addr_stride64_b32 v6, v3, v4 offset0:8 offset1:12
.LBB55_80:
	s_or_b32 exec_lo, exec_lo, s0
	s_cmp_lt_i32 s11, 2
	s_mov_b32 s0, -1
	s_waitcnt lgkmcnt(0)
	s_waitcnt_vscnt null, 0x0
	s_barrier
	buffer_gl0_inv
	s_cbranch_scc0 .LBB55_91
; %bb.81:
	v_add_nc_u32_e32 v1, s24, v0
	s_mov_b32 s1, exec_lo
	s_delay_alu instid0(VALU_DEP_1)
	v_cmpx_gt_i32_e64 s25, v1
	s_cbranch_execz .LBB55_90
; %bb.82:
	v_cmp_neq_f32_e64 s2, s20, 0
	s_lshl_b32 s0, s21, 2
	s_mov_b32 s3, 0
	s_sub_i32 s4, 0, s0
	s_branch .LBB55_84
.LBB55_83:                              ;   in Loop: Header=BB55_84 Depth=1
	v_add_nc_u32_e32 v1, 0x100, v1
	v_add_co_u32 v2, s0, s22, v2
	s_delay_alu instid0(VALU_DEP_1) | instskip(NEXT) | instid1(VALU_DEP_3)
	v_add_co_ci_u32_e64 v3, s0, s23, v3, s0
	v_cmp_le_i32_e32 vcc_lo, s25, v1
	global_store_b32 v[2:3], v7, off
	s_or_b32 s3, vcc_lo, s3
	s_delay_alu instid0(SALU_CYCLE_1)
	s_and_not1_b32 exec_lo, exec_lo, s3
	s_cbranch_execz .LBB55_90
.LBB55_84:                              ; =>This Loop Header: Depth=1
                                        ;     Child Loop BB55_86 Depth 2
	v_ashrrev_i32_e32 v2, 31, v1
	v_mov_b32_e32 v7, 0
	s_mov_b32 s0, exec_lo
	s_delay_alu instid0(VALU_DEP_2) | instskip(NEXT) | instid1(VALU_DEP_1)
	v_lshlrev_b64 v[2:3], 2, v[1:2]
	v_add_co_u32 v4, vcc_lo, s12, v2
	s_delay_alu instid0(VALU_DEP_2)
	v_add_co_ci_u32_e32 v5, vcc_lo, s13, v3, vcc_lo
	global_load_b64 v[4:5], v[4:5], off
	s_waitcnt vmcnt(0)
	v_cmpx_lt_i32_e64 v4, v5
	s_cbranch_execz .LBB55_88
; %bb.85:                               ;   in Loop: Header=BB55_84 Depth=1
	v_subrev_nc_u32_e32 v5, s21, v5
	v_subrev_nc_u32_e32 v8, s21, v4
	v_lshl_add_u32 v4, v4, 2, s4
	v_mov_b32_e32 v7, 0
	s_mov_b32 s5, 0
.LBB55_86:                              ;   Parent Loop BB55_84 Depth=1
                                        ; =>  This Inner Loop Header: Depth=2
	ds_load_b32 v9, v4
	v_add_nc_u32_e32 v8, 1, v8
	s_waitcnt lgkmcnt(0)
	v_dual_add_f32 v7, v7, v9 :: v_dual_add_nc_u32 v4, 4, v4
	s_delay_alu instid0(VALU_DEP_2) | instskip(SKIP_1) | instid1(SALU_CYCLE_1)
	v_cmp_ge_i32_e32 vcc_lo, v8, v5
	s_or_b32 s5, vcc_lo, s5
	s_and_not1_b32 exec_lo, exec_lo, s5
	s_cbranch_execnz .LBB55_86
; %bb.87:                               ;   in Loop: Header=BB55_84 Depth=1
	s_or_b32 exec_lo, exec_lo, s5
.LBB55_88:                              ;   in Loop: Header=BB55_84 Depth=1
	s_delay_alu instid0(SALU_CYCLE_1) | instskip(NEXT) | instid1(SALU_CYCLE_1)
	s_or_b32 exec_lo, exec_lo, s0
	s_and_b32 vcc_lo, exec_lo, s2
	s_cbranch_vccz .LBB55_83
; %bb.89:                               ;   in Loop: Header=BB55_84 Depth=1
	v_add_co_u32 v4, vcc_lo, s22, v2
	v_add_co_ci_u32_e32 v5, vcc_lo, s23, v3, vcc_lo
	global_load_b32 v4, v[4:5], off
	s_waitcnt vmcnt(0)
	v_fmac_f32_e32 v7, s20, v4
	s_branch .LBB55_83
.LBB55_90:
	s_or_b32 exec_lo, exec_lo, s1
	s_mov_b32 s0, 0
.LBB55_91:
	s_delay_alu instid0(SALU_CYCLE_1)
	s_and_not1_b32 vcc_lo, exec_lo, s0
	s_cbranch_vccnz .LBB55_116
; %bb.92:
	s_clz_i32_u32 s0, s11
	s_mov_b32 s1, exec_lo
	s_xor_b32 s0, s0, 31
	v_mov_b32_e32 v2, 0
	v_lshrrev_b32_e32 v3, s0, v0
	s_add_i32 s0, s11, -1
	s_delay_alu instid0(SALU_CYCLE_1) | instskip(NEXT) | instid1(VALU_DEP_2)
	v_and_b32_e32 v0, s0, v0
	v_add_nc_u32_e32 v1, s24, v3
	s_delay_alu instid0(VALU_DEP_1)
	v_cmp_le_i32_e32 vcc_lo, s25, v1
	v_cmpx_gt_i32_e64 s25, v1
	s_cbranch_execz .LBB55_98
; %bb.93:
	v_lshlrev_b32_e32 v2, 2, v3
	v_subrev_nc_u32_e32 v4, s21, v0
	s_mov_b32 s2, exec_lo
	global_load_b64 v[2:3], v2, s[26:27]
	s_waitcnt vmcnt(0)
	v_subrev_nc_u32_e32 v3, s21, v3
	v_add_nc_u32_e32 v4, v2, v4
	v_mov_b32_e32 v2, 0
	s_delay_alu instid0(VALU_DEP_2)
	v_cmpx_lt_i32_e64 v4, v3
	s_cbranch_execz .LBB55_97
; %bb.94:
	v_dual_mov_b32 v2, 0 :: v_dual_lshlrev_b32 v5, 2, v4
	s_lshl_b32 s4, s11, 2
	s_mov_b32 s3, 0
.LBB55_95:                              ; =>This Inner Loop Header: Depth=1
	ds_load_b32 v7, v5
	v_add_nc_u32_e32 v4, s11, v4
	v_add_nc_u32_e32 v5, s4, v5
	s_delay_alu instid0(VALU_DEP_2) | instskip(NEXT) | instid1(VALU_DEP_1)
	v_cmp_ge_i32_e64 s0, v4, v3
	s_or_b32 s3, s0, s3
	s_waitcnt lgkmcnt(0)
	v_add_f32_e32 v2, v2, v7
	s_and_not1_b32 exec_lo, exec_lo, s3
	s_cbranch_execnz .LBB55_95
; %bb.96:
	s_or_b32 exec_lo, exec_lo, s3
.LBB55_97:
	s_delay_alu instid0(SALU_CYCLE_1)
	s_or_b32 exec_lo, exec_lo, s2
.LBB55_98:
	s_delay_alu instid0(SALU_CYCLE_1)
	s_or_b32 exec_lo, exec_lo, s1
	s_cmpk_lt_i32 s11, 0x81
	s_waitcnt_vscnt null, 0x0
	s_barrier
	buffer_gl0_inv
	ds_store_b32 v6, v2
	s_waitcnt lgkmcnt(0)
	s_barrier
	buffer_gl0_inv
	s_cbranch_scc1 .LBB55_100
; %bb.99:
	ds_load_b32 v3, v6 offset:512
	s_waitcnt lgkmcnt(0)
	s_barrier
	buffer_gl0_inv
	v_add_f32_e32 v2, v2, v3
	ds_store_b32 v6, v2
.LBB55_100:
	s_cmpk_lt_i32 s11, 0x41
	s_waitcnt lgkmcnt(0)
	s_barrier
	buffer_gl0_inv
	s_cbranch_scc1 .LBB55_102
; %bb.101:
	ds_load_b32 v3, v6 offset:256
	s_waitcnt lgkmcnt(0)
	s_barrier
	buffer_gl0_inv
	v_add_f32_e32 v2, v2, v3
	ds_store_b32 v6, v2
.LBB55_102:
	s_cmp_lt_i32 s11, 33
	s_waitcnt lgkmcnt(0)
	s_barrier
	buffer_gl0_inv
	s_cbranch_scc1 .LBB55_104
; %bb.103:
	ds_load_b32 v3, v6 offset:128
	s_waitcnt lgkmcnt(0)
	s_barrier
	buffer_gl0_inv
	v_add_f32_e32 v2, v2, v3
	ds_store_b32 v6, v2
.LBB55_104:
	s_cmp_lt_i32 s11, 17
	s_waitcnt lgkmcnt(0)
	s_barrier
	buffer_gl0_inv
	s_cbranch_scc1 .LBB55_106
; %bb.105:
	ds_load_b32 v3, v6 offset:64
	s_waitcnt lgkmcnt(0)
	s_barrier
	buffer_gl0_inv
	v_add_f32_e32 v2, v2, v3
	ds_store_b32 v6, v2
.LBB55_106:
	s_cmp_lt_i32 s11, 9
	s_waitcnt lgkmcnt(0)
	s_barrier
	buffer_gl0_inv
	s_cbranch_scc1 .LBB55_108
; %bb.107:
	ds_load_b32 v3, v6 offset:32
	s_waitcnt lgkmcnt(0)
	s_barrier
	buffer_gl0_inv
	v_add_f32_e32 v2, v2, v3
	ds_store_b32 v6, v2
.LBB55_108:
	s_cmp_lt_i32 s11, 5
	s_waitcnt lgkmcnt(0)
	s_barrier
	buffer_gl0_inv
	s_cbranch_scc1 .LBB55_110
; %bb.109:
	ds_load_b32 v3, v6 offset:16
	s_waitcnt lgkmcnt(0)
	s_barrier
	buffer_gl0_inv
	v_add_f32_e32 v2, v2, v3
	ds_store_b32 v6, v2
.LBB55_110:
	s_cmp_eq_u32 s11, 2
	s_waitcnt lgkmcnt(0)
	s_barrier
	buffer_gl0_inv
	s_cbranch_scc1 .LBB55_112
; %bb.111:
	ds_load_b32 v3, v6 offset:8
	s_waitcnt lgkmcnt(0)
	s_barrier
	buffer_gl0_inv
	v_add_f32_e32 v2, v2, v3
	ds_store_b32 v6, v2
.LBB55_112:
	s_waitcnt lgkmcnt(0)
	s_barrier
	buffer_gl0_inv
	ds_load_b32 v3, v6 offset:4
	v_cmp_eq_u32_e64 s0, 0, v0
	s_xor_b32 s1, vcc_lo, -1
	s_waitcnt lgkmcnt(0)
	s_barrier
	buffer_gl0_inv
	s_and_b32 s0, s0, s1
	v_add_f32_e32 v3, v2, v3
	ds_store_b32 v6, v3
	s_and_saveexec_b32 s1, s0
	s_cbranch_execz .LBB55_116
; %bb.113:
	v_ashrrev_i32_e32 v2, 31, v1
	v_cmp_eq_f32_e64 s0, s20, 0
	s_delay_alu instid0(VALU_DEP_2) | instskip(NEXT) | instid1(VALU_DEP_2)
	v_lshlrev_b64 v[0:1], 2, v[1:2]
	s_and_b32 vcc_lo, exec_lo, s0
	s_cbranch_vccnz .LBB55_115
; %bb.114:
	s_delay_alu instid0(VALU_DEP_1) | instskip(NEXT) | instid1(VALU_DEP_2)
	v_add_co_u32 v4, vcc_lo, s22, v0
	v_add_co_ci_u32_e32 v5, vcc_lo, s23, v1, vcc_lo
	global_load_b32 v2, v[4:5], off
	s_waitcnt vmcnt(0)
	v_fmac_f32_e32 v3, s20, v2
.LBB55_115:
	s_delay_alu instid0(VALU_DEP_1) | instskip(NEXT) | instid1(VALU_DEP_2)
	v_add_co_u32 v0, vcc_lo, s22, v0
	v_add_co_ci_u32_e32 v1, vcc_lo, s23, v1, vcc_lo
	global_store_b32 v[0:1], v3, off
.LBB55_116:
	s_nop 0
	s_sendmsg sendmsg(MSG_DEALLOC_VGPRS)
	s_endpgm
	.section	.rodata,"a",@progbits
	.p2align	6, 0x0
	.amdhsa_kernel _ZN9rocsparseL22csrmvn_adaptive_kernelIiiaaffEEvbT_PKS1_PjPKT0_NS_24const_host_device_scalarIT4_EES3_S7_PKT1_PKT2_SA_PT3_21rocsparse_index_base_b
		.amdhsa_group_segment_fixed_size 4096
		.amdhsa_private_segment_fixed_size 0
		.amdhsa_kernarg_size 96
		.amdhsa_user_sgpr_count 15
		.amdhsa_user_sgpr_dispatch_ptr 0
		.amdhsa_user_sgpr_queue_ptr 0
		.amdhsa_user_sgpr_kernarg_segment_ptr 1
		.amdhsa_user_sgpr_dispatch_id 0
		.amdhsa_user_sgpr_private_segment_size 0
		.amdhsa_wavefront_size32 1
		.amdhsa_uses_dynamic_stack 0
		.amdhsa_enable_private_segment 0
		.amdhsa_system_sgpr_workgroup_id_x 1
		.amdhsa_system_sgpr_workgroup_id_y 0
		.amdhsa_system_sgpr_workgroup_id_z 0
		.amdhsa_system_sgpr_workgroup_info 0
		.amdhsa_system_vgpr_workitem_id 0
		.amdhsa_next_free_vgpr 16
		.amdhsa_next_free_sgpr 46
		.amdhsa_reserve_vcc 1
		.amdhsa_float_round_mode_32 0
		.amdhsa_float_round_mode_16_64 0
		.amdhsa_float_denorm_mode_32 3
		.amdhsa_float_denorm_mode_16_64 3
		.amdhsa_dx10_clamp 1
		.amdhsa_ieee_mode 1
		.amdhsa_fp16_overflow 0
		.amdhsa_workgroup_processor_mode 1
		.amdhsa_memory_ordered 1
		.amdhsa_forward_progress 0
		.amdhsa_shared_vgpr_count 0
		.amdhsa_exception_fp_ieee_invalid_op 0
		.amdhsa_exception_fp_denorm_src 0
		.amdhsa_exception_fp_ieee_div_zero 0
		.amdhsa_exception_fp_ieee_overflow 0
		.amdhsa_exception_fp_ieee_underflow 0
		.amdhsa_exception_fp_ieee_inexact 0
		.amdhsa_exception_int_div_zero 0
	.end_amdhsa_kernel
	.section	.text._ZN9rocsparseL22csrmvn_adaptive_kernelIiiaaffEEvbT_PKS1_PjPKT0_NS_24const_host_device_scalarIT4_EES3_S7_PKT1_PKT2_SA_PT3_21rocsparse_index_base_b,"axG",@progbits,_ZN9rocsparseL22csrmvn_adaptive_kernelIiiaaffEEvbT_PKS1_PjPKT0_NS_24const_host_device_scalarIT4_EES3_S7_PKT1_PKT2_SA_PT3_21rocsparse_index_base_b,comdat
.Lfunc_end55:
	.size	_ZN9rocsparseL22csrmvn_adaptive_kernelIiiaaffEEvbT_PKS1_PjPKT0_NS_24const_host_device_scalarIT4_EES3_S7_PKT1_PKT2_SA_PT3_21rocsparse_index_base_b, .Lfunc_end55-_ZN9rocsparseL22csrmvn_adaptive_kernelIiiaaffEEvbT_PKS1_PjPKT0_NS_24const_host_device_scalarIT4_EES3_S7_PKT1_PKT2_SA_PT3_21rocsparse_index_base_b
                                        ; -- End function
	.section	.AMDGPU.csdata,"",@progbits
; Kernel info:
; codeLenInByte = 4316
; NumSgprs: 48
; NumVgprs: 16
; ScratchSize: 0
; MemoryBound: 0
; FloatMode: 240
; IeeeMode: 1
; LDSByteSize: 4096 bytes/workgroup (compile time only)
; SGPRBlocks: 5
; VGPRBlocks: 1
; NumSGPRsForWavesPerEU: 48
; NumVGPRsForWavesPerEU: 16
; Occupancy: 16
; WaveLimiterHint : 1
; COMPUTE_PGM_RSRC2:SCRATCH_EN: 0
; COMPUTE_PGM_RSRC2:USER_SGPR: 15
; COMPUTE_PGM_RSRC2:TRAP_HANDLER: 0
; COMPUTE_PGM_RSRC2:TGID_X_EN: 1
; COMPUTE_PGM_RSRC2:TGID_Y_EN: 0
; COMPUTE_PGM_RSRC2:TGID_Z_EN: 0
; COMPUTE_PGM_RSRC2:TIDIG_COMP_CNT: 0
	.section	.text._ZN9rocsparseL27csrmvn_symm_adaptive_kernelIiiaaffEEvbT_S1_PKS1_NS_24const_host_device_scalarIT4_EES3_PKT0_PKT1_PKT2_S6_PT3_21rocsparse_index_base_b,"axG",@progbits,_ZN9rocsparseL27csrmvn_symm_adaptive_kernelIiiaaffEEvbT_S1_PKS1_NS_24const_host_device_scalarIT4_EES3_PKT0_PKT1_PKT2_S6_PT3_21rocsparse_index_base_b,comdat
	.globl	_ZN9rocsparseL27csrmvn_symm_adaptive_kernelIiiaaffEEvbT_S1_PKS1_NS_24const_host_device_scalarIT4_EES3_PKT0_PKT1_PKT2_S6_PT3_21rocsparse_index_base_b ; -- Begin function _ZN9rocsparseL27csrmvn_symm_adaptive_kernelIiiaaffEEvbT_S1_PKS1_NS_24const_host_device_scalarIT4_EES3_PKT0_PKT1_PKT2_S6_PT3_21rocsparse_index_base_b
	.p2align	8
	.type	_ZN9rocsparseL27csrmvn_symm_adaptive_kernelIiiaaffEEvbT_S1_PKS1_NS_24const_host_device_scalarIT4_EES3_PKT0_PKT1_PKT2_S6_PT3_21rocsparse_index_base_b,@function
_ZN9rocsparseL27csrmvn_symm_adaptive_kernelIiiaaffEEvbT_S1_PKS1_NS_24const_host_device_scalarIT4_EES3_PKT0_PKT1_PKT2_S6_PT3_21rocsparse_index_base_b: ; @_ZN9rocsparseL27csrmvn_symm_adaptive_kernelIiiaaffEEvbT_S1_PKS1_NS_24const_host_device_scalarIT4_EES3_PKT0_PKT1_PKT2_S6_PT3_21rocsparse_index_base_b
; %bb.0:
	s_clause 0x2
	s_load_b64 s[20:21], s[0:1], 0x50
	s_load_b64 s[22:23], s[0:1], 0x18
	;; [unrolled: 1-line block ×3, first 2 shown]
	s_mov_b32 s2, s15
	s_waitcnt lgkmcnt(0)
	s_bitcmp1_b32 s21, 0
	s_cselect_b32 s3, -1, 0
	s_delay_alu instid0(SALU_CYCLE_1)
	s_and_b32 vcc_lo, exec_lo, s3
	s_xor_b32 s3, s3, -1
	s_cbranch_vccnz .LBB56_2
; %bb.1:
	s_load_b32 s22, s[22:23], 0x0
.LBB56_2:
	s_and_not1_b32 vcc_lo, exec_lo, s3
	s_cbranch_vccnz .LBB56_4
; %bb.3:
	s_load_b32 s4, s[4:5], 0x0
.LBB56_4:
	s_waitcnt lgkmcnt(0)
	v_cmp_neq_f32_e64 s3, s22, 0
	v_cmp_neq_f32_e64 s4, s4, 1.0
	s_delay_alu instid0(VALU_DEP_1) | instskip(NEXT) | instid1(SALU_CYCLE_1)
	s_or_b32 s3, s3, s4
	s_and_not1_b32 vcc_lo, exec_lo, s3
	s_cbranch_vccnz .LBB56_177
; %bb.5:
	s_load_b64 s[4:5], s[0:1], 0x10
	s_ashr_i32 s3, s2, 31
	v_lshlrev_b32_e32 v9, 2, v0
	v_mov_b32_e32 v1, 0
	s_lshl_b64 s[2:3], s[2:3], 2
	ds_store_2addr_stride64_b32 v9, v1, v1 offset1:4
	ds_store_2addr_stride64_b32 v9, v1, v1 offset0:8 offset1:12
	s_waitcnt lgkmcnt(0)
	s_barrier
	buffer_gl0_inv
	v_subrev_nc_u32_e32 v7, s20, v0
	s_add_u32 s2, s4, s2
	s_addc_u32 s3, s5, s3
	s_load_b64 s[18:19], s[2:3], 0x0
	s_clause 0x1
	s_load_b256 s[8:15], s[0:1], 0x20
	s_load_b64 s[16:17], s[0:1], 0x48
	s_mov_b32 s2, -1
	s_waitcnt lgkmcnt(0)
	s_sub_i32 s21, s19, s18
	s_delay_alu instid0(SALU_CYCLE_1)
	s_cmp_gt_i32 s21, 2
	s_cbranch_scc1 .LBB56_40
; %bb.6:
	s_cmp_gt_i32 s19, s18
	s_cbranch_scc1 .LBB56_8
; %bb.7:
	s_ashr_i32 s3, s18, 31
	s_mov_b32 s2, s18
	s_delay_alu instid0(SALU_CYCLE_1) | instskip(NEXT) | instid1(SALU_CYCLE_1)
	s_lshl_b64 s[2:3], s[2:3], 2
	s_add_u32 s2, s8, s2
	s_addc_u32 s3, s9, s3
	s_load_b32 s23, s[2:3], 0x0
	s_cbranch_execz .LBB56_9
	s_branch .LBB56_29
.LBB56_8:
                                        ; implicit-def: $sgpr23
	s_and_not1_b32 vcc_lo, exec_lo, s2
	s_cbranch_vccnz .LBB56_29
.LBB56_9:
	s_ashr_i32 s3, s18, 31
	s_mov_b32 s2, s18
	v_cmp_gt_u32_e32 vcc_lo, 0x100, v0
	s_lshl_b64 s[2:3], s[2:3], 2
	v_cmp_gt_u32_e64 s4, 4, v0
	s_add_u32 s2, s8, s2
	s_addc_u32 s3, s9, s3
	v_cmp_eq_u32_e64 s5, 0, v0
	s_waitcnt lgkmcnt(0)
	s_load_b32 s23, s[2:3], 0x0
	v_cmp_gt_u32_e64 s2, 64, v0
	v_cmp_gt_u32_e64 s3, 16, v0
	v_mov_b32_e32 v8, 0
	s_add_u32 s28, s8, 4
	s_addc_u32 s29, s9, 0
	s_mov_b32 s24, s18
	s_waitcnt lgkmcnt(0)
	s_mov_b32 s30, s23
	s_branch .LBB56_11
.LBB56_10:                              ;   in Loop: Header=BB56_11 Depth=1
	s_or_b32 exec_lo, exec_lo, s7
	s_add_i32 s24, s24, 1
	s_delay_alu instid0(SALU_CYCLE_1)
	s_cmp_ge_i32 s24, s19
	s_cbranch_scc1 .LBB56_29
.LBB56_11:                              ; =>This Loop Header: Depth=1
                                        ;     Child Loop BB56_13 Depth 2
                                        ;     Child Loop BB56_28 Depth 2
	s_ashr_i32 s25, s24, 31
	v_mov_b32_e32 v2, 0
	s_lshl_b64 s[26:27], s[24:25], 2
	s_mov_b32 s25, s30
	s_add_u32 s6, s28, s26
	s_addc_u32 s7, s29, s27
	v_add_nc_u32_e32 v1, s25, v7
	s_load_b32 s30, s[6:7], 0x0
	s_mov_b32 s25, exec_lo
	s_waitcnt lgkmcnt(0)
	s_sub_i32 s31, s30, s20
	s_delay_alu instid0(SALU_CYCLE_1)
	v_cmpx_gt_i32_e64 s31, v1
	s_cbranch_execz .LBB56_15
; %bb.12:                               ;   in Loop: Header=BB56_11 Depth=1
	v_ashrrev_i32_e32 v2, 31, v1
	v_add_co_u32 v3, s6, s12, v1
	s_mov_b32 s33, 0
	s_delay_alu instid0(VALU_DEP_2) | instskip(SKIP_2) | instid1(VALU_DEP_3)
	v_lshlrev_b64 v[5:6], 2, v[1:2]
	v_add_co_ci_u32_e64 v4, s6, s13, v2, s6
	v_mov_b32_e32 v2, 0
	v_add_co_u32 v5, s6, s10, v5
	s_delay_alu instid0(VALU_DEP_1)
	v_add_co_ci_u32_e64 v6, s6, s11, v6, s6
	.p2align	6
.LBB56_13:                              ;   Parent Loop BB56_11 Depth=1
                                        ; =>  This Inner Loop Header: Depth=2
	global_load_b32 v10, v[5:6], off
	s_waitcnt vmcnt(0)
	v_subrev_nc_u32_e32 v10, s20, v10
	s_delay_alu instid0(VALU_DEP_1) | instskip(SKIP_1) | instid1(VALU_DEP_1)
	v_ashrrev_i32_e32 v11, 31, v10
	v_add_co_u32 v10, s6, s14, v10
	v_add_co_ci_u32_e64 v11, s6, s15, v11, s6
	v_add_co_u32 v5, s6, 0x400, v5
	global_load_i8 v12, v[3:4], off
	global_load_i8 v10, v[10:11], off
	v_add_co_ci_u32_e64 v6, s6, 0, v6, s6
	v_add_co_u32 v3, s6, 0x100, v3
	s_delay_alu instid0(VALU_DEP_1) | instskip(SKIP_4) | instid1(VALU_DEP_1)
	v_add_co_ci_u32_e64 v4, s6, 0, v4, s6
	s_waitcnt vmcnt(1)
	v_cvt_f32_i32_e32 v11, v12
	s_waitcnt vmcnt(0)
	v_cvt_f32_i32_e32 v10, v10
	v_dual_fmac_f32 v2, v11, v10 :: v_dual_add_nc_u32 v1, 0x100, v1
	s_delay_alu instid0(VALU_DEP_1) | instskip(NEXT) | instid1(VALU_DEP_1)
	v_cmp_le_i32_e64 s7, s31, v1
	s_or_b32 s33, s7, s33
	s_delay_alu instid0(SALU_CYCLE_1)
	s_and_not1_b32 exec_lo, exec_lo, s33
	s_cbranch_execnz .LBB56_13
; %bb.14:                               ;   in Loop: Header=BB56_11 Depth=1
	s_or_b32 exec_lo, exec_lo, s33
.LBB56_15:                              ;   in Loop: Header=BB56_11 Depth=1
	s_delay_alu instid0(SALU_CYCLE_1)
	s_or_b32 exec_lo, exec_lo, s25
	ds_store_b32 v9, v2
	s_waitcnt lgkmcnt(0)
	s_barrier
	buffer_gl0_inv
	s_and_saveexec_b32 s6, vcc_lo
	s_cbranch_execz .LBB56_17
; %bb.16:                               ;   in Loop: Header=BB56_11 Depth=1
	ds_load_2addr_stride64_b32 v[1:2], v9 offset1:4
	ds_load_2addr_stride64_b32 v[3:4], v9 offset0:8 offset1:12
	s_waitcnt lgkmcnt(0)
	v_add_f32_e32 v2, v2, v3
	s_delay_alu instid0(VALU_DEP_1) | instskip(NEXT) | instid1(VALU_DEP_1)
	v_add_f32_e32 v2, v2, v4
	v_add_f32_e32 v1, v1, v2
	ds_store_b32 v9, v1
.LBB56_17:                              ;   in Loop: Header=BB56_11 Depth=1
	s_or_b32 exec_lo, exec_lo, s6
	s_waitcnt lgkmcnt(0)
	s_barrier
	buffer_gl0_inv
	s_and_saveexec_b32 s6, s2
	s_cbranch_execz .LBB56_19
; %bb.18:                               ;   in Loop: Header=BB56_11 Depth=1
	ds_load_2addr_stride64_b32 v[1:2], v9 offset1:1
	ds_load_2addr_stride64_b32 v[3:4], v9 offset0:2 offset1:3
	s_waitcnt lgkmcnt(0)
	v_add_f32_e32 v2, v2, v3
	s_delay_alu instid0(VALU_DEP_1) | instskip(NEXT) | instid1(VALU_DEP_1)
	v_add_f32_e32 v2, v2, v4
	v_add_f32_e32 v1, v1, v2
	ds_store_b32 v9, v1
.LBB56_19:                              ;   in Loop: Header=BB56_11 Depth=1
	s_or_b32 exec_lo, exec_lo, s6
	s_waitcnt lgkmcnt(0)
	s_barrier
	buffer_gl0_inv
	s_and_saveexec_b32 s6, s3
	s_cbranch_execz .LBB56_21
; %bb.20:                               ;   in Loop: Header=BB56_11 Depth=1
	ds_load_2addr_b32 v[1:2], v9 offset1:16
	ds_load_2addr_b32 v[3:4], v9 offset0:32 offset1:48
	s_waitcnt lgkmcnt(0)
	v_add_f32_e32 v2, v2, v3
	s_delay_alu instid0(VALU_DEP_1) | instskip(NEXT) | instid1(VALU_DEP_1)
	v_add_f32_e32 v2, v2, v4
	v_add_f32_e32 v1, v1, v2
	ds_store_b32 v9, v1
.LBB56_21:                              ;   in Loop: Header=BB56_11 Depth=1
	s_or_b32 exec_lo, exec_lo, s6
	s_waitcnt lgkmcnt(0)
	s_barrier
	buffer_gl0_inv
	s_and_saveexec_b32 s6, s4
	s_cbranch_execz .LBB56_23
; %bb.22:                               ;   in Loop: Header=BB56_11 Depth=1
	ds_load_2addr_b32 v[1:2], v9 offset1:4
	ds_load_2addr_b32 v[3:4], v9 offset0:8 offset1:12
	s_waitcnt lgkmcnt(0)
	v_add_f32_e32 v2, v2, v3
	s_delay_alu instid0(VALU_DEP_1) | instskip(NEXT) | instid1(VALU_DEP_1)
	v_add_f32_e32 v2, v2, v4
	v_add_f32_e32 v1, v1, v2
	ds_store_b32 v9, v1
.LBB56_23:                              ;   in Loop: Header=BB56_11 Depth=1
	s_or_b32 exec_lo, exec_lo, s6
	s_waitcnt lgkmcnt(0)
	s_barrier
	buffer_gl0_inv
	s_and_saveexec_b32 s6, s5
	s_cbranch_execz .LBB56_25
; %bb.24:                               ;   in Loop: Header=BB56_11 Depth=1
	ds_load_2addr_b32 v[1:2], v8 offset0:1 offset1:2
	ds_load_b32 v3, v8 offset:12
	ds_load_b32 v4, v9
	s_waitcnt lgkmcnt(2)
	v_add_f32_e32 v1, v1, v2
	s_waitcnt lgkmcnt(1)
	s_delay_alu instid0(VALU_DEP_1) | instskip(SKIP_1) | instid1(VALU_DEP_1)
	v_add_f32_e32 v1, v1, v3
	s_waitcnt lgkmcnt(0)
	v_add_f32_e32 v1, v4, v1
	ds_store_b32 v9, v1
.LBB56_25:                              ;   in Loop: Header=BB56_11 Depth=1
	s_or_b32 exec_lo, exec_lo, s6
	s_waitcnt lgkmcnt(0)
	s_barrier
	buffer_gl0_inv
	s_and_saveexec_b32 s7, s5
	s_cbranch_execz .LBB56_10
; %bb.26:                               ;   in Loop: Header=BB56_11 Depth=1
	s_mov_b32 s25, exec_lo
	s_delay_alu instid0(SALU_CYCLE_1) | instskip(NEXT) | instid1(VALU_DEP_1)
	v_mbcnt_lo_u32_b32 v1, s25, 0
	v_cmp_eq_u32_e64 s6, 0, v1
	s_delay_alu instid0(VALU_DEP_1) | instskip(NEXT) | instid1(SALU_CYCLE_1)
	s_and_b32 s6, exec_lo, s6
	s_mov_b32 exec_lo, s6
	s_cbranch_execz .LBB56_10
; %bb.27:                               ;   in Loop: Header=BB56_11 Depth=1
	s_add_u32 s26, s16, s26
	s_addc_u32 s27, s17, s27
	s_bcnt1_i32_b32 s6, s25
	global_load_b32 v2, v8, s[26:27]
	ds_load_b32 v1, v8
	v_cvt_f32_ubyte0_e32 v3, s6
	s_mov_b32 s25, 0
	s_waitcnt lgkmcnt(0)
	v_mul_f32_e32 v1, s22, v1
	s_delay_alu instid0(VALU_DEP_1)
	v_mul_f32_e32 v3, v1, v3
.LBB56_28:                              ;   Parent Loop BB56_11 Depth=1
                                        ; =>  This Inner Loop Header: Depth=2
	s_waitcnt vmcnt(0)
	s_delay_alu instid0(VALU_DEP_1) | instskip(SKIP_4) | instid1(VALU_DEP_2)
	v_add_f32_e32 v1, v2, v3
	global_atomic_cmpswap_b32 v1, v8, v[1:2], s[26:27] glc
	s_waitcnt vmcnt(0)
	v_cmp_eq_u32_e64 s6, v1, v2
	v_mov_b32_e32 v2, v1
	s_or_b32 s25, s6, s25
	s_delay_alu instid0(SALU_CYCLE_1)
	s_and_not1_b32 exec_lo, exec_lo, s25
	s_cbranch_execnz .LBB56_28
	s_branch .LBB56_10
.LBB56_29:
	s_ashr_i32 s3, s19, 31
	s_mov_b32 s2, s19
	s_waitcnt lgkmcnt(0)
	v_add_nc_u32_e32 v1, s23, v7
	s_lshl_b64 s[2:3], s[2:3], 2
	s_mov_b32 s4, exec_lo
	s_add_u32 s2, s8, s2
	s_addc_u32 s3, s9, s3
	s_load_b32 s2, s[2:3], 0x0
	s_waitcnt lgkmcnt(0)
	s_sub_i32 s3, s2, s20
	s_delay_alu instid0(SALU_CYCLE_1)
	v_cmpx_gt_i32_e64 s3, v1
	s_cbranch_execz .LBB56_39
; %bb.30:
	s_add_i32 s5, s19, -1
	s_mov_b32 s7, 0
	s_cmp_gt_i32 s5, s18
	s_cselect_b32 s2, -1, 0
	s_add_i32 s6, s19, -2
	s_delay_alu instid0(SALU_CYCLE_1) | instskip(SKIP_1) | instid1(SALU_CYCLE_1)
	s_cmp_lg_u32 s6, s18
	s_cselect_b32 s6, -1, 0
	s_and_b32 s6, s2, s6
	s_branch .LBB56_32
.LBB56_31:                              ;   in Loop: Header=BB56_32 Depth=1
	s_or_b32 exec_lo, exec_lo, s2
	v_add_nc_u32_e32 v1, 0x100, v1
	s_delay_alu instid0(VALU_DEP_1) | instskip(SKIP_1) | instid1(SALU_CYCLE_1)
	v_cmp_le_i32_e32 vcc_lo, s3, v1
	s_or_b32 s7, vcc_lo, s7
	s_and_not1_b32 exec_lo, exec_lo, s7
	s_cbranch_execz .LBB56_39
.LBB56_32:                              ; =>This Loop Header: Depth=1
                                        ;     Child Loop BB56_34 Depth 2
                                        ;     Child Loop BB56_38 Depth 2
	v_mov_b32_e32 v5, s18
	v_mov_b32_e32 v3, s5
	s_and_not1_b32 vcc_lo, exec_lo, s6
	s_cbranch_vccnz .LBB56_36
; %bb.33:                               ;   in Loop: Header=BB56_32 Depth=1
	v_mov_b32_e32 v5, s18
	v_mov_b32_e32 v3, s5
	s_mov_b32 s23, 0
	.p2align	6
.LBB56_34:                              ;   Parent Loop BB56_32 Depth=1
                                        ; =>  This Inner Loop Header: Depth=2
	s_delay_alu instid0(VALU_DEP_1) | instskip(NEXT) | instid1(VALU_DEP_1)
	v_add_nc_u32_e32 v2, v3, v5
	v_lshrrev_b32_e32 v4, 31, v2
	s_delay_alu instid0(VALU_DEP_1) | instskip(NEXT) | instid1(VALU_DEP_1)
	v_add_nc_u32_e32 v2, v2, v4
	v_ashrrev_i32_e32 v10, 1, v2
	s_delay_alu instid0(VALU_DEP_1) | instskip(NEXT) | instid1(VALU_DEP_1)
	v_ashrrev_i32_e32 v11, 31, v10
	v_lshlrev_b64 v[11:12], 2, v[10:11]
	s_delay_alu instid0(VALU_DEP_1) | instskip(NEXT) | instid1(VALU_DEP_2)
	v_add_co_u32 v11, vcc_lo, s8, v11
	v_add_co_ci_u32_e32 v12, vcc_lo, s9, v12, vcc_lo
	global_load_b32 v2, v[11:12], off
	s_waitcnt vmcnt(0)
	v_subrev_nc_u32_e32 v2, s20, v2
	s_delay_alu instid0(VALU_DEP_1) | instskip(SKIP_1) | instid1(VALU_DEP_1)
	v_cmp_gt_i32_e32 vcc_lo, v2, v1
	v_cndmask_b32_e32 v3, v3, v10, vcc_lo
	v_dual_cndmask_b32 v5, v10, v5 :: v_dual_add_nc_u32 v2, -1, v3
	s_delay_alu instid0(VALU_DEP_1) | instskip(NEXT) | instid1(VALU_DEP_2)
	v_cmp_ge_i32_e32 vcc_lo, v5, v3
	v_cmp_eq_u32_e64 s2, v5, v2
	s_delay_alu instid0(VALU_DEP_1) | instskip(NEXT) | instid1(SALU_CYCLE_1)
	s_or_b32 s2, vcc_lo, s2
	s_and_b32 s2, exec_lo, s2
	s_delay_alu instid0(SALU_CYCLE_1) | instskip(NEXT) | instid1(SALU_CYCLE_1)
	s_or_b32 s23, s2, s23
	s_and_not1_b32 exec_lo, exec_lo, s23
	s_cbranch_execnz .LBB56_34
; %bb.35:                               ;   in Loop: Header=BB56_32 Depth=1
	s_or_b32 exec_lo, exec_lo, s23
.LBB56_36:                              ;   in Loop: Header=BB56_32 Depth=1
	s_delay_alu instid0(VALU_DEP_1) | instskip(SKIP_2) | instid1(VALU_DEP_2)
	v_ashrrev_i32_e32 v4, 31, v3
	v_ashrrev_i32_e32 v2, 31, v1
	s_mov_b32 s2, exec_lo
	v_lshlrev_b64 v[10:11], 2, v[3:4]
	s_delay_alu instid0(VALU_DEP_2) | instskip(NEXT) | instid1(VALU_DEP_2)
	v_lshlrev_b64 v[12:13], 2, v[1:2]
	v_add_co_u32 v10, vcc_lo, s8, v10
	s_delay_alu instid0(VALU_DEP_3)
	v_add_co_ci_u32_e32 v11, vcc_lo, s9, v11, vcc_lo
	global_load_b32 v4, v[10:11], off
	v_add_co_u32 v10, vcc_lo, s10, v12
	v_add_co_ci_u32_e32 v11, vcc_lo, s11, v13, vcc_lo
	global_load_b32 v6, v[10:11], off
	s_waitcnt vmcnt(1)
	v_subrev_nc_u32_e32 v4, s20, v4
	s_delay_alu instid0(VALU_DEP_1) | instskip(SKIP_3) | instid1(VALU_DEP_1)
	v_cmp_gt_i32_e32 vcc_lo, v4, v1
	v_cndmask_b32_e32 v5, v3, v5, vcc_lo
	s_waitcnt vmcnt(0)
	v_subrev_nc_u32_e32 v3, s20, v6
	v_cmpx_ne_u32_e64 v3, v5
	s_cbranch_execz .LBB56_31
; %bb.37:                               ;   in Loop: Header=BB56_32 Depth=1
	v_add_co_u32 v10, vcc_lo, s12, v1
	v_add_co_ci_u32_e32 v11, vcc_lo, s13, v2, vcc_lo
	v_ashrrev_i32_e32 v2, 31, v5
	v_ashrrev_i32_e32 v4, 31, v3
	v_add_co_u32 v5, vcc_lo, s14, v5
	global_load_i8 v8, v[10:11], off
	v_add_co_ci_u32_e32 v6, vcc_lo, s15, v2, vcc_lo
	v_lshlrev_b64 v[2:3], 2, v[3:4]
	s_mov_b32 s23, 0
	global_load_i8 v4, v[5:6], off
	v_add_co_u32 v2, vcc_lo, s16, v2
	v_add_co_ci_u32_e32 v3, vcc_lo, s17, v3, vcc_lo
	global_load_b32 v5, v[2:3], off
	s_waitcnt vmcnt(2)
	v_cvt_f32_i32_e32 v6, v8
	s_delay_alu instid0(VALU_DEP_1) | instskip(SKIP_2) | instid1(VALU_DEP_1)
	v_mul_f32_e32 v6, s22, v6
	s_waitcnt vmcnt(1)
	v_cvt_f32_i32_e32 v4, v4
	v_mul_f32_e32 v6, v6, v4
.LBB56_38:                              ;   Parent Loop BB56_32 Depth=1
                                        ; =>  This Inner Loop Header: Depth=2
	s_waitcnt vmcnt(0)
	s_delay_alu instid0(VALU_DEP_1)
	v_add_f32_e32 v4, v5, v6
	global_atomic_cmpswap_b32 v4, v[2:3], v[4:5], off glc
	s_waitcnt vmcnt(0)
	v_cmp_eq_u32_e32 vcc_lo, v4, v5
	v_mov_b32_e32 v5, v4
	s_or_b32 s23, vcc_lo, s23
	s_delay_alu instid0(SALU_CYCLE_1)
	s_and_not1_b32 exec_lo, exec_lo, s23
	s_cbranch_execnz .LBB56_38
	s_branch .LBB56_31
.LBB56_39:
	s_or_b32 exec_lo, exec_lo, s4
	s_mov_b32 s2, 0
.LBB56_40:
	s_delay_alu instid0(SALU_CYCLE_1)
	s_and_b32 vcc_lo, exec_lo, s2
	s_cbranch_vccz .LBB56_177
; %bb.41:
	s_ashr_i32 s3, s18, 31
	s_mov_b32 s2, s18
	s_sub_i32 s7, 0, s21
	s_lshl_b64 s[2:3], s[2:3], 2
	v_cvt_f32_u32_e32 v1, s21
	s_add_u32 s2, s8, s2
	s_addc_u32 s3, s9, s3
	s_load_b32 s23, s[2:3], 0x0
	s_delay_alu instid0(VALU_DEP_1)
	v_rcp_iflag_f32_e32 v1, v1
	s_clause 0x1
	s_load_b64 s[4:5], s[0:1], 0x4
	s_load_b32 s1, s[0:1], 0x64
	s_waitcnt lgkmcnt(0)
	s_waitcnt_depctr 0xfff
	v_dual_mul_f32 v2, 0x4f7ffffe, v1 :: v_dual_add_nc_u32 v1, s23, v7
	s_delay_alu instid0(VALU_DEP_1) | instskip(NEXT) | instid1(VALU_DEP_2)
	v_cvt_u32_f32_e32 v2, v2
	v_add_nc_u32_e32 v10, 0x300, v1
	s_delay_alu instid0(VALU_DEP_2) | instskip(NEXT) | instid1(VALU_DEP_2)
	v_readfirstlane_b32 s6, v2
	v_cmp_le_i32_e32 vcc_lo, s4, v10
	s_delay_alu instid0(VALU_DEP_2) | instskip(NEXT) | instid1(SALU_CYCLE_1)
	s_mul_i32 s7, s7, s6
	s_mul_hi_u32 s4, s6, s7
	s_and_saveexec_b32 s0, vcc_lo
	s_delay_alu instid0(SALU_CYCLE_1)
	s_xor_b32 s7, exec_lo, s0
	s_cbranch_execz .LBB56_46
; %bb.42:
	s_ashr_i32 s25, s19, 31
	s_mov_b32 s24, s19
	s_delay_alu instid0(SALU_CYCLE_1) | instskip(NEXT) | instid1(SALU_CYCLE_1)
	s_lshl_b64 s[24:25], s[24:25], 2
	s_add_u32 s24, s8, s24
	s_addc_u32 s25, s9, s25
	s_load_b32 s0, s[24:25], 0x0
	s_mov_b32 s25, exec_lo
	s_waitcnt lgkmcnt(0)
	s_sub_i32 s24, s0, s23
	s_delay_alu instid0(SALU_CYCLE_1)
	v_cmpx_gt_i32_e64 s24, v0
	s_cbranch_execz .LBB56_45
; %bb.43:
	v_dual_mov_b32 v2, v0 :: v_dual_mov_b32 v3, v9
	s_sub_i32 s26, s23, s20
	s_mov_b32 s27, 0
	.p2align	6
.LBB56_44:                              ; =>This Inner Loop Header: Depth=1
	s_delay_alu instid0(VALU_DEP_1) | instskip(SKIP_1) | instid1(VALU_DEP_2)
	v_add_nc_u32_e32 v4, s26, v2
	v_add_nc_u32_e32 v2, 0x100, v2
	v_ashrrev_i32_e32 v5, 31, v4
	v_add_co_u32 v4, s0, s12, v4
	s_delay_alu instid0(VALU_DEP_1) | instskip(NEXT) | instid1(VALU_DEP_4)
	v_add_co_ci_u32_e64 v5, s0, s13, v5, s0
	v_cmp_le_i32_e64 s0, s24, v2
	global_load_i8 v4, v[4:5], off
	s_or_b32 s27, s0, s27
	s_waitcnt vmcnt(0)
	v_cvt_f32_i32_e32 v4, v4
	s_delay_alu instid0(VALU_DEP_1)
	v_mul_f32_e32 v4, s22, v4
	ds_store_b32 v3, v4
	v_add_nc_u32_e32 v3, 0x400, v3
	s_and_not1_b32 exec_lo, exec_lo, s27
	s_cbranch_execnz .LBB56_44
.LBB56_45:
	s_or_b32 exec_lo, exec_lo, s25
.LBB56_46:
	s_or_saveexec_b32 s7, s7
	v_ashrrev_i32_e32 v2, 31, v1
	s_and_b32 s1, s1, 0xffff
	s_add_i32 s6, s6, s4
	s_xor_b32 exec_lo, exec_lo, s7
	s_cbranch_execz .LBB56_48
; %bb.47:
	v_add_co_u32 v3, s0, s12, v1
	s_delay_alu instid0(VALU_DEP_1)
	v_add_co_ci_u32_e64 v4, s0, s13, v2, s0
	s_clause 0x3
	global_load_i8 v5, v[3:4], off
	global_load_i8 v6, v[3:4], off offset:256
	global_load_i8 v7, v[3:4], off offset:512
	;; [unrolled: 1-line block ×3, first 2 shown]
	s_waitcnt vmcnt(3)
	v_cvt_f32_i32_e32 v4, v5
	s_waitcnt vmcnt(2)
	v_cvt_f32_i32_e32 v5, v6
	;; [unrolled: 2-line block ×4, first 2 shown]
	v_dual_mul_f32 v4, s22, v4 :: v_dual_mul_f32 v5, s22, v5
	s_delay_alu instid0(VALU_DEP_2)
	v_dual_mul_f32 v6, s22, v6 :: v_dual_mul_f32 v3, s22, v3
	ds_store_2addr_stride64_b32 v9, v4, v5 offset1:4
	ds_store_2addr_stride64_b32 v9, v6, v3 offset0:8 offset1:12
.LBB56_48:
	s_or_b32 exec_lo, exec_lo, s7
	s_mul_hi_u32 s4, s1, s6
	s_mov_b32 s6, exec_lo
	v_cmpx_gt_i32_e64 s5, v0
	s_cbranch_execz .LBB56_51
; %bb.49:
	v_lshl_add_u32 v3, v0, 2, 0x1000
	v_dual_mov_b32 v4, 0 :: v_dual_mov_b32 v5, v0
	s_mov_b32 s7, 0
.LBB56_50:                              ; =>This Inner Loop Header: Depth=1
	s_delay_alu instid0(VALU_DEP_1) | instskip(SKIP_3) | instid1(VALU_DEP_1)
	v_add_nc_u32_e32 v5, 0x100, v5
	ds_store_b32 v3, v4
	v_add_nc_u32_e32 v3, 0x400, v3
	v_cmp_le_i32_e64 s0, s5, v5
	s_or_b32 s7, s0, s7
	s_delay_alu instid0(SALU_CYCLE_1)
	s_and_not1_b32 exec_lo, exec_lo, s7
	s_cbranch_execnz .LBB56_50
.LBB56_51:
	s_or_b32 exec_lo, exec_lo, s6
	s_sub_i32 s0, s19, s5
	s_cmp_ge_i32 s19, s5
	s_waitcnt lgkmcnt(0)
	s_cselect_b32 s12, s0, 0
	s_barrier
	buffer_gl0_inv
	s_and_saveexec_b32 s0, vcc_lo
	s_delay_alu instid0(SALU_CYCLE_1)
	s_xor_b32 s6, exec_lo, s0
	s_cbranch_execz .LBB56_70
; %bb.52:
	s_ashr_i32 s25, s19, 31
	s_mov_b32 s24, s19
	s_mov_b32 s13, exec_lo
	s_lshl_b64 s[24:25], s[24:25], 2
	s_delay_alu instid0(SALU_CYCLE_1) | instskip(SKIP_4) | instid1(SALU_CYCLE_1)
	s_add_u32 s24, s8, s24
	s_addc_u32 s25, s9, s25
	s_load_b32 s0, s[24:25], 0x0
	s_waitcnt lgkmcnt(0)
	s_sub_i32 s7, s0, s23
	v_cmpx_gt_i32_e64 s7, v0
	s_cbranch_execz .LBB56_69
; %bb.53:
	s_add_i32 s22, s19, -1
	s_mov_b32 s26, 0
	s_cmp_gt_i32 s22, s18
	s_mov_b32 s27, 0
	s_cselect_b32 s24, -1, 0
	s_add_i32 s25, s19, -2
	s_delay_alu instid0(SALU_CYCLE_1) | instskip(SKIP_1) | instid1(SALU_CYCLE_1)
	s_cmp_lg_u32 s25, s18
	s_cselect_b32 s25, -1, 0
	s_and_b32 s24, s24, s25
	s_sub_i32 s25, s0, s20
	s_branch .LBB56_56
.LBB56_54:                              ;   in Loop: Header=BB56_56 Depth=1
	s_or_b32 exec_lo, exec_lo, s0
.LBB56_55:                              ;   in Loop: Header=BB56_56 Depth=1
	s_delay_alu instid0(SALU_CYCLE_1) | instskip(SKIP_3) | instid1(VALU_DEP_2)
	s_or_b32 exec_lo, exec_lo, s28
	v_ashrrev_i32_e32 v3, 31, v2
	v_add_co_u32 v2, vcc_lo, s14, v2
	s_addk_i32 s27, 0x100
	v_add_co_ci_u32_e32 v3, vcc_lo, s15, v3, vcc_lo
	global_load_i8 v2, v[2:3], off
	s_waitcnt vmcnt(0)
	v_cvt_f32_i32_e32 v2, v2
	s_waitcnt lgkmcnt(0)
	s_delay_alu instid0(VALU_DEP_1) | instskip(NEXT) | instid1(VALU_DEP_1)
	v_dual_mul_f32 v2, v8, v2 :: v_dual_add_nc_u32 v3, s27, v0
	v_cmp_le_i32_e32 vcc_lo, s7, v3
	ds_store_b32 v7, v2
	s_or_b32 s26, vcc_lo, s26
	s_delay_alu instid0(SALU_CYCLE_1)
	s_and_not1_b32 exec_lo, exec_lo, s26
	s_cbranch_execz .LBB56_69
.LBB56_56:                              ; =>This Loop Header: Depth=1
                                        ;     Child Loop BB56_58 Depth 2
                                        ;     Child Loop BB56_65 Depth 2
	v_add_nc_u32_e32 v3, s27, v1
	v_mov_b32_e32 v7, s18
	v_mov_b32_e32 v5, s22
	s_and_not1_b32 vcc_lo, exec_lo, s24
	s_cbranch_vccnz .LBB56_60
; %bb.57:                               ;   in Loop: Header=BB56_56 Depth=1
	v_mov_b32_e32 v7, s18
	v_mov_b32_e32 v5, s22
	s_mov_b32 s28, 0
	.p2align	6
.LBB56_58:                              ;   Parent Loop BB56_56 Depth=1
                                        ; =>  This Inner Loop Header: Depth=2
	s_delay_alu instid0(VALU_DEP_1) | instskip(NEXT) | instid1(VALU_DEP_1)
	v_add_nc_u32_e32 v2, v5, v7
	v_lshrrev_b32_e32 v4, 31, v2
	s_delay_alu instid0(VALU_DEP_1) | instskip(NEXT) | instid1(VALU_DEP_1)
	v_add_nc_u32_e32 v2, v2, v4
	v_ashrrev_i32_e32 v10, 1, v2
	s_delay_alu instid0(VALU_DEP_1) | instskip(NEXT) | instid1(VALU_DEP_1)
	v_ashrrev_i32_e32 v11, 31, v10
	v_lshlrev_b64 v[11:12], 2, v[10:11]
	s_delay_alu instid0(VALU_DEP_1) | instskip(NEXT) | instid1(VALU_DEP_2)
	v_add_co_u32 v11, vcc_lo, s8, v11
	v_add_co_ci_u32_e32 v12, vcc_lo, s9, v12, vcc_lo
	global_load_b32 v2, v[11:12], off
	s_waitcnt vmcnt(0)
	v_subrev_nc_u32_e32 v2, s20, v2
	s_delay_alu instid0(VALU_DEP_1) | instskip(SKIP_1) | instid1(VALU_DEP_1)
	v_cmp_gt_i32_e32 vcc_lo, v2, v3
	v_cndmask_b32_e32 v5, v5, v10, vcc_lo
	v_dual_cndmask_b32 v7, v10, v7 :: v_dual_add_nc_u32 v2, -1, v5
	s_delay_alu instid0(VALU_DEP_1) | instskip(NEXT) | instid1(VALU_DEP_2)
	v_cmp_ge_i32_e32 vcc_lo, v7, v5
	v_cmp_eq_u32_e64 s0, v7, v2
	s_delay_alu instid0(VALU_DEP_1) | instskip(NEXT) | instid1(SALU_CYCLE_1)
	s_or_b32 s0, vcc_lo, s0
	s_and_b32 s0, exec_lo, s0
	s_delay_alu instid0(SALU_CYCLE_1) | instskip(NEXT) | instid1(SALU_CYCLE_1)
	s_or_b32 s28, s0, s28
	s_and_not1_b32 exec_lo, exec_lo, s28
	s_cbranch_execnz .LBB56_58
; %bb.59:                               ;   in Loop: Header=BB56_56 Depth=1
	s_or_b32 exec_lo, exec_lo, s28
.LBB56_60:                              ;   in Loop: Header=BB56_56 Depth=1
	s_delay_alu instid0(VALU_DEP_1) | instskip(SKIP_2) | instid1(VALU_DEP_3)
	v_ashrrev_i32_e32 v6, 31, v5
	v_ashrrev_i32_e32 v4, 31, v3
	v_cmp_le_i32_e64 s0, s25, v3
                                        ; implicit-def: $vgpr8
	v_lshlrev_b64 v[10:11], 2, v[5:6]
	s_delay_alu instid0(VALU_DEP_3) | instskip(NEXT) | instid1(VALU_DEP_2)
	v_lshlrev_b64 v[12:13], 2, v[3:4]
	v_add_co_u32 v10, vcc_lo, s8, v10
	s_delay_alu instid0(VALU_DEP_3) | instskip(NEXT) | instid1(VALU_DEP_3)
	v_add_co_ci_u32_e32 v11, vcc_lo, s9, v11, vcc_lo
	v_add_co_u32 v12, vcc_lo, s10, v12
	s_delay_alu instid0(VALU_DEP_4)
	v_add_co_ci_u32_e32 v13, vcc_lo, s11, v13, vcc_lo
	global_load_b32 v2, v[10:11], off
	global_load_b32 v4, v[12:13], off
	s_waitcnt vmcnt(1)
	v_subrev_nc_u32_e32 v6, s20, v2
	s_waitcnt vmcnt(0)
	v_subrev_nc_u32_e32 v2, s20, v4
	s_delay_alu instid0(VALU_DEP_2) | instskip(SKIP_2) | instid1(VALU_DEP_2)
	v_cmp_gt_i32_e32 vcc_lo, v6, v3
	v_cndmask_b32_e32 v4, v5, v7, vcc_lo
	v_lshl_add_u32 v7, s27, 2, v9
	v_cmp_eq_u32_e32 vcc_lo, v2, v4
	s_or_b32 s0, vcc_lo, s0
	s_delay_alu instid0(SALU_CYCLE_1) | instskip(NEXT) | instid1(SALU_CYCLE_1)
	s_and_saveexec_b32 s28, s0
	s_xor_b32 s0, exec_lo, s28
	s_cbranch_execz .LBB56_62
; %bb.61:                               ;   in Loop: Header=BB56_56 Depth=1
	ds_load_b32 v8, v7
                                        ; implicit-def: $vgpr4
.LBB56_62:                              ;   in Loop: Header=BB56_56 Depth=1
	s_and_not1_saveexec_b32 s28, s0
	s_cbranch_execz .LBB56_55
; %bb.63:                               ;   in Loop: Header=BB56_56 Depth=1
	v_ashrrev_i32_e32 v5, 31, v4
	v_add_co_u32 v3, vcc_lo, s14, v4
	s_waitcnt lgkmcnt(0)
	ds_load_b32 v8, v7
	v_cmp_le_i32_e64 s0, s19, v2
	v_add_co_ci_u32_e32 v4, vcc_lo, s15, v5, vcc_lo
	v_cmp_gt_i32_e32 vcc_lo, s12, v2
	global_load_i8 v3, v[3:4], off
	s_or_b32 s0, vcc_lo, s0
	s_waitcnt vmcnt(0)
	v_cvt_f32_i32_e32 v3, v3
	s_waitcnt lgkmcnt(0)
	s_delay_alu instid0(VALU_DEP_1) | instskip(SKIP_1) | instid1(SALU_CYCLE_1)
	v_mul_f32_e32 v10, v8, v3
	s_and_saveexec_b32 s29, s0
	s_xor_b32 s0, exec_lo, s29
	s_cbranch_execz .LBB56_67
; %bb.64:                               ;   in Loop: Header=BB56_56 Depth=1
	v_ashrrev_i32_e32 v3, 31, v2
	s_mov_b32 s29, 0
	s_delay_alu instid0(VALU_DEP_1) | instskip(NEXT) | instid1(VALU_DEP_1)
	v_lshlrev_b64 v[3:4], 2, v[2:3]
	v_add_co_u32 v3, vcc_lo, s16, v3
	s_delay_alu instid0(VALU_DEP_2)
	v_add_co_ci_u32_e32 v4, vcc_lo, s17, v4, vcc_lo
	global_load_b32 v6, v[3:4], off
.LBB56_65:                              ;   Parent Loop BB56_56 Depth=1
                                        ; =>  This Inner Loop Header: Depth=2
	s_waitcnt vmcnt(0)
	v_add_f32_e32 v5, v6, v10
	global_atomic_cmpswap_b32 v5, v[3:4], v[5:6], off glc
	s_waitcnt vmcnt(0)
	v_cmp_eq_u32_e32 vcc_lo, v5, v6
	v_mov_b32_e32 v6, v5
	s_or_b32 s29, vcc_lo, s29
	s_delay_alu instid0(SALU_CYCLE_1)
	s_and_not1_b32 exec_lo, exec_lo, s29
	s_cbranch_execnz .LBB56_65
; %bb.66:                               ;   in Loop: Header=BB56_56 Depth=1
	s_or_b32 exec_lo, exec_lo, s29
                                        ; implicit-def: $vgpr10
.LBB56_67:                              ;   in Loop: Header=BB56_56 Depth=1
	s_and_not1_saveexec_b32 s0, s0
	s_cbranch_execz .LBB56_54
; %bb.68:                               ;   in Loop: Header=BB56_56 Depth=1
	v_subrev_nc_u32_e32 v3, s12, v2
	s_delay_alu instid0(VALU_DEP_1)
	v_lshl_add_u32 v3, v3, 2, 0x1000
	ds_add_f32 v3, v10
	s_branch .LBB56_54
.LBB56_69:
	s_or_b32 exec_lo, exec_lo, s13
                                        ; implicit-def: $vgpr10
                                        ; implicit-def: $vgpr1
.LBB56_70:
	s_and_not1_saveexec_b32 s13, s6
	s_cbranch_execz .LBB56_136
; %bb.71:
	s_add_i32 s22, s19, -1
	v_mov_b32_e32 v6, s18
	s_cmp_le_i32 s22, s18
	v_mov_b32_e32 v4, s22
	s_cselect_b32 s0, -1, 0
	s_add_i32 s6, s19, -2
	s_delay_alu instid0(SALU_CYCLE_1) | instskip(SKIP_1) | instid1(SALU_CYCLE_1)
	s_cmp_eq_u32 s6, s18
	s_cselect_b32 s6, -1, 0
	s_or_b32 s6, s0, s6
	s_delay_alu instid0(SALU_CYCLE_1)
	s_and_b32 vcc_lo, exec_lo, s6
	s_cbranch_vccnz .LBB56_75
; %bb.72:
	v_mov_b32_e32 v6, s18
	v_mov_b32_e32 v4, s22
	s_mov_b32 s7, 0
	.p2align	6
.LBB56_73:                              ; =>This Inner Loop Header: Depth=1
	s_delay_alu instid0(VALU_DEP_1) | instskip(NEXT) | instid1(VALU_DEP_1)
	v_add_nc_u32_e32 v3, v4, v6
	v_lshrrev_b32_e32 v5, 31, v3
	s_delay_alu instid0(VALU_DEP_1) | instskip(NEXT) | instid1(VALU_DEP_1)
	v_add_nc_u32_e32 v3, v3, v5
	v_ashrrev_i32_e32 v7, 1, v3
	s_delay_alu instid0(VALU_DEP_1) | instskip(NEXT) | instid1(VALU_DEP_1)
	v_ashrrev_i32_e32 v8, 31, v7
	v_lshlrev_b64 v[11:12], 2, v[7:8]
	s_delay_alu instid0(VALU_DEP_1) | instskip(NEXT) | instid1(VALU_DEP_2)
	v_add_co_u32 v11, vcc_lo, s8, v11
	v_add_co_ci_u32_e32 v12, vcc_lo, s9, v12, vcc_lo
	global_load_b32 v3, v[11:12], off
	s_waitcnt vmcnt(0)
	v_subrev_nc_u32_e32 v3, s20, v3
	s_delay_alu instid0(VALU_DEP_1) | instskip(SKIP_1) | instid1(VALU_DEP_1)
	v_cmp_gt_i32_e32 vcc_lo, v3, v1
	v_cndmask_b32_e32 v4, v4, v7, vcc_lo
	v_dual_cndmask_b32 v6, v7, v6 :: v_dual_add_nc_u32 v3, -1, v4
	s_delay_alu instid0(VALU_DEP_1) | instskip(NEXT) | instid1(VALU_DEP_2)
	v_cmp_ge_i32_e32 vcc_lo, v6, v4
	v_cmp_eq_u32_e64 s0, v6, v3
	s_delay_alu instid0(VALU_DEP_1) | instskip(NEXT) | instid1(SALU_CYCLE_1)
	s_or_b32 s0, vcc_lo, s0
	s_and_b32 s0, exec_lo, s0
	s_delay_alu instid0(SALU_CYCLE_1) | instskip(NEXT) | instid1(SALU_CYCLE_1)
	s_or_b32 s7, s0, s7
	s_and_not1_b32 exec_lo, exec_lo, s7
	s_cbranch_execnz .LBB56_73
; %bb.74:
	s_or_b32 exec_lo, exec_lo, s7
.LBB56_75:
	v_ashrrev_i32_e32 v5, 31, v4
	v_lshlrev_b64 v[2:3], 2, v[1:2]
	s_xor_b32 s24, s6, -1
	s_ashr_i32 s7, s19, 31
	s_mov_b32 s6, s19
	v_lshlrev_b64 v[7:8], 2, v[4:5]
	s_lshl_b64 s[6:7], s[6:7], 2
                                        ; implicit-def: $vgpr12
	s_mov_b32 s0, exec_lo
	s_add_u32 s6, s8, s6
	s_addc_u32 s7, s9, s7
	s_delay_alu instid0(VALU_DEP_1)
	v_add_co_u32 v7, vcc_lo, s8, v7
	v_add_co_ci_u32_e32 v8, vcc_lo, s9, v8, vcc_lo
	v_add_co_u32 v2, vcc_lo, s10, v2
	v_add_co_ci_u32_e32 v3, vcc_lo, s11, v3, vcc_lo
	global_load_b32 v5, v[7:8], off
	global_load_b32 v7, v[2:3], off
	s_waitcnt vmcnt(1)
	v_subrev_nc_u32_e32 v5, s20, v5
	s_delay_alu instid0(VALU_DEP_1) | instskip(SKIP_3) | instid1(VALU_DEP_1)
	v_cmp_gt_i32_e32 vcc_lo, v5, v1
	v_cndmask_b32_e32 v5, v4, v6, vcc_lo
	s_waitcnt vmcnt(0)
	v_subrev_nc_u32_e32 v4, s20, v7
	v_cmpx_ne_u32_e64 v4, v5
	s_xor_b32 s10, exec_lo, s0
	s_cbranch_execz .LBB56_85
; %bb.76:
	s_load_b32 s0, s[6:7], 0x0
	ds_load_b32 v12, v9
	s_mov_b32 s11, exec_lo
	s_waitcnt lgkmcnt(0)
	s_sub_i32 s0, s0, s20
	s_delay_alu instid0(SALU_CYCLE_1)
	v_cmpx_gt_i32_e64 s0, v1
	s_cbranch_execz .LBB56_84
; %bb.77:
	v_ashrrev_i32_e32 v6, 31, v5
	v_add_co_u32 v5, vcc_lo, s14, v5
	v_cmp_le_i32_e64 s0, s19, v4
	s_delay_alu instid0(VALU_DEP_3)
	v_add_co_ci_u32_e32 v6, vcc_lo, s15, v6, vcc_lo
	v_cmp_gt_i32_e32 vcc_lo, s12, v4
	global_load_i8 v5, v[5:6], off
	s_or_b32 s0, vcc_lo, s0
	s_waitcnt vmcnt(0)
	v_cvt_f32_i32_e32 v5, v5
	s_delay_alu instid0(VALU_DEP_1) | instskip(SKIP_1) | instid1(SALU_CYCLE_1)
	v_mul_f32_e32 v11, v12, v5
	s_and_saveexec_b32 s25, s0
	s_xor_b32 s0, exec_lo, s25
	s_cbranch_execz .LBB56_81
; %bb.78:
	v_ashrrev_i32_e32 v5, 31, v4
	s_mov_b32 s25, 0
	s_delay_alu instid0(VALU_DEP_1) | instskip(NEXT) | instid1(VALU_DEP_1)
	v_lshlrev_b64 v[5:6], 2, v[4:5]
	v_add_co_u32 v5, vcc_lo, s16, v5
	s_delay_alu instid0(VALU_DEP_2)
	v_add_co_ci_u32_e32 v6, vcc_lo, s17, v6, vcc_lo
	global_load_b32 v8, v[5:6], off
.LBB56_79:                              ; =>This Inner Loop Header: Depth=1
	s_waitcnt vmcnt(0)
	v_add_f32_e32 v7, v8, v11
	global_atomic_cmpswap_b32 v7, v[5:6], v[7:8], off glc
	s_waitcnt vmcnt(0)
	v_cmp_eq_u32_e32 vcc_lo, v7, v8
	v_mov_b32_e32 v8, v7
	s_or_b32 s25, vcc_lo, s25
	s_delay_alu instid0(SALU_CYCLE_1)
	s_and_not1_b32 exec_lo, exec_lo, s25
	s_cbranch_execnz .LBB56_79
; %bb.80:
	s_or_b32 exec_lo, exec_lo, s25
                                        ; implicit-def: $vgpr11
.LBB56_81:
	s_and_not1_saveexec_b32 s0, s0
	s_cbranch_execz .LBB56_83
; %bb.82:
	v_subrev_nc_u32_e32 v5, s12, v4
	s_delay_alu instid0(VALU_DEP_1)
	v_lshl_add_u32 v5, v5, 2, 0x1000
	ds_add_f32 v5, v11
.LBB56_83:
	s_or_b32 exec_lo, exec_lo, s0
.LBB56_84:
	s_delay_alu instid0(SALU_CYCLE_1)
	s_or_b32 exec_lo, exec_lo, s11
.LBB56_85:
	s_and_not1_saveexec_b32 s0, s10
	s_cbranch_execz .LBB56_87
; %bb.86:
	ds_load_b32 v12, v9
.LBB56_87:
	s_or_b32 exec_lo, exec_lo, s0
	v_ashrrev_i32_e32 v5, 31, v4
	v_add_co_u32 v4, vcc_lo, s14, v4
	v_cndmask_b32_e64 v11, 0, 1, s24
	v_mov_b32_e32 v7, s18
	s_delay_alu instid0(VALU_DEP_4)
	v_add_co_ci_u32_e32 v5, vcc_lo, s15, v5, vcc_lo
	s_and_not1_b32 vcc_lo, exec_lo, s24
	global_load_i8 v4, v[4:5], off
	s_waitcnt vmcnt(0)
	v_cvt_f32_i32_e32 v4, v4
	s_waitcnt lgkmcnt(0)
	s_delay_alu instid0(VALU_DEP_1)
	v_dual_mul_f32 v5, v12, v4 :: v_dual_add_nc_u32 v6, 0x100, v1
	v_mov_b32_e32 v4, s22
	ds_store_b32 v9, v5
	s_cbranch_vccnz .LBB56_91
; %bb.88:
	v_dual_mov_b32 v7, s18 :: v_dual_mov_b32 v4, s22
	s_mov_b32 s10, 0
	.p2align	6
.LBB56_89:                              ; =>This Inner Loop Header: Depth=1
	s_delay_alu instid0(VALU_DEP_1) | instskip(NEXT) | instid1(VALU_DEP_1)
	v_add_nc_u32_e32 v5, v4, v7
	v_lshrrev_b32_e32 v8, 31, v5
	s_delay_alu instid0(VALU_DEP_1) | instskip(NEXT) | instid1(VALU_DEP_1)
	v_add_nc_u32_e32 v5, v5, v8
	v_ashrrev_i32_e32 v12, 1, v5
	s_delay_alu instid0(VALU_DEP_1) | instskip(NEXT) | instid1(VALU_DEP_1)
	v_ashrrev_i32_e32 v13, 31, v12
	v_lshlrev_b64 v[13:14], 2, v[12:13]
	s_delay_alu instid0(VALU_DEP_1) | instskip(NEXT) | instid1(VALU_DEP_2)
	v_add_co_u32 v13, vcc_lo, s8, v13
	v_add_co_ci_u32_e32 v14, vcc_lo, s9, v14, vcc_lo
	global_load_b32 v5, v[13:14], off
	s_waitcnt vmcnt(0)
	v_subrev_nc_u32_e32 v5, s20, v5
	s_delay_alu instid0(VALU_DEP_1) | instskip(SKIP_2) | instid1(VALU_DEP_2)
	v_cmp_gt_i32_e32 vcc_lo, v5, v6
	v_cndmask_b32_e32 v4, v4, v12, vcc_lo
	v_cndmask_b32_e32 v7, v12, v7, vcc_lo
	v_add_nc_u32_e32 v5, -1, v4
	s_delay_alu instid0(VALU_DEP_2) | instskip(NEXT) | instid1(VALU_DEP_2)
	v_cmp_ge_i32_e32 vcc_lo, v7, v4
	v_cmp_eq_u32_e64 s0, v7, v5
	s_delay_alu instid0(VALU_DEP_1) | instskip(NEXT) | instid1(SALU_CYCLE_1)
	s_or_b32 s0, vcc_lo, s0
	s_and_b32 s0, exec_lo, s0
	s_delay_alu instid0(SALU_CYCLE_1) | instskip(NEXT) | instid1(SALU_CYCLE_1)
	s_or_b32 s10, s0, s10
	s_and_not1_b32 exec_lo, exec_lo, s10
	s_cbranch_execnz .LBB56_89
; %bb.90:
	s_or_b32 exec_lo, exec_lo, s10
.LBB56_91:
	v_ashrrev_i32_e32 v5, 31, v4
	s_mov_b32 s0, exec_lo
	s_delay_alu instid0(VALU_DEP_1) | instskip(NEXT) | instid1(VALU_DEP_1)
	v_lshlrev_b64 v[12:13], 2, v[4:5]
	v_add_co_u32 v12, vcc_lo, s8, v12
	s_delay_alu instid0(VALU_DEP_2) | instskip(SKIP_4) | instid1(VALU_DEP_1)
	v_add_co_ci_u32_e32 v13, vcc_lo, s9, v13, vcc_lo
	global_load_b32 v5, v[12:13], off
	global_load_b32 v8, v[2:3], off offset:1024
                                        ; implicit-def: $vgpr12
	s_waitcnt vmcnt(1)
	v_subrev_nc_u32_e32 v5, s20, v5
	v_cmp_gt_i32_e32 vcc_lo, v5, v6
	v_cndmask_b32_e32 v5, v4, v7, vcc_lo
	s_waitcnt vmcnt(0)
	v_subrev_nc_u32_e32 v4, s20, v8
	s_delay_alu instid0(VALU_DEP_1)
	v_cmpx_ne_u32_e64 v4, v5
	s_xor_b32 s10, exec_lo, s0
	s_cbranch_execz .LBB56_101
; %bb.92:
	s_load_b32 s0, s[6:7], 0x0
	ds_load_b32 v12, v9 offset:1024
	s_mov_b32 s11, exec_lo
	s_waitcnt lgkmcnt(0)
	s_sub_i32 s0, s0, s20
	s_delay_alu instid0(SALU_CYCLE_1)
	v_cmpx_gt_i32_e64 s0, v6
	s_cbranch_execz .LBB56_100
; %bb.93:
	v_ashrrev_i32_e32 v6, 31, v5
	v_add_co_u32 v5, vcc_lo, s14, v5
	v_cmp_le_i32_e64 s0, s19, v4
	s_delay_alu instid0(VALU_DEP_3)
	v_add_co_ci_u32_e32 v6, vcc_lo, s15, v6, vcc_lo
	v_cmp_gt_i32_e32 vcc_lo, s12, v4
	global_load_i8 v5, v[5:6], off
	s_or_b32 s0, vcc_lo, s0
	s_waitcnt vmcnt(0)
	v_cvt_f32_i32_e32 v5, v5
	s_delay_alu instid0(VALU_DEP_1) | instskip(SKIP_1) | instid1(SALU_CYCLE_1)
	v_mul_f32_e32 v13, v12, v5
	s_and_saveexec_b32 s24, s0
	s_xor_b32 s0, exec_lo, s24
	s_cbranch_execz .LBB56_97
; %bb.94:
	v_ashrrev_i32_e32 v5, 31, v4
	s_mov_b32 s24, 0
	s_delay_alu instid0(VALU_DEP_1) | instskip(NEXT) | instid1(VALU_DEP_1)
	v_lshlrev_b64 v[5:6], 2, v[4:5]
	v_add_co_u32 v5, vcc_lo, s16, v5
	s_delay_alu instid0(VALU_DEP_2)
	v_add_co_ci_u32_e32 v6, vcc_lo, s17, v6, vcc_lo
	global_load_b32 v8, v[5:6], off
.LBB56_95:                              ; =>This Inner Loop Header: Depth=1
	s_waitcnt vmcnt(0)
	v_add_f32_e32 v7, v8, v13
	global_atomic_cmpswap_b32 v7, v[5:6], v[7:8], off glc
	s_waitcnt vmcnt(0)
	v_cmp_eq_u32_e32 vcc_lo, v7, v8
	v_mov_b32_e32 v8, v7
	s_or_b32 s24, vcc_lo, s24
	s_delay_alu instid0(SALU_CYCLE_1)
	s_and_not1_b32 exec_lo, exec_lo, s24
	s_cbranch_execnz .LBB56_95
; %bb.96:
	s_or_b32 exec_lo, exec_lo, s24
                                        ; implicit-def: $vgpr13
.LBB56_97:
	s_and_not1_saveexec_b32 s0, s0
	s_cbranch_execz .LBB56_99
; %bb.98:
	v_subrev_nc_u32_e32 v5, s12, v4
	s_delay_alu instid0(VALU_DEP_1)
	v_lshl_add_u32 v5, v5, 2, 0x1000
	ds_add_f32 v5, v13
.LBB56_99:
	s_or_b32 exec_lo, exec_lo, s0
.LBB56_100:
	s_delay_alu instid0(SALU_CYCLE_1)
	s_or_b32 exec_lo, exec_lo, s11
.LBB56_101:
	s_and_not1_saveexec_b32 s0, s10
	s_cbranch_execz .LBB56_103
; %bb.102:
	ds_load_b32 v12, v9 offset:1024
.LBB56_103:
	s_or_b32 exec_lo, exec_lo, s0
	v_ashrrev_i32_e32 v5, 31, v4
	v_add_co_u32 v4, vcc_lo, s14, v4
	s_delay_alu instid0(VALU_DEP_2)
	v_add_co_ci_u32_e32 v5, vcc_lo, s15, v5, vcc_lo
	v_cmp_ne_u32_e32 vcc_lo, 1, v11
	global_load_i8 v4, v[4:5], off
	s_and_b32 vcc_lo, exec_lo, vcc_lo
	s_waitcnt vmcnt(0)
	v_cvt_f32_i32_e32 v4, v4
	v_dual_mov_b32 v1, s18 :: v_dual_add_nc_u32 v6, 0x200, v1
	s_waitcnt lgkmcnt(0)
	s_delay_alu instid0(VALU_DEP_2)
	v_dual_mul_f32 v5, v12, v4 :: v_dual_mov_b32 v4, s22
	ds_store_b32 v9, v5 offset:1024
	s_cbranch_vccnz .LBB56_107
; %bb.104:
	v_dual_mov_b32 v1, s18 :: v_dual_mov_b32 v4, s22
	s_mov_b32 s10, 0
	.p2align	6
.LBB56_105:                             ; =>This Inner Loop Header: Depth=1
	s_delay_alu instid0(VALU_DEP_1) | instskip(NEXT) | instid1(VALU_DEP_1)
	v_add_nc_u32_e32 v5, v4, v1
	v_lshrrev_b32_e32 v7, 31, v5
	s_delay_alu instid0(VALU_DEP_1) | instskip(NEXT) | instid1(VALU_DEP_1)
	v_add_nc_u32_e32 v5, v5, v7
	v_ashrrev_i32_e32 v7, 1, v5
	s_delay_alu instid0(VALU_DEP_1) | instskip(NEXT) | instid1(VALU_DEP_1)
	v_ashrrev_i32_e32 v8, 31, v7
	v_lshlrev_b64 v[12:13], 2, v[7:8]
	s_delay_alu instid0(VALU_DEP_1) | instskip(NEXT) | instid1(VALU_DEP_2)
	v_add_co_u32 v12, vcc_lo, s8, v12
	v_add_co_ci_u32_e32 v13, vcc_lo, s9, v13, vcc_lo
	global_load_b32 v5, v[12:13], off
	s_waitcnt vmcnt(0)
	v_subrev_nc_u32_e32 v5, s20, v5
	s_delay_alu instid0(VALU_DEP_1) | instskip(SKIP_1) | instid1(VALU_DEP_1)
	v_cmp_gt_i32_e32 vcc_lo, v5, v6
	v_dual_cndmask_b32 v4, v4, v7 :: v_dual_cndmask_b32 v1, v7, v1
	v_add_nc_u32_e32 v5, -1, v4
	s_delay_alu instid0(VALU_DEP_2) | instskip(NEXT) | instid1(VALU_DEP_2)
	v_cmp_ge_i32_e32 vcc_lo, v1, v4
	v_cmp_eq_u32_e64 s0, v1, v5
	s_delay_alu instid0(VALU_DEP_1) | instskip(NEXT) | instid1(SALU_CYCLE_1)
	s_or_b32 s0, vcc_lo, s0
	s_and_b32 s0, exec_lo, s0
	s_delay_alu instid0(SALU_CYCLE_1) | instskip(NEXT) | instid1(SALU_CYCLE_1)
	s_or_b32 s10, s0, s10
	s_and_not1_b32 exec_lo, exec_lo, s10
	s_cbranch_execnz .LBB56_105
; %bb.106:
	s_or_b32 exec_lo, exec_lo, s10
.LBB56_107:
	v_ashrrev_i32_e32 v5, 31, v4
	s_mov_b32 s0, exec_lo
	s_delay_alu instid0(VALU_DEP_1) | instskip(NEXT) | instid1(VALU_DEP_1)
	v_lshlrev_b64 v[7:8], 2, v[4:5]
	v_add_co_u32 v7, vcc_lo, s8, v7
	s_delay_alu instid0(VALU_DEP_2) | instskip(SKIP_4) | instid1(VALU_DEP_1)
	v_add_co_ci_u32_e32 v8, vcc_lo, s9, v8, vcc_lo
	global_load_b32 v5, v[7:8], off
	global_load_b32 v7, v[2:3], off offset:2048
	s_waitcnt vmcnt(1)
	v_subrev_nc_u32_e32 v5, s20, v5
	v_cmp_gt_i32_e32 vcc_lo, v5, v6
	v_cndmask_b32_e32 v5, v4, v1, vcc_lo
	s_waitcnt vmcnt(0)
	v_subrev_nc_u32_e32 v4, s20, v7
                                        ; implicit-def: $vgpr1
	s_delay_alu instid0(VALU_DEP_1)
	v_cmpx_ne_u32_e64 v4, v5
	s_xor_b32 s10, exec_lo, s0
	s_cbranch_execz .LBB56_117
; %bb.108:
	s_load_b32 s0, s[6:7], 0x0
	ds_load_b32 v1, v9 offset:2048
	s_mov_b32 s11, exec_lo
	s_waitcnt lgkmcnt(0)
	s_sub_i32 s0, s0, s20
	s_delay_alu instid0(SALU_CYCLE_1)
	v_cmpx_gt_i32_e64 s0, v6
	s_cbranch_execz .LBB56_116
; %bb.109:
	v_ashrrev_i32_e32 v6, 31, v5
	v_add_co_u32 v5, vcc_lo, s14, v5
	v_cmp_le_i32_e64 s0, s19, v4
	s_delay_alu instid0(VALU_DEP_3)
	v_add_co_ci_u32_e32 v6, vcc_lo, s15, v6, vcc_lo
	v_cmp_gt_i32_e32 vcc_lo, s12, v4
	global_load_i8 v5, v[5:6], off
	s_or_b32 s0, vcc_lo, s0
	s_waitcnt vmcnt(0)
	v_cvt_f32_i32_e32 v5, v5
	s_delay_alu instid0(VALU_DEP_1) | instskip(SKIP_1) | instid1(SALU_CYCLE_1)
	v_mul_f32_e32 v12, v1, v5
	s_and_saveexec_b32 s24, s0
	s_xor_b32 s0, exec_lo, s24
	s_cbranch_execz .LBB56_113
; %bb.110:
	v_ashrrev_i32_e32 v5, 31, v4
	s_mov_b32 s24, 0
	s_delay_alu instid0(VALU_DEP_1) | instskip(NEXT) | instid1(VALU_DEP_1)
	v_lshlrev_b64 v[5:6], 2, v[4:5]
	v_add_co_u32 v5, vcc_lo, s16, v5
	s_delay_alu instid0(VALU_DEP_2)
	v_add_co_ci_u32_e32 v6, vcc_lo, s17, v6, vcc_lo
	global_load_b32 v8, v[5:6], off
.LBB56_111:                             ; =>This Inner Loop Header: Depth=1
	s_waitcnt vmcnt(0)
	v_add_f32_e32 v7, v8, v12
	global_atomic_cmpswap_b32 v7, v[5:6], v[7:8], off glc
	s_waitcnt vmcnt(0)
	v_cmp_eq_u32_e32 vcc_lo, v7, v8
	v_mov_b32_e32 v8, v7
	s_or_b32 s24, vcc_lo, s24
	s_delay_alu instid0(SALU_CYCLE_1)
	s_and_not1_b32 exec_lo, exec_lo, s24
	s_cbranch_execnz .LBB56_111
; %bb.112:
	s_or_b32 exec_lo, exec_lo, s24
                                        ; implicit-def: $vgpr12
.LBB56_113:
	s_and_not1_saveexec_b32 s0, s0
	s_cbranch_execz .LBB56_115
; %bb.114:
	v_subrev_nc_u32_e32 v5, s12, v4
	s_delay_alu instid0(VALU_DEP_1)
	v_lshl_add_u32 v5, v5, 2, 0x1000
	ds_add_f32 v5, v12
.LBB56_115:
	s_or_b32 exec_lo, exec_lo, s0
.LBB56_116:
	s_delay_alu instid0(SALU_CYCLE_1)
	s_or_b32 exec_lo, exec_lo, s11
.LBB56_117:
	s_and_not1_saveexec_b32 s0, s10
	s_cbranch_execz .LBB56_119
; %bb.118:
	ds_load_b32 v1, v9 offset:2048
.LBB56_119:
	s_or_b32 exec_lo, exec_lo, s0
	v_ashrrev_i32_e32 v5, 31, v4
	v_add_co_u32 v4, vcc_lo, s14, v4
	s_delay_alu instid0(VALU_DEP_2)
	v_add_co_ci_u32_e32 v5, vcc_lo, s15, v5, vcc_lo
	v_cmp_ne_u32_e32 vcc_lo, 1, v11
	global_load_i8 v4, v[4:5], off
	s_and_b32 vcc_lo, exec_lo, vcc_lo
	s_waitcnt vmcnt(0)
	v_cvt_f32_i32_e32 v4, v4
	s_waitcnt lgkmcnt(0)
	s_delay_alu instid0(VALU_DEP_1)
	v_dual_mul_f32 v5, v1, v4 :: v_dual_mov_b32 v4, s22
	v_mov_b32_e32 v1, s18
	ds_store_b32 v9, v5 offset:2048
	s_cbranch_vccnz .LBB56_123
; %bb.120:
	v_dual_mov_b32 v1, s18 :: v_dual_mov_b32 v4, s22
	s_mov_b32 s10, 0
	.p2align	6
.LBB56_121:                             ; =>This Inner Loop Header: Depth=1
	s_delay_alu instid0(VALU_DEP_1) | instskip(NEXT) | instid1(VALU_DEP_1)
	v_add_nc_u32_e32 v5, v4, v1
	v_lshrrev_b32_e32 v6, 31, v5
	s_delay_alu instid0(VALU_DEP_1) | instskip(NEXT) | instid1(VALU_DEP_1)
	v_add_nc_u32_e32 v5, v5, v6
	v_ashrrev_i32_e32 v5, 1, v5
	s_delay_alu instid0(VALU_DEP_1) | instskip(NEXT) | instid1(VALU_DEP_1)
	v_ashrrev_i32_e32 v6, 31, v5
	v_lshlrev_b64 v[6:7], 2, v[5:6]
	s_delay_alu instid0(VALU_DEP_1) | instskip(NEXT) | instid1(VALU_DEP_2)
	v_add_co_u32 v6, vcc_lo, s8, v6
	v_add_co_ci_u32_e32 v7, vcc_lo, s9, v7, vcc_lo
	global_load_b32 v6, v[6:7], off
	s_waitcnt vmcnt(0)
	v_subrev_nc_u32_e32 v6, s20, v6
	s_delay_alu instid0(VALU_DEP_1) | instskip(SKIP_2) | instid1(VALU_DEP_2)
	v_cmp_gt_i32_e32 vcc_lo, v6, v10
	v_cndmask_b32_e32 v4, v4, v5, vcc_lo
	v_cndmask_b32_e32 v1, v5, v1, vcc_lo
	v_add_nc_u32_e32 v5, -1, v4
	s_delay_alu instid0(VALU_DEP_2) | instskip(NEXT) | instid1(VALU_DEP_2)
	v_cmp_ge_i32_e32 vcc_lo, v1, v4
	v_cmp_eq_u32_e64 s0, v1, v5
	s_delay_alu instid0(VALU_DEP_1) | instskip(NEXT) | instid1(SALU_CYCLE_1)
	s_or_b32 s0, vcc_lo, s0
	s_and_b32 s0, exec_lo, s0
	s_delay_alu instid0(SALU_CYCLE_1) | instskip(NEXT) | instid1(SALU_CYCLE_1)
	s_or_b32 s10, s0, s10
	s_and_not1_b32 exec_lo, exec_lo, s10
	s_cbranch_execnz .LBB56_121
; %bb.122:
	s_or_b32 exec_lo, exec_lo, s10
.LBB56_123:
	v_ashrrev_i32_e32 v5, 31, v4
	s_mov_b32 s0, exec_lo
	s_delay_alu instid0(VALU_DEP_1) | instskip(NEXT) | instid1(VALU_DEP_1)
	v_lshlrev_b64 v[5:6], 2, v[4:5]
	v_add_co_u32 v5, vcc_lo, s8, v5
	s_delay_alu instid0(VALU_DEP_2) | instskip(SKIP_4) | instid1(VALU_DEP_1)
	v_add_co_ci_u32_e32 v6, vcc_lo, s9, v6, vcc_lo
	global_load_b32 v5, v[5:6], off
	global_load_b32 v3, v[2:3], off offset:3072
                                        ; implicit-def: $vgpr6
	s_waitcnt vmcnt(1)
	v_subrev_nc_u32_e32 v2, s20, v5
	v_cmp_gt_i32_e32 vcc_lo, v2, v10
	v_cndmask_b32_e32 v2, v4, v1, vcc_lo
	s_waitcnt vmcnt(0)
	v_subrev_nc_u32_e32 v1, s20, v3
	s_delay_alu instid0(VALU_DEP_1)
	v_cmpx_ne_u32_e64 v1, v2
	s_xor_b32 s10, exec_lo, s0
	s_cbranch_execz .LBB56_133
; %bb.124:
	s_load_b32 s0, s[6:7], 0x0
	ds_load_b32 v6, v9 offset:3072
	s_mov_b32 s6, exec_lo
	s_waitcnt lgkmcnt(0)
	s_sub_i32 s0, s0, s20
	s_delay_alu instid0(SALU_CYCLE_1)
	v_cmpx_gt_i32_e64 s0, v10
	s_cbranch_execz .LBB56_132
; %bb.125:
	v_ashrrev_i32_e32 v3, 31, v2
	v_add_co_u32 v2, vcc_lo, s14, v2
	v_cmp_le_i32_e64 s0, s19, v1
	s_delay_alu instid0(VALU_DEP_3)
	v_add_co_ci_u32_e32 v3, vcc_lo, s15, v3, vcc_lo
	v_cmp_gt_i32_e32 vcc_lo, s12, v1
	global_load_i8 v2, v[2:3], off
	s_or_b32 s0, vcc_lo, s0
	s_waitcnt vmcnt(0)
	v_cvt_f32_i32_e32 v2, v2
	s_delay_alu instid0(VALU_DEP_1) | instskip(SKIP_1) | instid1(SALU_CYCLE_1)
	v_mul_f32_e32 v7, v6, v2
	s_and_saveexec_b32 s7, s0
	s_xor_b32 s0, exec_lo, s7
	s_cbranch_execz .LBB56_129
; %bb.126:
	v_ashrrev_i32_e32 v2, 31, v1
	s_mov_b32 s7, 0
	s_delay_alu instid0(VALU_DEP_1) | instskip(NEXT) | instid1(VALU_DEP_1)
	v_lshlrev_b64 v[2:3], 2, v[1:2]
	v_add_co_u32 v2, vcc_lo, s16, v2
	s_delay_alu instid0(VALU_DEP_2)
	v_add_co_ci_u32_e32 v3, vcc_lo, s17, v3, vcc_lo
	global_load_b32 v5, v[2:3], off
.LBB56_127:                             ; =>This Inner Loop Header: Depth=1
	s_waitcnt vmcnt(0)
	v_add_f32_e32 v4, v5, v7
	global_atomic_cmpswap_b32 v4, v[2:3], v[4:5], off glc
	s_waitcnt vmcnt(0)
	v_cmp_eq_u32_e32 vcc_lo, v4, v5
	v_mov_b32_e32 v5, v4
	s_or_b32 s7, vcc_lo, s7
	s_delay_alu instid0(SALU_CYCLE_1)
	s_and_not1_b32 exec_lo, exec_lo, s7
	s_cbranch_execnz .LBB56_127
; %bb.128:
	s_or_b32 exec_lo, exec_lo, s7
                                        ; implicit-def: $vgpr7
.LBB56_129:
	s_and_not1_saveexec_b32 s0, s0
	s_cbranch_execz .LBB56_131
; %bb.130:
	v_subrev_nc_u32_e32 v2, s12, v1
	s_delay_alu instid0(VALU_DEP_1)
	v_lshl_add_u32 v2, v2, 2, 0x1000
	ds_add_f32 v2, v7
.LBB56_131:
	s_or_b32 exec_lo, exec_lo, s0
.LBB56_132:
	s_delay_alu instid0(SALU_CYCLE_1)
	s_or_b32 exec_lo, exec_lo, s6
.LBB56_133:
	s_and_not1_saveexec_b32 s0, s10
	s_cbranch_execz .LBB56_135
; %bb.134:
	ds_load_b32 v6, v9 offset:3072
.LBB56_135:
	s_or_b32 exec_lo, exec_lo, s0
	v_ashrrev_i32_e32 v2, 31, v1
	v_add_co_u32 v1, vcc_lo, s14, v1
	s_delay_alu instid0(VALU_DEP_2) | instskip(SKIP_4) | instid1(VALU_DEP_1)
	v_add_co_ci_u32_e32 v2, vcc_lo, s15, v2, vcc_lo
	global_load_i8 v1, v[1:2], off
	s_waitcnt vmcnt(0)
	v_cvt_f32_i32_e32 v1, v1
	s_waitcnt lgkmcnt(0)
	v_mul_f32_e32 v1, v6, v1
	ds_store_b32 v9, v1 offset:3072
.LBB56_136:
	s_or_b32 exec_lo, exec_lo, s13
	s_min_i32 s7, s19, s5
	s_mov_b32 s5, exec_lo
	s_sub_i32 s0, s7, s21
	s_waitcnt lgkmcnt(0)
	s_barrier
	buffer_gl0_inv
	v_cmpx_gt_i32_e64 s0, v0
	s_cbranch_execz .LBB56_141
; %bb.137:
	v_mov_b32_e32 v5, v0
	s_mov_b32 s6, 0
	.p2align	6
.LBB56_138:                             ; =>This Loop Header: Depth=1
                                        ;     Child Loop BB56_139 Depth 2
	s_delay_alu instid0(VALU_DEP_1) | instskip(SKIP_2) | instid1(VALU_DEP_2)
	v_add_nc_u32_e32 v1, s12, v5
	v_lshl_add_u32 v3, v5, 2, 0x1000
	s_mov_b32 s10, 0
	v_ashrrev_i32_e32 v2, 31, v1
	ds_load_b32 v6, v3
	v_lshlrev_b64 v[1:2], 2, v[1:2]
	s_delay_alu instid0(VALU_DEP_1) | instskip(NEXT) | instid1(VALU_DEP_2)
	v_add_co_u32 v1, vcc_lo, s16, v1
	v_add_co_ci_u32_e32 v2, vcc_lo, s17, v2, vcc_lo
	global_load_b32 v4, v[1:2], off
.LBB56_139:                             ;   Parent Loop BB56_138 Depth=1
                                        ; =>  This Inner Loop Header: Depth=2
	s_waitcnt vmcnt(0) lgkmcnt(0)
	v_add_f32_e32 v3, v4, v6
	global_atomic_cmpswap_b32 v3, v[1:2], v[3:4], off glc
	s_waitcnt vmcnt(0)
	v_cmp_eq_u32_e32 vcc_lo, v3, v4
	v_mov_b32_e32 v4, v3
	s_or_b32 s10, vcc_lo, s10
	s_delay_alu instid0(SALU_CYCLE_1)
	s_and_not1_b32 exec_lo, exec_lo, s10
	s_cbranch_execnz .LBB56_139
; %bb.140:                              ;   in Loop: Header=BB56_138 Depth=1
	s_or_b32 exec_lo, exec_lo, s10
	v_add_nc_u32_e32 v5, 0x100, v5
	s_delay_alu instid0(VALU_DEP_1) | instskip(SKIP_1) | instid1(SALU_CYCLE_1)
	v_cmp_le_i32_e32 vcc_lo, s0, v5
	s_or_b32 s6, vcc_lo, s6
	s_and_not1_b32 exec_lo, exec_lo, s6
	s_cbranch_execnz .LBB56_138
.LBB56_141:
	s_or_b32 exec_lo, exec_lo, s5
	s_mul_i32 s5, s4, s21
	s_add_i32 s6, s4, 1
	s_sub_i32 s5, s1, s5
	v_add_nc_u32_e32 v1, s18, v0
	s_sub_i32 s10, s5, s21
	s_cmp_ge_u32 s5, s21
	s_cselect_b32 s4, s6, s4
	s_cselect_b32 s5, s10, s5
	s_add_i32 s6, s4, 1
	s_cmp_ge_u32 s5, s21
	s_barrier
	s_cselect_b32 s4, s6, s4
	s_mov_b32 s6, -1
	s_add_i32 s4, s4, -1
	buffer_gl0_inv
	s_ashr_i32 s5, s4, 1
	s_delay_alu instid0(SALU_CYCLE_1) | instskip(NEXT) | instid1(SALU_CYCLE_1)
	s_or_b32 s4, s5, s4
	s_ashr_i32 s5, s4, 2
	s_delay_alu instid0(SALU_CYCLE_1) | instskip(NEXT) | instid1(SALU_CYCLE_1)
	s_or_b32 s4, s5, s4
	;; [unrolled: 3-line block ×5, first 2 shown]
	s_add_i32 s4, s4, 1
	s_delay_alu instid0(SALU_CYCLE_1) | instskip(NEXT) | instid1(SALU_CYCLE_1)
	s_ashr_i32 s5, s4, 1
	s_cmp_gt_i32 s5, 1
	s_cbranch_scc1 .LBB56_152
; %bb.142:
	s_mov_b32 s6, exec_lo
	v_cmpx_gt_i32_e64 s19, v1
	s_cbranch_execz .LBB56_151
; %bb.143:
	s_sub_i32 s7, s7, s19
	v_mov_b32_e32 v2, v1
	s_lshl_b32 s11, s23, 2
	s_lshl_b32 s7, s7, 2
	s_mov_b32 s10, 0
	s_addk_i32 s7, 0x1000
	s_sub_i32 s11, 0, s11
.LBB56_144:                             ; =>This Loop Header: Depth=1
                                        ;     Child Loop BB56_146 Depth 2
                                        ;     Child Loop BB56_149 Depth 2
	v_ashrrev_i32_e32 v3, 31, v2
	v_mov_b32_e32 v7, 0
	s_mov_b32 s12, exec_lo
	s_delay_alu instid0(VALU_DEP_2) | instskip(NEXT) | instid1(VALU_DEP_1)
	v_lshlrev_b64 v[3:4], 2, v[2:3]
	v_add_co_u32 v5, vcc_lo, s8, v3
	s_delay_alu instid0(VALU_DEP_2)
	v_add_co_ci_u32_e32 v6, vcc_lo, s9, v4, vcc_lo
	global_load_b64 v[5:6], v[5:6], off
	s_waitcnt vmcnt(0)
	v_cmpx_lt_i32_e64 v5, v6
	s_cbranch_execz .LBB56_148
; %bb.145:                              ;   in Loop: Header=BB56_144 Depth=1
	v_subrev_nc_u32_e32 v6, s23, v6
	v_subrev_nc_u32_e32 v8, s23, v5
	v_lshl_add_u32 v5, v5, 2, s11
	v_mov_b32_e32 v7, 0
	s_mov_b32 s13, 0
.LBB56_146:                             ;   Parent Loop BB56_144 Depth=1
                                        ; =>  This Inner Loop Header: Depth=2
	ds_load_b32 v10, v5
	v_add_nc_u32_e32 v8, 1, v8
	v_add_nc_u32_e32 v5, 4, v5
	s_waitcnt lgkmcnt(0)
	v_add_f32_e32 v7, v7, v10
	s_delay_alu instid0(VALU_DEP_3) | instskip(SKIP_1) | instid1(SALU_CYCLE_1)
	v_cmp_ge_i32_e32 vcc_lo, v8, v6
	s_or_b32 s13, vcc_lo, s13
	s_and_not1_b32 exec_lo, exec_lo, s13
	s_cbranch_execnz .LBB56_146
; %bb.147:                              ;   in Loop: Header=BB56_144 Depth=1
	s_or_b32 exec_lo, exec_lo, s13
.LBB56_148:                             ;   in Loop: Header=BB56_144 Depth=1
	s_delay_alu instid0(SALU_CYCLE_1)
	s_or_b32 exec_lo, exec_lo, s12
	v_add_co_u32 v3, vcc_lo, s16, v3
	v_add_co_ci_u32_e32 v4, vcc_lo, s17, v4, vcc_lo
	v_lshl_add_u32 v5, v2, 2, s7
	s_mov_b32 s12, 0
	global_load_b32 v6, v[3:4], off
	ds_load_b32 v5, v5
	s_waitcnt lgkmcnt(0)
	v_add_f32_e32 v7, v7, v5
.LBB56_149:                             ;   Parent Loop BB56_144 Depth=1
                                        ; =>  This Inner Loop Header: Depth=2
	s_waitcnt vmcnt(0)
	s_delay_alu instid0(VALU_DEP_1)
	v_add_f32_e32 v5, v6, v7
	global_atomic_cmpswap_b32 v5, v[3:4], v[5:6], off glc
	s_waitcnt vmcnt(0)
	v_cmp_eq_u32_e32 vcc_lo, v5, v6
	v_mov_b32_e32 v6, v5
	s_or_b32 s12, vcc_lo, s12
	s_delay_alu instid0(SALU_CYCLE_1)
	s_and_not1_b32 exec_lo, exec_lo, s12
	s_cbranch_execnz .LBB56_149
; %bb.150:                              ;   in Loop: Header=BB56_144 Depth=1
	s_or_b32 exec_lo, exec_lo, s12
	v_add_nc_u32_e32 v2, s1, v2
	s_delay_alu instid0(VALU_DEP_1) | instskip(SKIP_1) | instid1(SALU_CYCLE_1)
	v_cmp_le_i32_e32 vcc_lo, s19, v2
	s_or_b32 s10, vcc_lo, s10
	s_and_not1_b32 exec_lo, exec_lo, s10
	s_cbranch_execnz .LBB56_144
.LBB56_151:
	s_or_b32 exec_lo, exec_lo, s6
	s_mov_b32 s6, 0
.LBB56_152:
	s_delay_alu instid0(SALU_CYCLE_1)
	s_and_not1_b32 vcc_lo, exec_lo, s6
	s_cbranch_vccnz .LBB56_177
; %bb.153:
	v_cvt_f32_u32_e32 v2, s5
	s_sub_i32 s1, 0, s5
	v_mov_b32_e32 v8, 0
	s_delay_alu instid0(VALU_DEP_2) | instskip(SKIP_2) | instid1(VALU_DEP_1)
	v_rcp_iflag_f32_e32 v2, v2
	s_waitcnt_depctr 0xfff
	v_mul_f32_e32 v2, 0x4f7ffffe, v2
	v_cvt_u32_f32_e32 v2, v2
	s_delay_alu instid0(VALU_DEP_1) | instskip(SKIP_1) | instid1(VALU_DEP_1)
	v_mul_lo_u32 v3, s1, v2
	s_mov_b32 s1, exec_lo
	v_mul_hi_u32 v3, v2, v3
	s_delay_alu instid0(VALU_DEP_1) | instskip(NEXT) | instid1(VALU_DEP_1)
	v_add_nc_u32_e32 v2, v2, v3
	v_mul_hi_u32 v2, v0, v2
	s_delay_alu instid0(VALU_DEP_1) | instskip(SKIP_1) | instid1(VALU_DEP_2)
	v_mul_lo_u32 v3, v2, s5
	v_add_nc_u32_e32 v4, 1, v2
	v_sub_nc_u32_e32 v3, v0, v3
	s_delay_alu instid0(VALU_DEP_1) | instskip(SKIP_1) | instid1(VALU_DEP_2)
	v_subrev_nc_u32_e32 v5, s5, v3
	v_cmp_le_u32_e32 vcc_lo, s5, v3
	v_dual_cndmask_b32 v3, v3, v5 :: v_dual_cndmask_b32 v2, v2, v4
	s_delay_alu instid0(VALU_DEP_1) | instskip(NEXT) | instid1(VALU_DEP_2)
	v_cmp_le_u32_e32 vcc_lo, s5, v3
	v_add_nc_u32_e32 v4, 1, v2
	s_delay_alu instid0(VALU_DEP_1) | instskip(NEXT) | instid1(VALU_DEP_1)
	v_cndmask_b32_e32 v2, v2, v4, vcc_lo
	v_lshlrev_b32_e32 v3, 2, v2
	global_load_b64 v[3:4], v3, s[2:3]
	v_cmpx_gt_i32_e64 s21, v2
	s_cbranch_execz .LBB56_167
; %bb.154:
	s_abs_i32 s2, s5
	s_waitcnt vmcnt(0)
	v_subrev_nc_u32_e32 v5, s23, v4
	v_cvt_f32_u32_e32 v2, s2
	s_sub_i32 s3, 0, s2
	s_delay_alu instid0(VALU_DEP_1) | instskip(SKIP_2) | instid1(VALU_DEP_1)
	v_rcp_iflag_f32_e32 v2, v2
	s_waitcnt_depctr 0xfff
	v_mul_f32_e32 v2, 0x4f7ffffe, v2
	v_cvt_u32_f32_e32 v6, v2
	v_subrev_nc_u32_e32 v2, s23, v3
	s_delay_alu instid0(VALU_DEP_2) | instskip(NEXT) | instid1(VALU_DEP_2)
	v_mul_lo_u32 v7, s3, v6
	v_sub_nc_u32_e32 v4, v5, v2
	s_ashr_i32 s3, s5, 31
	s_delay_alu instid0(VALU_DEP_1) | instskip(NEXT) | instid1(VALU_DEP_3)
	v_sub_nc_u32_e32 v8, 0, v4
	v_mul_hi_u32 v7, v6, v7
	s_delay_alu instid0(VALU_DEP_2) | instskip(SKIP_1) | instid1(VALU_DEP_3)
	v_max_i32_e32 v8, v4, v8
	v_ashrrev_i32_e32 v4, 31, v4
	v_add_nc_u32_e32 v10, v6, v7
	s_delay_alu instid0(VALU_DEP_2) | instskip(NEXT) | instid1(VALU_DEP_2)
	v_xor_b32_e32 v4, s3, v4
	v_mad_u64_u32 v[6:7], null, v8, v10, 0
	s_delay_alu instid0(VALU_DEP_1) | instskip(NEXT) | instid1(VALU_DEP_1)
	v_mul_lo_u32 v6, v7, s2
	v_sub_nc_u32_e32 v6, v8, v6
	v_add_nc_u32_e32 v8, 1, v7
	s_delay_alu instid0(VALU_DEP_2) | instskip(SKIP_1) | instid1(VALU_DEP_2)
	v_subrev_nc_u32_e32 v10, s2, v6
	v_cmp_le_u32_e32 vcc_lo, s2, v6
	v_dual_cndmask_b32 v7, v7, v8 :: v_dual_cndmask_b32 v6, v6, v10
	s_delay_alu instid0(VALU_DEP_1) | instskip(NEXT) | instid1(VALU_DEP_2)
	v_add_nc_u32_e32 v8, 1, v7
	v_cmp_le_u32_e32 vcc_lo, s2, v6
	s_add_i32 s2, s5, -1
	s_delay_alu instid0(VALU_DEP_2) | instskip(SKIP_1) | instid1(VALU_DEP_2)
	v_cndmask_b32_e32 v6, v7, v8, vcc_lo
	v_mov_b32_e32 v8, 0
	v_xor_b32_e32 v6, v6, v4
	s_delay_alu instid0(VALU_DEP_1) | instskip(SKIP_2) | instid1(VALU_DEP_2)
	v_sub_nc_u32_e32 v7, v6, v4
	v_and_b32_e32 v6, s2, v0
	s_mov_b32 s2, exec_lo
	v_cmpx_lt_i32_e32 0, v7
	s_cbranch_execz .LBB56_164
; %bb.155:
	v_mov_b32_e32 v4, 0
	v_mov_b32_e32 v8, 0
	s_mov_b32 s3, exec_lo
	v_cmpx_lt_u32_e32 7, v7
	s_cbranch_execz .LBB56_159
; %bb.156:
	v_add_nc_u32_e32 v4, v3, v6
	s_lshl_b32 s6, s5, 5
	s_lshl_b32 s8, s5, 2
	s_mov_b32 s7, 0
	s_mov_b32 s9, 0
	v_subrev_nc_u32_e32 v8, s23, v4
	v_and_b32_e32 v4, 0x7ffffff8, v7
	s_delay_alu instid0(VALU_DEP_2)
	v_lshlrev_b32_e32 v10, 2, v8
	v_mov_b32_e32 v8, 0
	s_set_inst_prefetch_distance 0x1
	.p2align	6
.LBB56_157:                             ; =>This Inner Loop Header: Depth=1
	ds_load_b32 v12, v10
	v_add_nc_u32_e32 v11, s8, v10
	s_add_i32 s9, s9, 8
	s_delay_alu instid0(SALU_CYCLE_1) | instskip(NEXT) | instid1(VALU_DEP_2)
	v_cmp_eq_u32_e32 vcc_lo, s9, v4
	v_add_nc_u32_e32 v13, s8, v11
	ds_load_b32 v11, v11
	s_or_b32 s7, vcc_lo, s7
	v_add_nc_u32_e32 v14, s8, v13
	ds_load_b32 v13, v13
	v_add_nc_u32_e32 v15, s8, v14
	ds_load_b32 v14, v14
	v_add_nc_u32_e32 v10, s6, v10
	s_waitcnt lgkmcnt(3)
	v_add_f32_e32 v8, v8, v12
	s_waitcnt lgkmcnt(2)
	s_delay_alu instid0(VALU_DEP_1) | instskip(SKIP_3) | instid1(VALU_DEP_1)
	v_add_f32_e32 v8, v8, v11
	ds_load_b32 v12, v15
	v_add_nc_u32_e32 v16, s8, v15
	s_waitcnt lgkmcnt(2)
	v_dual_add_f32 v8, v8, v13 :: v_dual_add_nc_u32 v15, s8, v16
	ds_load_b32 v16, v16
	ds_load_b32 v17, v15
	s_waitcnt lgkmcnt(3)
	v_dual_add_f32 v8, v8, v14 :: v_dual_add_nc_u32 v11, s8, v15
	s_waitcnt lgkmcnt(2)
	s_delay_alu instid0(VALU_DEP_1) | instskip(SKIP_4) | instid1(VALU_DEP_1)
	v_add_f32_e32 v8, v8, v12
	ds_load_b32 v11, v11
	s_waitcnt lgkmcnt(2)
	v_add_f32_e32 v8, v8, v16
	s_waitcnt lgkmcnt(1)
	v_add_f32_e32 v8, v8, v17
	s_waitcnt lgkmcnt(0)
	s_delay_alu instid0(VALU_DEP_1)
	v_add_f32_e32 v8, v8, v11
	s_and_not1_b32 exec_lo, exec_lo, s7
	s_cbranch_execnz .LBB56_157
; %bb.158:
	s_set_inst_prefetch_distance 0x2
	s_or_b32 exec_lo, exec_lo, s7
.LBB56_159:
	s_delay_alu instid0(SALU_CYCLE_1) | instskip(SKIP_3) | instid1(VALU_DEP_1)
	s_or_b32 exec_lo, exec_lo, s3
	v_and_b32_e32 v10, 7, v7
	s_mov_b32 s6, 0
	s_mov_b32 s3, exec_lo
	v_cmpx_ne_u32_e32 0, v10
	s_cbranch_execz .LBB56_163
; %bb.160:
	v_mul_lo_u32 v4, v4, s5
	s_lshl_b32 s7, s5, 2
	s_delay_alu instid0(VALU_DEP_1) | instskip(NEXT) | instid1(VALU_DEP_1)
	v_add3_u32 v3, v3, v6, v4
	v_subrev_nc_u32_e32 v3, s23, v3
	s_delay_alu instid0(VALU_DEP_1)
	v_lshlrev_b32_e32 v3, 2, v3
.LBB56_161:                             ; =>This Inner Loop Header: Depth=1
	ds_load_b32 v4, v3
	v_add_nc_u32_e32 v10, -1, v10
	v_add_nc_u32_e32 v3, s7, v3
	s_delay_alu instid0(VALU_DEP_2)
	v_cmp_eq_u32_e32 vcc_lo, 0, v10
	s_or_b32 s6, vcc_lo, s6
	s_waitcnt lgkmcnt(0)
	v_add_f32_e32 v8, v8, v4
	s_and_not1_b32 exec_lo, exec_lo, s6
	s_cbranch_execnz .LBB56_161
; %bb.162:
	s_or_b32 exec_lo, exec_lo, s6
.LBB56_163:
	s_delay_alu instid0(SALU_CYCLE_1)
	s_or_b32 exec_lo, exec_lo, s3
.LBB56_164:
	s_delay_alu instid0(SALU_CYCLE_1) | instskip(SKIP_2) | instid1(VALU_DEP_1)
	s_or_b32 exec_lo, exec_lo, s2
	v_mad_u64_u32 v[3:4], null, v7, s5, v[2:3]
	s_mov_b32 s2, exec_lo
	v_sub_nc_u32_e32 v2, v5, v3
	s_delay_alu instid0(VALU_DEP_1)
	v_cmpx_lt_i32_e64 v6, v2
	s_cbranch_execz .LBB56_166
; %bb.165:
	v_add_lshl_u32 v2, v3, v6, 2
	ds_load_b32 v2, v2
	s_waitcnt lgkmcnt(0)
	v_add_f32_e32 v8, v8, v2
.LBB56_166:
	s_or_b32 exec_lo, exec_lo, s2
.LBB56_167:
	s_delay_alu instid0(SALU_CYCLE_1)
	s_or_b32 exec_lo, exec_lo, s1
	s_waitcnt vmcnt(0)
	s_barrier
	buffer_gl0_inv
	ds_store_b32 v9, v8
	s_waitcnt lgkmcnt(0)
	s_barrier
	buffer_gl0_inv
	s_mov_b32 s1, exec_lo
	v_cmpx_gt_i32_e64 s21, v0
	s_cbranch_execz .LBB56_177
; %bb.168:
	v_mul_lo_u32 v2, s5, v0
	s_cmp_lt_u32 s5, 8
	s_cbranch_scc1 .LBB56_171
; %bb.169:
	s_delay_alu instid0(VALU_DEP_1)
	v_dual_mov_b32 v3, 0 :: v_dual_lshlrev_b32 v4, 2, v2
	s_and_b32 s1, s5, 0x7ffffff8
	s_mov_b32 s2, 0
	.p2align	6
.LBB56_170:                             ; =>This Inner Loop Header: Depth=1
	ds_load_2addr_b32 v[5:6], v4 offset1:1
	ds_load_2addr_b32 v[7:8], v4 offset0:2 offset1:3
	ds_load_2addr_b32 v[9:10], v4 offset0:4 offset1:5
	;; [unrolled: 1-line block ×3, first 2 shown]
	s_add_i32 s2, s2, 8
	v_add_nc_u32_e32 v4, 32, v4
	s_cmp_eq_u32 s1, s2
	s_waitcnt lgkmcnt(3)
	v_add_f32_e32 v3, v3, v5
	s_delay_alu instid0(VALU_DEP_1) | instskip(SKIP_1) | instid1(VALU_DEP_1)
	v_add_f32_e32 v3, v3, v6
	s_waitcnt lgkmcnt(2)
	v_add_f32_e32 v3, v3, v7
	s_delay_alu instid0(VALU_DEP_1) | instskip(SKIP_1) | instid1(VALU_DEP_1)
	v_add_f32_e32 v3, v3, v8
	s_waitcnt lgkmcnt(1)
	v_add_f32_e32 v3, v3, v9
	s_delay_alu instid0(VALU_DEP_1) | instskip(SKIP_1) | instid1(VALU_DEP_1)
	v_add_f32_e32 v3, v3, v10
	s_waitcnt lgkmcnt(0)
	v_add_f32_e32 v3, v3, v11
	s_delay_alu instid0(VALU_DEP_1)
	v_add_f32_e32 v3, v3, v12
	s_cbranch_scc0 .LBB56_170
	s_branch .LBB56_172
.LBB56_171:
	v_mov_b32_e32 v3, 0
	s_mov_b32 s1, 0
.LBB56_172:
	s_bfe_u32 s2, s4, 0x30001
	s_delay_alu instid0(SALU_CYCLE_1)
	s_cmp_eq_u32 s2, 0
	s_cbranch_scc1 .LBB56_175
; %bb.173:
	v_add_lshl_u32 v2, s1, v2, 2
.LBB56_174:                             ; =>This Inner Loop Header: Depth=1
	ds_load_b32 v4, v2
	v_add_nc_u32_e32 v2, 4, v2
	s_add_i32 s2, s2, -1
	s_delay_alu instid0(SALU_CYCLE_1)
	s_cmp_lg_u32 s2, 0
	s_waitcnt lgkmcnt(0)
	v_add_f32_e32 v3, v3, v4
	s_cbranch_scc1 .LBB56_174
.LBB56_175:
	v_ashrrev_i32_e32 v2, 31, v1
	v_lshlrev_b32_e32 v0, 2, v0
	s_lshl_b32 s0, s0, 2
	s_delay_alu instid0(VALU_DEP_2) | instskip(NEXT) | instid1(VALU_DEP_2)
	v_lshlrev_b64 v[1:2], 2, v[1:2]
	v_add3_u32 v0, 0x1000, s0, v0
	s_mov_b32 s0, 0
	ds_load_b32 v0, v0
	v_add_co_u32 v1, vcc_lo, s16, v1
	v_add_co_ci_u32_e32 v2, vcc_lo, s17, v2, vcc_lo
	global_load_b32 v4, v[1:2], off
	s_waitcnt lgkmcnt(0)
	v_add_f32_e32 v0, v3, v0
.LBB56_176:                             ; =>This Inner Loop Header: Depth=1
	s_waitcnt vmcnt(0)
	s_delay_alu instid0(VALU_DEP_1)
	v_add_f32_e32 v3, v4, v0
	global_atomic_cmpswap_b32 v3, v[1:2], v[3:4], off glc
	s_waitcnt vmcnt(0)
	v_cmp_eq_u32_e32 vcc_lo, v3, v4
	v_mov_b32_e32 v4, v3
	s_or_b32 s0, vcc_lo, s0
	s_delay_alu instid0(SALU_CYCLE_1)
	s_and_not1_b32 exec_lo, exec_lo, s0
	s_cbranch_execnz .LBB56_176
.LBB56_177:
	s_endpgm
	.section	.rodata,"a",@progbits
	.p2align	6, 0x0
	.amdhsa_kernel _ZN9rocsparseL27csrmvn_symm_adaptive_kernelIiiaaffEEvbT_S1_PKS1_NS_24const_host_device_scalarIT4_EES3_PKT0_PKT1_PKT2_S6_PT3_21rocsparse_index_base_b
		.amdhsa_group_segment_fixed_size 4096
		.amdhsa_private_segment_fixed_size 0
		.amdhsa_kernarg_size 344
		.amdhsa_user_sgpr_count 15
		.amdhsa_user_sgpr_dispatch_ptr 0
		.amdhsa_user_sgpr_queue_ptr 0
		.amdhsa_user_sgpr_kernarg_segment_ptr 1
		.amdhsa_user_sgpr_dispatch_id 0
		.amdhsa_user_sgpr_private_segment_size 0
		.amdhsa_wavefront_size32 1
		.amdhsa_uses_dynamic_stack 0
		.amdhsa_enable_private_segment 0
		.amdhsa_system_sgpr_workgroup_id_x 1
		.amdhsa_system_sgpr_workgroup_id_y 0
		.amdhsa_system_sgpr_workgroup_id_z 0
		.amdhsa_system_sgpr_workgroup_info 0
		.amdhsa_system_vgpr_workitem_id 0
		.amdhsa_next_free_vgpr 18
		.amdhsa_next_free_sgpr 34
		.amdhsa_reserve_vcc 1
		.amdhsa_float_round_mode_32 0
		.amdhsa_float_round_mode_16_64 0
		.amdhsa_float_denorm_mode_32 3
		.amdhsa_float_denorm_mode_16_64 3
		.amdhsa_dx10_clamp 1
		.amdhsa_ieee_mode 1
		.amdhsa_fp16_overflow 0
		.amdhsa_workgroup_processor_mode 1
		.amdhsa_memory_ordered 1
		.amdhsa_forward_progress 0
		.amdhsa_shared_vgpr_count 0
		.amdhsa_exception_fp_ieee_invalid_op 0
		.amdhsa_exception_fp_denorm_src 0
		.amdhsa_exception_fp_ieee_div_zero 0
		.amdhsa_exception_fp_ieee_overflow 0
		.amdhsa_exception_fp_ieee_underflow 0
		.amdhsa_exception_fp_ieee_inexact 0
		.amdhsa_exception_int_div_zero 0
	.end_amdhsa_kernel
	.section	.text._ZN9rocsparseL27csrmvn_symm_adaptive_kernelIiiaaffEEvbT_S1_PKS1_NS_24const_host_device_scalarIT4_EES3_PKT0_PKT1_PKT2_S6_PT3_21rocsparse_index_base_b,"axG",@progbits,_ZN9rocsparseL27csrmvn_symm_adaptive_kernelIiiaaffEEvbT_S1_PKS1_NS_24const_host_device_scalarIT4_EES3_PKT0_PKT1_PKT2_S6_PT3_21rocsparse_index_base_b,comdat
.Lfunc_end56:
	.size	_ZN9rocsparseL27csrmvn_symm_adaptive_kernelIiiaaffEEvbT_S1_PKS1_NS_24const_host_device_scalarIT4_EES3_PKT0_PKT1_PKT2_S6_PT3_21rocsparse_index_base_b, .Lfunc_end56-_ZN9rocsparseL27csrmvn_symm_adaptive_kernelIiiaaffEEvbT_S1_PKS1_NS_24const_host_device_scalarIT4_EES3_PKT0_PKT1_PKT2_S6_PT3_21rocsparse_index_base_b
                                        ; -- End function
	.section	.AMDGPU.csdata,"",@progbits
; Kernel info:
; codeLenInByte = 7664
; NumSgprs: 36
; NumVgprs: 18
; ScratchSize: 0
; MemoryBound: 0
; FloatMode: 240
; IeeeMode: 1
; LDSByteSize: 4096 bytes/workgroup (compile time only)
; SGPRBlocks: 4
; VGPRBlocks: 2
; NumSGPRsForWavesPerEU: 36
; NumVGPRsForWavesPerEU: 18
; Occupancy: 16
; WaveLimiterHint : 1
; COMPUTE_PGM_RSRC2:SCRATCH_EN: 0
; COMPUTE_PGM_RSRC2:USER_SGPR: 15
; COMPUTE_PGM_RSRC2:TRAP_HANDLER: 0
; COMPUTE_PGM_RSRC2:TGID_X_EN: 1
; COMPUTE_PGM_RSRC2:TGID_Y_EN: 0
; COMPUTE_PGM_RSRC2:TGID_Z_EN: 0
; COMPUTE_PGM_RSRC2:TIDIG_COMP_CNT: 0
	.section	.text._ZL33csrmvn_symm_large_adaptive_kernelIiiaaffEvbT_PKS0_N9rocsparse24const_host_device_scalarIT4_EES2_PKT0_PKT1_PKT2_S6_PT3_21rocsparse_index_base_b,"axG",@progbits,_ZL33csrmvn_symm_large_adaptive_kernelIiiaaffEvbT_PKS0_N9rocsparse24const_host_device_scalarIT4_EES2_PKT0_PKT1_PKT2_S6_PT3_21rocsparse_index_base_b,comdat
	.globl	_ZL33csrmvn_symm_large_adaptive_kernelIiiaaffEvbT_PKS0_N9rocsparse24const_host_device_scalarIT4_EES2_PKT0_PKT1_PKT2_S6_PT3_21rocsparse_index_base_b ; -- Begin function _ZL33csrmvn_symm_large_adaptive_kernelIiiaaffEvbT_PKS0_N9rocsparse24const_host_device_scalarIT4_EES2_PKT0_PKT1_PKT2_S6_PT3_21rocsparse_index_base_b
	.p2align	8
	.type	_ZL33csrmvn_symm_large_adaptive_kernelIiiaaffEvbT_PKS0_N9rocsparse24const_host_device_scalarIT4_EES2_PKT0_PKT1_PKT2_S6_PT3_21rocsparse_index_base_b,@function
_ZL33csrmvn_symm_large_adaptive_kernelIiiaaffEvbT_PKS0_N9rocsparse24const_host_device_scalarIT4_EES2_PKT0_PKT1_PKT2_S6_PT3_21rocsparse_index_base_b: ; @_ZL33csrmvn_symm_large_adaptive_kernelIiiaaffEvbT_PKS0_N9rocsparse24const_host_device_scalarIT4_EES2_PKT0_PKT1_PKT2_S6_PT3_21rocsparse_index_base_b
; %bb.0:
	s_clause 0x2
	s_load_b64 s[6:7], s[0:1], 0x48
	s_load_b64 s[16:17], s[0:1], 0x10
	;; [unrolled: 1-line block ×3, first 2 shown]
	s_mov_b32 s2, s15
	s_waitcnt lgkmcnt(0)
	s_bitcmp1_b32 s7, 0
	s_cselect_b32 s3, -1, 0
	s_delay_alu instid0(SALU_CYCLE_1)
	s_and_b32 vcc_lo, exec_lo, s3
	s_xor_b32 s3, s3, -1
	s_cbranch_vccnz .LBB57_2
; %bb.1:
	s_load_b32 s16, s[16:17], 0x0
.LBB57_2:
	s_and_not1_b32 vcc_lo, exec_lo, s3
	s_cbranch_vccnz .LBB57_4
; %bb.3:
	s_load_b32 s4, s[4:5], 0x0
.LBB57_4:
	s_waitcnt lgkmcnt(0)
	v_cmp_neq_f32_e64 s3, s16, 0
	v_cmp_neq_f32_e64 s4, s4, 1.0
	s_delay_alu instid0(VALU_DEP_1) | instskip(NEXT) | instid1(SALU_CYCLE_1)
	s_or_b32 s3, s3, s4
	s_and_not1_b32 vcc_lo, exec_lo, s3
	s_cbranch_vccnz .LBB57_38
; %bb.5:
	s_load_b64 s[4:5], s[0:1], 0x8
	s_ashr_i32 s3, s2, 31
	v_dual_mov_b32 v1, 0 :: v_dual_lshlrev_b32 v6, 2, v0
	s_lshl_b64 s[2:3], s[2:3], 2
	ds_store_2addr_stride64_b32 v6, v1, v1 offset1:4
	ds_store_2addr_stride64_b32 v6, v1, v1 offset0:8 offset1:12
	s_waitcnt lgkmcnt(0)
	s_barrier
	buffer_gl0_inv
	s_add_u32 s2, s4, s2
	s_addc_u32 s3, s5, s3
	s_load_b64 s[18:19], s[2:3], 0x0
	s_clause 0x1
	s_load_b256 s[8:15], s[0:1], 0x18
	s_load_b64 s[20:21], s[0:1], 0x40
	s_waitcnt lgkmcnt(0)
	s_cmp_lt_i32 s18, s19
	s_cbranch_scc1 .LBB57_7
; %bb.6:
	s_ashr_i32 s1, s18, 31
	s_mov_b32 s0, s18
	s_delay_alu instid0(SALU_CYCLE_1) | instskip(NEXT) | instid1(SALU_CYCLE_1)
	s_lshl_b64 s[0:1], s[0:1], 2
	s_add_u32 s0, s8, s0
	s_addc_u32 s1, s9, s1
	s_load_b32 s7, s[0:1], 0x0
	v_subrev_nc_u32_e32 v7, s6, v0
	s_cbranch_execz .LBB57_8
	s_branch .LBB57_28
.LBB57_7:
                                        ; implicit-def: $sgpr7
	v_subrev_nc_u32_e32 v7, s6, v0
.LBB57_8:
	s_ashr_i32 s1, s18, 31
	s_mov_b32 s0, s18
	v_cmp_gt_u32_e32 vcc_lo, 0x100, v0
	s_lshl_b64 s[0:1], s[0:1], 2
	v_cmp_gt_u32_e64 s2, 4, v0
	s_add_u32 s0, s8, s0
	s_addc_u32 s1, s9, s1
	v_cmp_eq_u32_e64 s3, 0, v0
	s_waitcnt lgkmcnt(0)
	s_load_b32 s7, s[0:1], 0x0
	v_cmp_gt_u32_e64 s0, 64, v0
	v_cmp_gt_u32_e64 s1, 16, v0
	v_mov_b32_e32 v8, 0
	s_add_u32 s17, s8, 4
	s_addc_u32 s26, s9, 0
	s_mov_b32 s22, s18
	s_waitcnt lgkmcnt(0)
	s_mov_b32 s27, s7
	s_branch .LBB57_10
.LBB57_9:                               ;   in Loop: Header=BB57_10 Depth=1
	s_or_b32 exec_lo, exec_lo, s5
	s_add_i32 s22, s22, 1
	s_delay_alu instid0(SALU_CYCLE_1)
	s_cmp_ge_i32 s22, s19
	s_cbranch_scc1 .LBB57_28
.LBB57_10:                              ; =>This Loop Header: Depth=1
                                        ;     Child Loop BB57_12 Depth 2
                                        ;     Child Loop BB57_27 Depth 2
	s_ashr_i32 s23, s22, 31
	v_mov_b32_e32 v1, 0
	s_lshl_b64 s[24:25], s[22:23], 2
	s_mov_b32 s23, s27
	s_add_u32 s4, s17, s24
	s_addc_u32 s5, s26, s25
	v_add_nc_u32_e32 v0, s23, v7
	s_load_b32 s27, s[4:5], 0x0
	s_mov_b32 s23, exec_lo
	s_waitcnt lgkmcnt(0)
	s_sub_i32 s28, s27, s6
	s_delay_alu instid0(SALU_CYCLE_1)
	v_cmpx_gt_i32_e64 s28, v0
	s_cbranch_execz .LBB57_14
; %bb.11:                               ;   in Loop: Header=BB57_10 Depth=1
	v_ashrrev_i32_e32 v1, 31, v0
	v_add_co_u32 v2, s4, s12, v0
	s_mov_b32 s29, 0
	s_delay_alu instid0(VALU_DEP_2) | instskip(SKIP_2) | instid1(VALU_DEP_3)
	v_lshlrev_b64 v[4:5], 2, v[0:1]
	v_add_co_ci_u32_e64 v3, s4, s13, v1, s4
	v_mov_b32_e32 v1, 0
	v_add_co_u32 v4, s4, s10, v4
	s_delay_alu instid0(VALU_DEP_1)
	v_add_co_ci_u32_e64 v5, s4, s11, v5, s4
	.p2align	6
.LBB57_12:                              ;   Parent Loop BB57_10 Depth=1
                                        ; =>  This Inner Loop Header: Depth=2
	global_load_b32 v9, v[4:5], off
	s_waitcnt vmcnt(0)
	v_subrev_nc_u32_e32 v9, s6, v9
	s_delay_alu instid0(VALU_DEP_1) | instskip(SKIP_1) | instid1(VALU_DEP_1)
	v_ashrrev_i32_e32 v10, 31, v9
	v_add_co_u32 v9, s4, s14, v9
	v_add_co_ci_u32_e64 v10, s4, s15, v10, s4
	v_add_co_u32 v4, s4, 0x400, v4
	global_load_i8 v11, v[2:3], off
	global_load_i8 v9, v[9:10], off
	v_add_co_ci_u32_e64 v5, s4, 0, v5, s4
	v_add_co_u32 v2, s4, 0x100, v2
	s_delay_alu instid0(VALU_DEP_1) | instskip(SKIP_4) | instid1(VALU_DEP_1)
	v_add_co_ci_u32_e64 v3, s4, 0, v3, s4
	s_waitcnt vmcnt(1)
	v_cvt_f32_i32_e32 v10, v11
	s_waitcnt vmcnt(0)
	v_cvt_f32_i32_e32 v9, v9
	v_dual_fmac_f32 v1, v10, v9 :: v_dual_add_nc_u32 v0, 0x100, v0
	s_delay_alu instid0(VALU_DEP_1) | instskip(NEXT) | instid1(VALU_DEP_1)
	v_cmp_le_i32_e64 s5, s28, v0
	s_or_b32 s29, s5, s29
	s_delay_alu instid0(SALU_CYCLE_1)
	s_and_not1_b32 exec_lo, exec_lo, s29
	s_cbranch_execnz .LBB57_12
; %bb.13:                               ;   in Loop: Header=BB57_10 Depth=1
	s_or_b32 exec_lo, exec_lo, s29
.LBB57_14:                              ;   in Loop: Header=BB57_10 Depth=1
	s_delay_alu instid0(SALU_CYCLE_1)
	s_or_b32 exec_lo, exec_lo, s23
	ds_store_b32 v6, v1
	s_waitcnt lgkmcnt(0)
	s_barrier
	buffer_gl0_inv
	s_and_saveexec_b32 s4, vcc_lo
	s_cbranch_execz .LBB57_16
; %bb.15:                               ;   in Loop: Header=BB57_10 Depth=1
	ds_load_2addr_stride64_b32 v[0:1], v6 offset1:4
	ds_load_2addr_stride64_b32 v[2:3], v6 offset0:8 offset1:12
	s_waitcnt lgkmcnt(0)
	v_add_f32_e32 v1, v1, v2
	s_delay_alu instid0(VALU_DEP_1) | instskip(NEXT) | instid1(VALU_DEP_1)
	v_add_f32_e32 v1, v1, v3
	v_add_f32_e32 v0, v0, v1
	ds_store_b32 v6, v0
.LBB57_16:                              ;   in Loop: Header=BB57_10 Depth=1
	s_or_b32 exec_lo, exec_lo, s4
	s_waitcnt lgkmcnt(0)
	s_barrier
	buffer_gl0_inv
	s_and_saveexec_b32 s4, s0
	s_cbranch_execz .LBB57_18
; %bb.17:                               ;   in Loop: Header=BB57_10 Depth=1
	ds_load_2addr_stride64_b32 v[0:1], v6 offset1:1
	ds_load_2addr_stride64_b32 v[2:3], v6 offset0:2 offset1:3
	s_waitcnt lgkmcnt(0)
	v_add_f32_e32 v1, v1, v2
	s_delay_alu instid0(VALU_DEP_1) | instskip(NEXT) | instid1(VALU_DEP_1)
	v_add_f32_e32 v1, v1, v3
	v_add_f32_e32 v0, v0, v1
	ds_store_b32 v6, v0
.LBB57_18:                              ;   in Loop: Header=BB57_10 Depth=1
	s_or_b32 exec_lo, exec_lo, s4
	s_waitcnt lgkmcnt(0)
	s_barrier
	buffer_gl0_inv
	s_and_saveexec_b32 s4, s1
	s_cbranch_execz .LBB57_20
; %bb.19:                               ;   in Loop: Header=BB57_10 Depth=1
	ds_load_2addr_b32 v[0:1], v6 offset1:16
	ds_load_2addr_b32 v[2:3], v6 offset0:32 offset1:48
	s_waitcnt lgkmcnt(0)
	v_add_f32_e32 v1, v1, v2
	s_delay_alu instid0(VALU_DEP_1) | instskip(NEXT) | instid1(VALU_DEP_1)
	v_add_f32_e32 v1, v1, v3
	v_add_f32_e32 v0, v0, v1
	ds_store_b32 v6, v0
.LBB57_20:                              ;   in Loop: Header=BB57_10 Depth=1
	s_or_b32 exec_lo, exec_lo, s4
	s_waitcnt lgkmcnt(0)
	s_barrier
	buffer_gl0_inv
	s_and_saveexec_b32 s4, s2
	s_cbranch_execz .LBB57_22
; %bb.21:                               ;   in Loop: Header=BB57_10 Depth=1
	ds_load_2addr_b32 v[0:1], v6 offset1:4
	ds_load_2addr_b32 v[2:3], v6 offset0:8 offset1:12
	s_waitcnt lgkmcnt(0)
	v_add_f32_e32 v1, v1, v2
	s_delay_alu instid0(VALU_DEP_1) | instskip(NEXT) | instid1(VALU_DEP_1)
	v_add_f32_e32 v1, v1, v3
	v_add_f32_e32 v0, v0, v1
	ds_store_b32 v6, v0
.LBB57_22:                              ;   in Loop: Header=BB57_10 Depth=1
	s_or_b32 exec_lo, exec_lo, s4
	s_waitcnt lgkmcnt(0)
	s_barrier
	buffer_gl0_inv
	s_and_saveexec_b32 s4, s3
	s_cbranch_execz .LBB57_24
; %bb.23:                               ;   in Loop: Header=BB57_10 Depth=1
	ds_load_2addr_b32 v[0:1], v8 offset0:1 offset1:2
	ds_load_b32 v2, v8 offset:12
	ds_load_b32 v3, v6
	s_waitcnt lgkmcnt(2)
	v_add_f32_e32 v0, v0, v1
	s_waitcnt lgkmcnt(1)
	s_delay_alu instid0(VALU_DEP_1) | instskip(SKIP_1) | instid1(VALU_DEP_1)
	v_add_f32_e32 v0, v0, v2
	s_waitcnt lgkmcnt(0)
	v_add_f32_e32 v0, v3, v0
	ds_store_b32 v6, v0
.LBB57_24:                              ;   in Loop: Header=BB57_10 Depth=1
	s_or_b32 exec_lo, exec_lo, s4
	s_waitcnt lgkmcnt(0)
	s_barrier
	buffer_gl0_inv
	s_and_saveexec_b32 s5, s3
	s_cbranch_execz .LBB57_9
; %bb.25:                               ;   in Loop: Header=BB57_10 Depth=1
	s_mov_b32 s23, exec_lo
	s_delay_alu instid0(SALU_CYCLE_1) | instskip(NEXT) | instid1(VALU_DEP_1)
	v_mbcnt_lo_u32_b32 v0, s23, 0
	v_cmp_eq_u32_e64 s4, 0, v0
	s_delay_alu instid0(VALU_DEP_1) | instskip(NEXT) | instid1(SALU_CYCLE_1)
	s_and_b32 s4, exec_lo, s4
	s_mov_b32 exec_lo, s4
	s_cbranch_execz .LBB57_9
; %bb.26:                               ;   in Loop: Header=BB57_10 Depth=1
	s_add_u32 s24, s20, s24
	s_addc_u32 s25, s21, s25
	s_bcnt1_i32_b32 s4, s23
	global_load_b32 v1, v8, s[24:25]
	ds_load_b32 v0, v8
	v_cvt_f32_ubyte0_e32 v2, s4
	s_mov_b32 s23, 0
	s_waitcnt lgkmcnt(0)
	v_mul_f32_e32 v0, s16, v0
	s_delay_alu instid0(VALU_DEP_1)
	v_mul_f32_e32 v2, v0, v2
.LBB57_27:                              ;   Parent Loop BB57_10 Depth=1
                                        ; =>  This Inner Loop Header: Depth=2
	s_waitcnt vmcnt(0)
	s_delay_alu instid0(VALU_DEP_1) | instskip(SKIP_4) | instid1(VALU_DEP_2)
	v_add_f32_e32 v0, v1, v2
	global_atomic_cmpswap_b32 v0, v8, v[0:1], s[24:25] glc
	s_waitcnt vmcnt(0)
	v_cmp_eq_u32_e64 s4, v0, v1
	v_mov_b32_e32 v1, v0
	s_or_b32 s23, s4, s23
	s_delay_alu instid0(SALU_CYCLE_1)
	s_and_not1_b32 exec_lo, exec_lo, s23
	s_cbranch_execnz .LBB57_27
	s_branch .LBB57_9
.LBB57_28:
	s_ashr_i32 s1, s19, 31
	s_mov_b32 s0, s19
	s_waitcnt lgkmcnt(0)
	v_add_nc_u32_e32 v0, s7, v7
	s_lshl_b64 s[0:1], s[0:1], 2
	s_delay_alu instid0(SALU_CYCLE_1)
	s_add_u32 s0, s8, s0
	s_addc_u32 s1, s9, s1
	s_load_b32 s0, s[0:1], 0x0
	s_waitcnt lgkmcnt(0)
	s_sub_i32 s1, s0, s6
	s_mov_b32 s0, exec_lo
	v_cmpx_gt_i32_e64 s1, v0
	s_cbranch_execz .LBB57_38
; %bb.29:
	s_add_i32 s2, s19, -1
	s_mov_b32 s4, 0
	s_cmp_gt_i32 s2, s18
	s_cselect_b32 s0, -1, 0
	s_add_i32 s3, s19, -2
	s_delay_alu instid0(SALU_CYCLE_1) | instskip(SKIP_1) | instid1(SALU_CYCLE_1)
	s_cmp_lg_u32 s3, s18
	s_cselect_b32 s3, -1, 0
	s_and_b32 s3, s0, s3
	s_branch .LBB57_31
.LBB57_30:                              ;   in Loop: Header=BB57_31 Depth=1
	s_or_b32 exec_lo, exec_lo, s0
	v_add_nc_u32_e32 v0, 0x100, v0
	s_delay_alu instid0(VALU_DEP_1) | instskip(SKIP_1) | instid1(SALU_CYCLE_1)
	v_cmp_le_i32_e32 vcc_lo, s1, v0
	s_or_b32 s4, vcc_lo, s4
	s_and_not1_b32 exec_lo, exec_lo, s4
	s_cbranch_execz .LBB57_38
.LBB57_31:                              ; =>This Loop Header: Depth=1
                                        ;     Child Loop BB57_33 Depth 2
                                        ;     Child Loop BB57_37 Depth 2
	v_mov_b32_e32 v4, s18
	v_mov_b32_e32 v2, s2
	s_and_not1_b32 vcc_lo, exec_lo, s3
	s_cbranch_vccnz .LBB57_35
; %bb.32:                               ;   in Loop: Header=BB57_31 Depth=1
	v_mov_b32_e32 v4, s18
	v_mov_b32_e32 v2, s2
	s_mov_b32 s5, 0
	.p2align	6
.LBB57_33:                              ;   Parent Loop BB57_31 Depth=1
                                        ; =>  This Inner Loop Header: Depth=2
	s_delay_alu instid0(VALU_DEP_1) | instskip(NEXT) | instid1(VALU_DEP_1)
	v_add_nc_u32_e32 v1, v2, v4
	v_lshrrev_b32_e32 v3, 31, v1
	s_delay_alu instid0(VALU_DEP_1) | instskip(NEXT) | instid1(VALU_DEP_1)
	v_add_nc_u32_e32 v1, v1, v3
	v_ashrrev_i32_e32 v5, 1, v1
	s_delay_alu instid0(VALU_DEP_1) | instskip(NEXT) | instid1(VALU_DEP_1)
	v_ashrrev_i32_e32 v6, 31, v5
	v_lshlrev_b64 v[6:7], 2, v[5:6]
	s_delay_alu instid0(VALU_DEP_1) | instskip(NEXT) | instid1(VALU_DEP_2)
	v_add_co_u32 v6, vcc_lo, s8, v6
	v_add_co_ci_u32_e32 v7, vcc_lo, s9, v7, vcc_lo
	global_load_b32 v1, v[6:7], off
	s_waitcnt vmcnt(0)
	v_subrev_nc_u32_e32 v1, s6, v1
	s_delay_alu instid0(VALU_DEP_1) | instskip(SKIP_1) | instid1(VALU_DEP_1)
	v_cmp_gt_i32_e32 vcc_lo, v1, v0
	v_cndmask_b32_e32 v2, v2, v5, vcc_lo
	v_dual_cndmask_b32 v4, v5, v4 :: v_dual_add_nc_u32 v1, -1, v2
	s_delay_alu instid0(VALU_DEP_1) | instskip(NEXT) | instid1(VALU_DEP_2)
	v_cmp_ge_i32_e32 vcc_lo, v4, v2
	v_cmp_eq_u32_e64 s0, v4, v1
	s_delay_alu instid0(VALU_DEP_1) | instskip(NEXT) | instid1(SALU_CYCLE_1)
	s_or_b32 s0, vcc_lo, s0
	s_and_b32 s0, exec_lo, s0
	s_delay_alu instid0(SALU_CYCLE_1) | instskip(NEXT) | instid1(SALU_CYCLE_1)
	s_or_b32 s5, s0, s5
	s_and_not1_b32 exec_lo, exec_lo, s5
	s_cbranch_execnz .LBB57_33
; %bb.34:                               ;   in Loop: Header=BB57_31 Depth=1
	s_or_b32 exec_lo, exec_lo, s5
.LBB57_35:                              ;   in Loop: Header=BB57_31 Depth=1
	s_delay_alu instid0(VALU_DEP_1) | instskip(SKIP_2) | instid1(VALU_DEP_2)
	v_ashrrev_i32_e32 v3, 31, v2
	v_ashrrev_i32_e32 v1, 31, v0
	s_mov_b32 s0, exec_lo
	v_lshlrev_b64 v[5:6], 2, v[2:3]
	s_delay_alu instid0(VALU_DEP_2) | instskip(NEXT) | instid1(VALU_DEP_2)
	v_lshlrev_b64 v[7:8], 2, v[0:1]
	v_add_co_u32 v5, vcc_lo, s8, v5
	s_delay_alu instid0(VALU_DEP_3)
	v_add_co_ci_u32_e32 v6, vcc_lo, s9, v6, vcc_lo
	global_load_b32 v3, v[5:6], off
	v_add_co_u32 v5, vcc_lo, s10, v7
	v_add_co_ci_u32_e32 v6, vcc_lo, s11, v8, vcc_lo
	global_load_b32 v5, v[5:6], off
	s_waitcnt vmcnt(1)
	v_subrev_nc_u32_e32 v3, s6, v3
	s_delay_alu instid0(VALU_DEP_1) | instskip(SKIP_3) | instid1(VALU_DEP_1)
	v_cmp_gt_i32_e32 vcc_lo, v3, v0
	v_cndmask_b32_e32 v4, v2, v4, vcc_lo
	s_waitcnt vmcnt(0)
	v_subrev_nc_u32_e32 v2, s6, v5
	v_cmpx_ne_u32_e64 v2, v4
	s_cbranch_execz .LBB57_30
; %bb.36:                               ;   in Loop: Header=BB57_31 Depth=1
	v_add_co_u32 v5, vcc_lo, s12, v0
	v_add_co_ci_u32_e32 v6, vcc_lo, s13, v1, vcc_lo
	v_ashrrev_i32_e32 v1, 31, v4
	v_ashrrev_i32_e32 v3, 31, v2
	v_add_co_u32 v4, vcc_lo, s14, v4
	global_load_i8 v6, v[5:6], off
	v_add_co_ci_u32_e32 v5, vcc_lo, s15, v1, vcc_lo
	v_lshlrev_b64 v[1:2], 2, v[2:3]
	s_mov_b32 s5, 0
	global_load_i8 v3, v[4:5], off
	v_add_co_u32 v1, vcc_lo, s20, v1
	v_add_co_ci_u32_e32 v2, vcc_lo, s21, v2, vcc_lo
	global_load_b32 v4, v[1:2], off
	s_waitcnt vmcnt(2)
	v_cvt_f32_i32_e32 v5, v6
	s_delay_alu instid0(VALU_DEP_1) | instskip(SKIP_2) | instid1(VALU_DEP_1)
	v_mul_f32_e32 v5, s16, v5
	s_waitcnt vmcnt(1)
	v_cvt_f32_i32_e32 v3, v3
	v_mul_f32_e32 v5, v5, v3
.LBB57_37:                              ;   Parent Loop BB57_31 Depth=1
                                        ; =>  This Inner Loop Header: Depth=2
	s_waitcnt vmcnt(0)
	s_delay_alu instid0(VALU_DEP_1)
	v_add_f32_e32 v3, v4, v5
	global_atomic_cmpswap_b32 v3, v[1:2], v[3:4], off glc
	s_waitcnt vmcnt(0)
	v_cmp_eq_u32_e32 vcc_lo, v3, v4
	v_mov_b32_e32 v4, v3
	s_or_b32 s5, vcc_lo, s5
	s_delay_alu instid0(SALU_CYCLE_1)
	s_and_not1_b32 exec_lo, exec_lo, s5
	s_cbranch_execnz .LBB57_37
	s_branch .LBB57_30
.LBB57_38:
	s_endpgm
	.section	.rodata,"a",@progbits
	.p2align	6, 0x0
	.amdhsa_kernel _ZL33csrmvn_symm_large_adaptive_kernelIiiaaffEvbT_PKS0_N9rocsparse24const_host_device_scalarIT4_EES2_PKT0_PKT1_PKT2_S6_PT3_21rocsparse_index_base_b
		.amdhsa_group_segment_fixed_size 4096
		.amdhsa_private_segment_fixed_size 0
		.amdhsa_kernarg_size 80
		.amdhsa_user_sgpr_count 15
		.amdhsa_user_sgpr_dispatch_ptr 0
		.amdhsa_user_sgpr_queue_ptr 0
		.amdhsa_user_sgpr_kernarg_segment_ptr 1
		.amdhsa_user_sgpr_dispatch_id 0
		.amdhsa_user_sgpr_private_segment_size 0
		.amdhsa_wavefront_size32 1
		.amdhsa_uses_dynamic_stack 0
		.amdhsa_enable_private_segment 0
		.amdhsa_system_sgpr_workgroup_id_x 1
		.amdhsa_system_sgpr_workgroup_id_y 0
		.amdhsa_system_sgpr_workgroup_id_z 0
		.amdhsa_system_sgpr_workgroup_info 0
		.amdhsa_system_vgpr_workitem_id 0
		.amdhsa_next_free_vgpr 12
		.amdhsa_next_free_sgpr 30
		.amdhsa_reserve_vcc 1
		.amdhsa_float_round_mode_32 0
		.amdhsa_float_round_mode_16_64 0
		.amdhsa_float_denorm_mode_32 3
		.amdhsa_float_denorm_mode_16_64 3
		.amdhsa_dx10_clamp 1
		.amdhsa_ieee_mode 1
		.amdhsa_fp16_overflow 0
		.amdhsa_workgroup_processor_mode 1
		.amdhsa_memory_ordered 1
		.amdhsa_forward_progress 0
		.amdhsa_shared_vgpr_count 0
		.amdhsa_exception_fp_ieee_invalid_op 0
		.amdhsa_exception_fp_denorm_src 0
		.amdhsa_exception_fp_ieee_div_zero 0
		.amdhsa_exception_fp_ieee_overflow 0
		.amdhsa_exception_fp_ieee_underflow 0
		.amdhsa_exception_fp_ieee_inexact 0
		.amdhsa_exception_int_div_zero 0
	.end_amdhsa_kernel
	.section	.text._ZL33csrmvn_symm_large_adaptive_kernelIiiaaffEvbT_PKS0_N9rocsparse24const_host_device_scalarIT4_EES2_PKT0_PKT1_PKT2_S6_PT3_21rocsparse_index_base_b,"axG",@progbits,_ZL33csrmvn_symm_large_adaptive_kernelIiiaaffEvbT_PKS0_N9rocsparse24const_host_device_scalarIT4_EES2_PKT0_PKT1_PKT2_S6_PT3_21rocsparse_index_base_b,comdat
.Lfunc_end57:
	.size	_ZL33csrmvn_symm_large_adaptive_kernelIiiaaffEvbT_PKS0_N9rocsparse24const_host_device_scalarIT4_EES2_PKT0_PKT1_PKT2_S6_PT3_21rocsparse_index_base_b, .Lfunc_end57-_ZL33csrmvn_symm_large_adaptive_kernelIiiaaffEvbT_PKS0_N9rocsparse24const_host_device_scalarIT4_EES2_PKT0_PKT1_PKT2_S6_PT3_21rocsparse_index_base_b
                                        ; -- End function
	.section	.AMDGPU.csdata,"",@progbits
; Kernel info:
; codeLenInByte = 1828
; NumSgprs: 32
; NumVgprs: 12
; ScratchSize: 0
; MemoryBound: 0
; FloatMode: 240
; IeeeMode: 1
; LDSByteSize: 4096 bytes/workgroup (compile time only)
; SGPRBlocks: 3
; VGPRBlocks: 1
; NumSGPRsForWavesPerEU: 32
; NumVGPRsForWavesPerEU: 12
; Occupancy: 16
; WaveLimiterHint : 1
; COMPUTE_PGM_RSRC2:SCRATCH_EN: 0
; COMPUTE_PGM_RSRC2:USER_SGPR: 15
; COMPUTE_PGM_RSRC2:TRAP_HANDLER: 0
; COMPUTE_PGM_RSRC2:TGID_X_EN: 1
; COMPUTE_PGM_RSRC2:TGID_Y_EN: 0
; COMPUTE_PGM_RSRC2:TGID_Z_EN: 0
; COMPUTE_PGM_RSRC2:TIDIG_COMP_CNT: 0
	.section	.text._ZN9rocsparseL22csrmvn_adaptive_kernelIliaaffEEvbT_PKS1_PjPKT0_NS_24const_host_device_scalarIT4_EES3_S7_PKT1_PKT2_SA_PT3_21rocsparse_index_base_b,"axG",@progbits,_ZN9rocsparseL22csrmvn_adaptive_kernelIliaaffEEvbT_PKS1_PjPKT0_NS_24const_host_device_scalarIT4_EES3_S7_PKT1_PKT2_SA_PT3_21rocsparse_index_base_b,comdat
	.globl	_ZN9rocsparseL22csrmvn_adaptive_kernelIliaaffEEvbT_PKS1_PjPKT0_NS_24const_host_device_scalarIT4_EES3_S7_PKT1_PKT2_SA_PT3_21rocsparse_index_base_b ; -- Begin function _ZN9rocsparseL22csrmvn_adaptive_kernelIliaaffEEvbT_PKS1_PjPKT0_NS_24const_host_device_scalarIT4_EES3_S7_PKT1_PKT2_SA_PT3_21rocsparse_index_base_b
	.p2align	8
	.type	_ZN9rocsparseL22csrmvn_adaptive_kernelIliaaffEEvbT_PKS1_PjPKT0_NS_24const_host_device_scalarIT4_EES3_S7_PKT1_PKT2_SA_PT3_21rocsparse_index_base_b,@function
_ZN9rocsparseL22csrmvn_adaptive_kernelIliaaffEEvbT_PKS1_PjPKT0_NS_24const_host_device_scalarIT4_EES3_S7_PKT1_PKT2_SA_PT3_21rocsparse_index_base_b: ; @_ZN9rocsparseL22csrmvn_adaptive_kernelIliaaffEEvbT_PKS1_PjPKT0_NS_24const_host_device_scalarIT4_EES3_S7_PKT1_PKT2_SA_PT3_21rocsparse_index_base_b
; %bb.0:
	s_clause 0x2
	s_load_b64 s[36:37], s[0:1], 0x60
	s_load_b64 s[34:35], s[0:1], 0x28
	;; [unrolled: 1-line block ×3, first 2 shown]
	s_mov_b32 s38, s15
	s_waitcnt lgkmcnt(0)
	s_bitcmp1_b32 s37, 0
	s_cselect_b32 s2, -1, 0
	s_delay_alu instid0(SALU_CYCLE_1)
	s_and_b32 vcc_lo, exec_lo, s2
	s_xor_b32 s2, s2, -1
	s_cbranch_vccnz .LBB58_2
; %bb.1:
	s_load_b32 s34, s[34:35], 0x0
.LBB58_2:
	s_and_not1_b32 vcc_lo, exec_lo, s2
	s_cbranch_vccnz .LBB58_4
; %bb.3:
	s_load_b32 s24, s[24:25], 0x0
.LBB58_4:
	s_waitcnt lgkmcnt(0)
	v_cmp_neq_f32_e64 s2, s34, 0
	v_cmp_neq_f32_e64 s3, s24, 1.0
	s_delay_alu instid0(VALU_DEP_1) | instskip(NEXT) | instid1(SALU_CYCLE_1)
	s_or_b32 s2, s2, s3
	s_and_not1_b32 vcc_lo, exec_lo, s2
	s_cbranch_vccnz .LBB58_116
; %bb.5:
	s_clause 0x2
	s_load_b64 s[2:3], s[0:1], 0x10
	s_load_b64 s[6:7], s[0:1], 0x20
	;; [unrolled: 1-line block ×3, first 2 shown]
	s_ashr_i32 s39, s38, 31
	s_delay_alu instid0(SALU_CYCLE_1)
	s_lshl_b64 s[4:5], s[38:39], 3
	s_waitcnt lgkmcnt(0)
	s_add_u32 s2, s2, s4
	s_addc_u32 s3, s3, s5
	s_lshl_b64 s[40:41], s[38:39], 2
	s_load_b128 s[20:23], s[2:3], 0x0
	s_load_b256 s[12:19], s[0:1], 0x30
	s_mov_b32 s3, -1
	s_waitcnt lgkmcnt(0)
	s_sub_i32 s2, s22, s20
	s_add_u32 s4, s6, s40
	s_addc_u32 s5, s7, s41
	s_lshl_b64 s[6:7], s[20:21], 3
	s_delay_alu instid0(SALU_CYCLE_1)
	s_add_u32 s28, s12, s6
	s_addc_u32 s29, s13, s7
	s_load_b32 s25, s[4:5], 0x0
	s_load_b64 s[30:31], s[28:29], 0x0
	s_cmp_lt_i32 s2, 2
	s_cbranch_scc0 .LBB58_72
; %bb.6:
	s_cmp_lg_u32 s2, 1
	s_cselect_b32 s2, -1, 0
	s_waitcnt lgkmcnt(0)
	s_cmp_lg_u32 s25, 0
	s_cselect_b32 s3, -1, 0
	s_delay_alu instid0(SALU_CYCLE_1) | instskip(NEXT) | instid1(SALU_CYCLE_1)
	s_or_b32 s2, s2, s3
	s_and_b32 vcc_lo, exec_lo, s2
	s_mov_b32 s2, -1
	s_cbranch_vccnz .LBB58_35
; %bb.7:
	v_cmp_le_i64_e64 s2, s[22:23], s[20:21]
	s_delay_alu instid0(VALU_DEP_1)
	s_and_b32 vcc_lo, exec_lo, s2
	s_cbranch_vccnz .LBB58_34
; %bb.8:
	v_sub_co_u32 v5, s2, v0, s36
	s_delay_alu instid0(VALU_DEP_1)
	v_sub_co_ci_u32_e64 v6, null, 0, 0, s2
	v_dual_mov_b32 v8, 0 :: v_dual_lshlrev_b32 v7, 2, v0
	v_cmp_gt_u32_e64 s2, 0x80, v0
	v_cmp_gt_u32_e64 s3, 64, v0
	;; [unrolled: 1-line block ×7, first 2 shown]
	v_cmp_eq_u32_e64 s9, 0, v0
	v_cmp_neq_f32_e64 s33, s24, 0
	s_add_u32 s11, s12, 8
	s_addc_u32 s35, s13, 0
	s_mov_b64 s[44:45], s[30:31]
	s_mov_b64 s[42:43], s[20:21]
	s_branch .LBB58_11
.LBB58_9:                               ;   in Loop: Header=BB58_11 Depth=1
	s_lshl_b64 s[46:47], s[42:43], 2
	s_delay_alu instid0(SALU_CYCLE_1)
	s_add_u32 s46, s26, s46
	s_addc_u32 s47, s27, s47
	s_waitcnt lgkmcnt(0)
	global_store_b32 v8, v1, s[46:47]
.LBB58_10:                              ;   in Loop: Header=BB58_11 Depth=1
	s_or_b32 exec_lo, exec_lo, s10
	s_add_u32 s42, s42, 1
	s_addc_u32 s43, s43, 0
	s_delay_alu instid0(SALU_CYCLE_1) | instskip(NEXT) | instid1(VALU_DEP_1)
	v_cmp_ge_i64_e64 s10, s[42:43], s[22:23]
	s_and_b32 vcc_lo, exec_lo, s10
	s_cbranch_vccnz .LBB58_34
.LBB58_11:                              ; =>This Loop Header: Depth=1
                                        ;     Child Loop BB58_13 Depth 2
	s_lshl_b64 s[46:47], s[42:43], 3
	s_mov_b64 s[48:49], s[44:45]
	s_add_u32 s46, s11, s46
	s_addc_u32 s47, s35, s47
	v_add_co_u32 v1, vcc_lo, s48, v5
	s_load_b64 s[44:45], s[46:47], 0x0
	v_add_co_ci_u32_e32 v2, vcc_lo, s49, v6, vcc_lo
	v_mov_b32_e32 v9, 0
	s_mov_b32 s37, exec_lo
	s_waitcnt lgkmcnt(0)
	s_sub_u32 s46, s44, s36
	s_subb_u32 s47, s45, 0
	s_delay_alu instid0(SALU_CYCLE_1)
	v_cmpx_gt_i64_e64 s[46:47], v[1:2]
	s_cbranch_execz .LBB58_15
; %bb.12:                               ;   in Loop: Header=BB58_11 Depth=1
	v_lshlrev_b64 v[3:4], 2, v[1:2]
	v_mov_b32_e32 v9, 0
	s_mov_b32 s39, 0
	s_delay_alu instid0(VALU_DEP_2) | instskip(NEXT) | instid1(VALU_DEP_3)
	v_add_co_u32 v3, vcc_lo, s14, v3
	v_add_co_ci_u32_e32 v4, vcc_lo, s15, v4, vcc_lo
	.p2align	6
.LBB58_13:                              ;   Parent Loop BB58_11 Depth=1
                                        ; =>  This Inner Loop Header: Depth=2
	global_load_b32 v11, v[3:4], off
	v_add_co_u32 v10, vcc_lo, s16, v1
	v_add_co_u32 v3, s10, 0x400, v3
	s_delay_alu instid0(VALU_DEP_1) | instskip(SKIP_3) | instid1(VALU_DEP_2)
	v_add_co_ci_u32_e64 v4, s10, 0, v4, s10
	s_waitcnt vmcnt(0)
	v_subrev_nc_u32_e32 v12, s36, v11
	v_add_co_ci_u32_e32 v11, vcc_lo, s17, v2, vcc_lo
	v_ashrrev_i32_e32 v13, 31, v12
	global_load_i8 v14, v[10:11], off
	v_add_co_u32 v10, vcc_lo, s18, v12
	v_add_co_ci_u32_e32 v11, vcc_lo, s19, v13, vcc_lo
	v_add_co_u32 v1, vcc_lo, 0x100, v1
	v_add_co_ci_u32_e32 v2, vcc_lo, 0, v2, vcc_lo
	global_load_i8 v10, v[10:11], off
	v_cmp_le_i64_e32 vcc_lo, s[46:47], v[1:2]
	s_or_b32 s39, vcc_lo, s39
	s_waitcnt vmcnt(1)
	v_cvt_f32_i32_e32 v11, v14
	s_delay_alu instid0(VALU_DEP_1) | instskip(SKIP_2) | instid1(VALU_DEP_1)
	v_mul_f32_e32 v11, s34, v11
	s_waitcnt vmcnt(0)
	v_cvt_f32_i32_e32 v10, v10
	v_fmac_f32_e32 v9, v11, v10
	s_and_not1_b32 exec_lo, exec_lo, s39
	s_cbranch_execnz .LBB58_13
; %bb.14:                               ;   in Loop: Header=BB58_11 Depth=1
	s_or_b32 exec_lo, exec_lo, s39
.LBB58_15:                              ;   in Loop: Header=BB58_11 Depth=1
	s_delay_alu instid0(SALU_CYCLE_1)
	s_or_b32 exec_lo, exec_lo, s37
	ds_store_b32 v7, v9
	s_waitcnt lgkmcnt(0)
	s_waitcnt_vscnt null, 0x0
	s_barrier
	buffer_gl0_inv
	s_and_saveexec_b32 s10, s2
	s_cbranch_execz .LBB58_17
; %bb.16:                               ;   in Loop: Header=BB58_11 Depth=1
	ds_load_2addr_stride64_b32 v[1:2], v7 offset1:2
	s_waitcnt lgkmcnt(0)
	v_add_f32_e32 v1, v1, v2
	ds_store_b32 v7, v1
.LBB58_17:                              ;   in Loop: Header=BB58_11 Depth=1
	s_or_b32 exec_lo, exec_lo, s10
	s_waitcnt lgkmcnt(0)
	s_barrier
	buffer_gl0_inv
	s_and_saveexec_b32 s10, s3
	s_cbranch_execz .LBB58_19
; %bb.18:                               ;   in Loop: Header=BB58_11 Depth=1
	ds_load_2addr_stride64_b32 v[1:2], v7 offset1:1
	s_waitcnt lgkmcnt(0)
	v_add_f32_e32 v1, v1, v2
	ds_store_b32 v7, v1
.LBB58_19:                              ;   in Loop: Header=BB58_11 Depth=1
	s_or_b32 exec_lo, exec_lo, s10
	s_waitcnt lgkmcnt(0)
	s_barrier
	buffer_gl0_inv
	s_and_saveexec_b32 s10, s4
	s_cbranch_execz .LBB58_21
; %bb.20:                               ;   in Loop: Header=BB58_11 Depth=1
	ds_load_2addr_b32 v[1:2], v7 offset1:32
	s_waitcnt lgkmcnt(0)
	v_add_f32_e32 v1, v1, v2
	ds_store_b32 v7, v1
.LBB58_21:                              ;   in Loop: Header=BB58_11 Depth=1
	s_or_b32 exec_lo, exec_lo, s10
	s_waitcnt lgkmcnt(0)
	s_barrier
	buffer_gl0_inv
	s_and_saveexec_b32 s10, s5
	s_cbranch_execz .LBB58_23
; %bb.22:                               ;   in Loop: Header=BB58_11 Depth=1
	ds_load_2addr_b32 v[1:2], v7 offset1:16
	s_waitcnt lgkmcnt(0)
	v_add_f32_e32 v1, v1, v2
	ds_store_b32 v7, v1
.LBB58_23:                              ;   in Loop: Header=BB58_11 Depth=1
	;; [unrolled: 12-line block ×5, first 2 shown]
	s_or_b32 exec_lo, exec_lo, s10
	s_waitcnt lgkmcnt(0)
	s_barrier
	buffer_gl0_inv
	s_and_saveexec_b32 s10, s9
	s_cbranch_execz .LBB58_31
; %bb.30:                               ;   in Loop: Header=BB58_11 Depth=1
	ds_load_b64 v[1:2], v8
	s_waitcnt lgkmcnt(0)
	v_add_f32_e32 v1, v1, v2
	ds_store_b32 v8, v1
.LBB58_31:                              ;   in Loop: Header=BB58_11 Depth=1
	s_or_b32 exec_lo, exec_lo, s10
	s_waitcnt lgkmcnt(0)
	s_barrier
	buffer_gl0_inv
	s_and_saveexec_b32 s10, s9
	s_cbranch_execz .LBB58_10
; %bb.32:                               ;   in Loop: Header=BB58_11 Depth=1
	ds_load_b32 v1, v8
	s_and_not1_b32 vcc_lo, exec_lo, s33
	s_cbranch_vccnz .LBB58_9
; %bb.33:                               ;   in Loop: Header=BB58_11 Depth=1
	s_lshl_b64 s[46:47], s[42:43], 2
	s_delay_alu instid0(SALU_CYCLE_1)
	s_add_u32 s46, s26, s46
	s_addc_u32 s47, s27, s47
	global_load_b32 v2, v8, s[46:47]
	s_waitcnt vmcnt(0) lgkmcnt(0)
	v_fmac_f32_e32 v1, s24, v2
	s_branch .LBB58_9
.LBB58_34:
	s_mov_b32 s2, 0
.LBB58_35:
	s_delay_alu instid0(SALU_CYCLE_1)
	s_and_not1_b32 vcc_lo, exec_lo, s2
	s_cbranch_vccnz .LBB58_71
; %bb.36:
	s_load_b64 s[6:7], s[0:1], 0x18
	s_sub_i32 s8, s38, s25
	v_or_b32_e32 v1, s25, v0
	v_mov_b32_e32 v5, 0
	s_mov_b32 s2, exec_lo
	s_waitcnt lgkmcnt(0)
	s_add_u32 s4, s6, s40
	s_addc_u32 s5, s7, s41
	s_load_b32 s33, s[4:5], 0x0
	v_cmpx_eq_u32_e32 0, v1
	s_cbranch_execz .LBB58_40
; %bb.37:
	s_lshl_b64 s[38:39], s[20:21], 2
	s_mov_b32 s10, exec_lo
	s_add_u32 s38, s26, s38
	s_addc_u32 s39, s27, s39
	v_mbcnt_lo_u32_b32 v2, s10, 0
	s_load_b32 s3, s[38:39], 0x0
	v_add_f32_e64 v1, s24, -1.0
	s_mov_b32 s11, exec_lo
	s_waitcnt vmcnt(0) expcnt(0) lgkmcnt(0)
	s_waitcnt_vscnt null, 0x0
	v_cmpx_eq_u32_e32 0, v2
	s_cbranch_execz .LBB58_39
; %bb.38:
	s_ashr_i32 s9, s8, 31
	s_delay_alu instid0(SALU_CYCLE_1) | instskip(NEXT) | instid1(SALU_CYCLE_1)
	s_lshl_b64 s[38:39], s[8:9], 2
	s_add_u32 s38, s6, s38
	s_addc_u32 s39, s7, s39
	s_bcnt1_i32_b32 s9, s10
	s_delay_alu instid0(SALU_CYCLE_1) | instskip(NEXT) | instid1(SALU_CYCLE_1)
	s_and_b32 s9, s9, 1
	v_dual_mov_b32 v2, 0 :: v_dual_mov_b32 v3, s9
	global_atomic_xor_b32 v2, v3, s[38:39]
.LBB58_39:
	s_or_b32 exec_lo, exec_lo, s11
	v_mul_f32_e32 v5, s3, v1
.LBB58_40:
	s_or_b32 exec_lo, exec_lo, s2
	s_load_b64 s[2:3], s[28:29], 0x8
	s_mul_i32 s10, s25, 0xc00
	s_sub_u32 s11, s30, s36
	s_subb_u32 s35, s31, 0
	s_mul_hi_i32 s9, s25, 0xc00
	s_add_u32 s11, s11, s10
	s_addc_u32 s10, s35, s9
	v_add_co_u32 v1, s9, s11, v0
	s_delay_alu instid0(VALU_DEP_1) | instskip(SKIP_4) | instid1(SALU_CYCLE_1)
	v_add_co_ci_u32_e64 v2, null, s10, 0, s9
	s_mov_b32 s9, exec_lo
	s_waitcnt lgkmcnt(0)
	s_sub_u32 s2, s2, s36
	s_subb_u32 s3, s3, 0
	v_cmpx_gt_i64_e64 s[2:3], v[1:2]
	s_cbranch_execz .LBB58_44
; %bb.41:
	v_lshlrev_b64 v[3:4], 2, v[1:2]
	s_add_u32 s38, s11, 0xc00
	s_addc_u32 s39, s10, 0
	s_delay_alu instid0(SALU_CYCLE_1) | instskip(NEXT) | instid1(VALU_DEP_2)
	v_cmp_lt_i64_e64 s10, s[38:39], s[2:3]
	v_add_co_u32 v3, vcc_lo, s14, v3
	s_delay_alu instid0(VALU_DEP_3) | instskip(NEXT) | instid1(VALU_DEP_3)
	v_add_co_ci_u32_e32 v4, vcc_lo, s15, v4, vcc_lo
	s_and_b32 s10, s10, exec_lo
	s_cselect_b32 s11, s39, s3
	s_cselect_b32 s10, s38, s2
	s_mov_b32 s3, 0
	.p2align	6
.LBB58_42:                              ; =>This Inner Loop Header: Depth=1
	global_load_b32 v7, v[3:4], off
	v_add_co_u32 v6, vcc_lo, s16, v1
	v_add_co_u32 v3, s2, 0x400, v3
	s_delay_alu instid0(VALU_DEP_1) | instskip(SKIP_3) | instid1(VALU_DEP_2)
	v_add_co_ci_u32_e64 v4, s2, 0, v4, s2
	s_waitcnt vmcnt(0)
	v_subrev_nc_u32_e32 v8, s36, v7
	v_add_co_ci_u32_e32 v7, vcc_lo, s17, v2, vcc_lo
	v_ashrrev_i32_e32 v9, 31, v8
	global_load_i8 v10, v[6:7], off
	v_add_co_u32 v6, vcc_lo, s18, v8
	v_add_co_ci_u32_e32 v7, vcc_lo, s19, v9, vcc_lo
	v_add_co_u32 v1, vcc_lo, 0x100, v1
	v_add_co_ci_u32_e32 v2, vcc_lo, 0, v2, vcc_lo
	global_load_i8 v6, v[6:7], off
	v_cmp_le_i64_e32 vcc_lo, s[10:11], v[1:2]
	s_or_b32 s3, vcc_lo, s3
	s_waitcnt vmcnt(1)
	v_cvt_f32_i32_e32 v7, v10
	s_delay_alu instid0(VALU_DEP_1) | instskip(SKIP_2) | instid1(VALU_DEP_1)
	v_mul_f32_e32 v7, s34, v7
	s_waitcnt vmcnt(0)
	v_cvt_f32_i32_e32 v6, v6
	v_fmac_f32_e32 v5, v7, v6
	s_and_not1_b32 exec_lo, exec_lo, s3
	s_cbranch_execnz .LBB58_42
; %bb.43:
	s_or_b32 exec_lo, exec_lo, s3
.LBB58_44:
	s_delay_alu instid0(SALU_CYCLE_1)
	s_or_b32 exec_lo, exec_lo, s9
	v_lshlrev_b32_e32 v1, 2, v0
	s_mov_b32 s2, exec_lo
	ds_store_b32 v1, v5
	s_waitcnt lgkmcnt(0)
	s_waitcnt_vscnt null, 0x0
	s_barrier
	buffer_gl0_inv
	v_cmpx_gt_u32_e32 0x80, v0
	s_cbranch_execz .LBB58_46
; %bb.45:
	ds_load_2addr_stride64_b32 v[2:3], v1 offset1:2
	s_waitcnt lgkmcnt(0)
	v_add_f32_e32 v2, v2, v3
	ds_store_b32 v1, v2
.LBB58_46:
	s_or_b32 exec_lo, exec_lo, s2
	s_delay_alu instid0(SALU_CYCLE_1)
	s_mov_b32 s2, exec_lo
	s_waitcnt lgkmcnt(0)
	s_barrier
	buffer_gl0_inv
	v_cmpx_gt_u32_e32 64, v0
	s_cbranch_execz .LBB58_48
; %bb.47:
	ds_load_2addr_stride64_b32 v[2:3], v1 offset1:1
	s_waitcnt lgkmcnt(0)
	v_add_f32_e32 v2, v2, v3
	ds_store_b32 v1, v2
.LBB58_48:
	s_or_b32 exec_lo, exec_lo, s2
	s_delay_alu instid0(SALU_CYCLE_1)
	s_mov_b32 s2, exec_lo
	s_waitcnt lgkmcnt(0)
	s_barrier
	buffer_gl0_inv
	v_cmpx_gt_u32_e32 32, v0
	s_cbranch_execz .LBB58_50
; %bb.49:
	ds_load_2addr_b32 v[2:3], v1 offset1:32
	s_waitcnt lgkmcnt(0)
	v_add_f32_e32 v2, v2, v3
	ds_store_b32 v1, v2
.LBB58_50:
	s_or_b32 exec_lo, exec_lo, s2
	s_delay_alu instid0(SALU_CYCLE_1)
	s_mov_b32 s2, exec_lo
	s_waitcnt lgkmcnt(0)
	s_barrier
	buffer_gl0_inv
	v_cmpx_gt_u32_e32 16, v0
	s_cbranch_execz .LBB58_52
; %bb.51:
	ds_load_2addr_b32 v[2:3], v1 offset1:16
	s_waitcnt lgkmcnt(0)
	v_add_f32_e32 v2, v2, v3
	ds_store_b32 v1, v2
.LBB58_52:
	;; [unrolled: 14-line block ×5, first 2 shown]
	s_or_b32 exec_lo, exec_lo, s2
	v_cmp_eq_u32_e32 vcc_lo, 0, v0
	s_waitcnt lgkmcnt(0)
	s_barrier
	buffer_gl0_inv
	s_and_saveexec_b32 s2, vcc_lo
	s_cbranch_execz .LBB58_60
; %bb.59:
	v_mov_b32_e32 v3, 0
	ds_load_b64 v[1:2], v3
	s_waitcnt lgkmcnt(0)
	v_add_f32_e32 v1, v1, v2
	ds_store_b32 v3, v1
.LBB58_60:
	s_or_b32 exec_lo, exec_lo, s2
	s_waitcnt lgkmcnt(0)
	s_barrier
	buffer_gl0_inv
	s_and_saveexec_b32 s10, vcc_lo
	s_cbranch_execz .LBB58_70
; %bb.61:
	s_cmp_eq_u32 s25, 0
	s_cbranch_scc1 .LBB58_67
; %bb.62:
	s_ashr_i32 s9, s8, 31
	v_mov_b32_e32 v1, 0
	s_lshl_b64 s[2:3], s[8:9], 2
	s_delay_alu instid0(SALU_CYCLE_1)
	s_add_u32 s2, s6, s2
	s_addc_u32 s3, s7, s3
	s_branch .LBB58_64
.LBB58_63:                              ;   in Loop: Header=BB58_64 Depth=1
	s_or_b32 exec_lo, exec_lo, s6
	s_waitcnt vmcnt(0)
	v_readfirstlane_b32 s6, v2
	s_delay_alu instid0(VALU_DEP_1)
	s_cmp_eq_u32 s6, s33
	s_cbranch_scc0 .LBB58_66
.LBB58_64:                              ; =>This Inner Loop Header: Depth=1
	v_mbcnt_lo_u32_b32 v2, exec_lo, 0
	s_delay_alu instid0(VALU_DEP_1)
	v_cmp_eq_u32_e32 vcc_lo, 0, v2
                                        ; implicit-def: $vgpr2
	s_and_saveexec_b32 s6, vcc_lo
	s_cbranch_execz .LBB58_63
; %bb.65:                               ;   in Loop: Header=BB58_64 Depth=1
	global_load_b32 v2, v1, s[2:3] glc
	s_branch .LBB58_63
.LBB58_66:
	v_mov_b32_e32 v1, 0
	global_load_b32 v2, v1, s[4:5]
	s_waitcnt vmcnt(0)
	v_xor_b32_e32 v2, 1, v2
	global_store_b32 v1, v2, s[4:5]
.LBB58_67:
	s_mov_b32 s4, exec_lo
	s_delay_alu instid0(SALU_CYCLE_1) | instskip(NEXT) | instid1(VALU_DEP_1)
	v_mbcnt_lo_u32_b32 v1, s4, 0
	v_cmp_eq_u32_e32 vcc_lo, 0, v1
	s_and_b32 s2, exec_lo, vcc_lo
	s_delay_alu instid0(SALU_CYCLE_1)
	s_mov_b32 exec_lo, s2
	s_cbranch_execz .LBB58_70
; %bb.68:
	s_lshl_b64 s[2:3], s[20:21], 2
	s_delay_alu instid0(SALU_CYCLE_1) | instskip(SKIP_2) | instid1(SALU_CYCLE_1)
	s_add_u32 s2, s26, s2
	s_addc_u32 s3, s27, s3
	s_bcnt1_i32_b32 s4, s4
	v_cvt_f32_ubyte0_e32 v4, s4
	v_mov_b32_e32 v3, 0
	s_mov_b32 s4, 0
	global_load_b32 v2, v3, s[2:3]
	ds_load_b32 v1, v3
	s_waitcnt lgkmcnt(0)
	v_mul_f32_e32 v4, v1, v4
.LBB58_69:                              ; =>This Inner Loop Header: Depth=1
	s_waitcnt vmcnt(0)
	s_delay_alu instid0(VALU_DEP_1)
	v_add_f32_e32 v1, v2, v4
	global_atomic_cmpswap_b32 v1, v3, v[1:2], s[2:3] glc
	s_waitcnt vmcnt(0)
	v_cmp_eq_u32_e32 vcc_lo, v1, v2
	v_mov_b32_e32 v2, v1
	s_or_b32 s4, vcc_lo, s4
	s_delay_alu instid0(SALU_CYCLE_1)
	s_and_not1_b32 exec_lo, exec_lo, s4
	s_cbranch_execnz .LBB58_69
.LBB58_70:
	s_or_b32 exec_lo, exec_lo, s10
.LBB58_71:
	s_mov_b32 s3, 0
.LBB58_72:
	s_delay_alu instid0(SALU_CYCLE_1)
	s_and_not1_b32 vcc_lo, exec_lo, s3
	s_cbranch_vccnz .LBB58_116
; %bb.73:
	s_load_b64 s[0:1], s[0:1], 0x8
	v_sub_co_u32 v1, s2, v0, s36
	s_delay_alu instid0(VALU_DEP_1) | instskip(SKIP_1) | instid1(VALU_DEP_2)
	v_sub_co_ci_u32_e64 v2, null, 0, 0, s2
	s_waitcnt lgkmcnt(0)
	v_add_co_u32 v1, vcc_lo, s30, v1
	s_delay_alu instid0(VALU_DEP_2) | instskip(NEXT) | instid1(VALU_DEP_2)
	v_add_co_ci_u32_e32 v2, vcc_lo, s31, v2, vcc_lo
	v_add_co_u32 v3, vcc_lo, 0x300, v1
	s_delay_alu instid0(VALU_DEP_2) | instskip(NEXT) | instid1(VALU_DEP_1)
	v_add_co_ci_u32_e32 v4, vcc_lo, 0, v2, vcc_lo
	v_cmp_le_i64_e32 vcc_lo, s[0:1], v[3:4]
	s_and_saveexec_b32 s0, vcc_lo
	s_delay_alu instid0(SALU_CYCLE_1)
	s_xor_b32 s1, exec_lo, s0
	s_cbranch_execz .LBB58_78
; %bb.74:
	s_lshl_b64 s[2:3], s[22:23], 3
	s_mov_b32 s4, exec_lo
	s_add_u32 s2, s12, s2
	s_addc_u32 s3, s13, s3
	s_load_b64 s[2:3], s[2:3], 0x0
	s_waitcnt lgkmcnt(0)
	s_sub_u32 s2, s2, s36
	s_subb_u32 s3, s3, 0
	s_delay_alu instid0(SALU_CYCLE_1)
	v_cmpx_gt_i64_e64 s[2:3], v[1:2]
	s_cbranch_execz .LBB58_77
; %bb.75:
	v_lshlrev_b64 v[3:4], 2, v[1:2]
	v_lshlrev_b32_e32 v5, 2, v0
	s_mov_b32 s5, 0
	s_delay_alu instid0(VALU_DEP_2) | instskip(NEXT) | instid1(VALU_DEP_3)
	v_add_co_u32 v3, vcc_lo, s14, v3
	v_add_co_ci_u32_e32 v4, vcc_lo, s15, v4, vcc_lo
	s_set_inst_prefetch_distance 0x1
	.p2align	6
.LBB58_76:                              ; =>This Inner Loop Header: Depth=1
	global_load_b32 v7, v[3:4], off
	v_add_co_u32 v6, vcc_lo, s16, v1
	s_waitcnt vmcnt(0)
	v_subrev_nc_u32_e32 v8, s36, v7
	v_add_co_ci_u32_e32 v7, vcc_lo, s17, v2, vcc_lo
	global_load_i8 v9, v[6:7], off
	v_ashrrev_i32_e32 v7, 31, v8
	v_add_co_u32 v6, vcc_lo, s18, v8
	s_delay_alu instid0(VALU_DEP_2)
	v_add_co_ci_u32_e32 v7, vcc_lo, s19, v7, vcc_lo
	v_add_co_u32 v1, vcc_lo, 0x100, v1
	v_add_co_ci_u32_e32 v2, vcc_lo, 0, v2, vcc_lo
	global_load_i8 v6, v[6:7], off
	v_add_co_u32 v3, vcc_lo, 0x400, v3
	v_cmp_le_i64_e64 s0, s[2:3], v[1:2]
	v_add_co_ci_u32_e32 v4, vcc_lo, 0, v4, vcc_lo
	s_delay_alu instid0(VALU_DEP_2) | instskip(SKIP_2) | instid1(VALU_DEP_1)
	s_or_b32 s5, s0, s5
	s_waitcnt vmcnt(1)
	v_cvt_f32_i32_e32 v7, v9
	v_mul_f32_e32 v7, s34, v7
	s_waitcnt vmcnt(0)
	v_cvt_f32_i32_e32 v6, v6
	s_delay_alu instid0(VALU_DEP_1)
	v_mul_f32_e32 v6, v7, v6
	ds_store_b32 v5, v6
	v_add_nc_u32_e32 v5, 0x400, v5
	s_and_not1_b32 exec_lo, exec_lo, s5
	s_cbranch_execnz .LBB58_76
.LBB58_77:
	s_set_inst_prefetch_distance 0x2
	s_or_b32 exec_lo, exec_lo, s4
                                        ; implicit-def: $vgpr1
.LBB58_78:
	s_or_saveexec_b32 s0, s1
	v_lshlrev_b32_e32 v7, 2, v0
	s_xor_b32 exec_lo, exec_lo, s0
	s_cbranch_execz .LBB58_80
; %bb.79:
	v_lshlrev_b64 v[3:4], 2, v[1:2]
	s_delay_alu instid0(VALU_DEP_1) | instskip(NEXT) | instid1(VALU_DEP_2)
	v_add_co_u32 v3, vcc_lo, s14, v3
	v_add_co_ci_u32_e32 v4, vcc_lo, s15, v4, vcc_lo
	v_add_co_u32 v1, vcc_lo, s16, v1
	v_add_co_ci_u32_e32 v2, vcc_lo, s17, v2, vcc_lo
	s_clause 0x3
	global_load_b32 v5, v[3:4], off
	global_load_b32 v6, v[3:4], off offset:1024
	global_load_b32 v8, v[3:4], off offset:2048
	;; [unrolled: 1-line block ×3, first 2 shown]
	s_clause 0x3
	global_load_i8 v10, v[1:2], off
	global_load_i8 v11, v[1:2], off offset:256
	global_load_i8 v12, v[1:2], off offset:512
	;; [unrolled: 1-line block ×3, first 2 shown]
	s_waitcnt vmcnt(7)
	v_subrev_nc_u32_e32 v4, s36, v5
	s_waitcnt vmcnt(6)
	v_subrev_nc_u32_e32 v5, s36, v6
	;; [unrolled: 2-line block ×4, first 2 shown]
	v_ashrrev_i32_e32 v2, 31, v4
	v_ashrrev_i32_e32 v9, 31, v5
	v_add_co_u32 v1, vcc_lo, s18, v4
	v_ashrrev_i32_e32 v14, 31, v6
	s_delay_alu instid0(VALU_DEP_4)
	v_add_co_ci_u32_e32 v2, vcc_lo, s19, v2, vcc_lo
	v_add_co_u32 v3, vcc_lo, s18, v5
	v_add_co_ci_u32_e32 v4, vcc_lo, s19, v9, vcc_lo
	v_ashrrev_i32_e32 v15, 31, v8
	v_add_co_u32 v5, vcc_lo, s18, v6
	v_add_co_ci_u32_e32 v6, vcc_lo, s19, v14, vcc_lo
	v_add_co_u32 v8, vcc_lo, s18, v8
	s_delay_alu instid0(VALU_DEP_4)
	v_add_co_ci_u32_e32 v9, vcc_lo, s19, v15, vcc_lo
	s_clause 0x3
	global_load_i8 v1, v[1:2], off
	global_load_i8 v2, v[3:4], off
	;; [unrolled: 1-line block ×4, first 2 shown]
	s_waitcnt vmcnt(7)
	v_cvt_f32_i32_e32 v5, v10
	s_waitcnt vmcnt(6)
	v_cvt_f32_i32_e32 v6, v11
	;; [unrolled: 2-line block ×4, first 2 shown]
	v_dual_mul_f32 v5, s34, v5 :: v_dual_mul_f32 v6, s34, v6
	s_delay_alu instid0(VALU_DEP_2)
	v_dual_mul_f32 v8, s34, v8 :: v_dual_mul_f32 v9, s34, v9
	s_waitcnt vmcnt(3)
	v_cvt_f32_i32_e32 v1, v1
	s_waitcnt vmcnt(2)
	v_cvt_f32_i32_e32 v2, v2
	;; [unrolled: 2-line block ×4, first 2 shown]
	v_dual_mul_f32 v1, v5, v1 :: v_dual_mul_f32 v2, v6, v2
	s_delay_alu instid0(VALU_DEP_2)
	v_dual_mul_f32 v3, v8, v3 :: v_dual_mul_f32 v4, v9, v4
	ds_store_2addr_stride64_b32 v7, v1, v2 offset1:4
	ds_store_2addr_stride64_b32 v7, v3, v4 offset0:8 offset1:12
.LBB58_80:
	s_or_b32 exec_lo, exec_lo, s0
	s_cmp_lt_i32 s25, 2
	s_mov_b32 s0, -1
	s_waitcnt lgkmcnt(0)
	s_waitcnt_vscnt null, 0x0
	s_barrier
	buffer_gl0_inv
	s_cbranch_scc0 .LBB58_91
; %bb.81:
	v_add_co_u32 v5, s0, s20, v0
	s_delay_alu instid0(VALU_DEP_1) | instskip(SKIP_1) | instid1(VALU_DEP_1)
	v_add_co_ci_u32_e64 v6, null, s21, 0, s0
	s_mov_b32 s1, exec_lo
	v_cmpx_gt_i64_e64 s[22:23], v[5:6]
	s_cbranch_execz .LBB58_90
; %bb.82:
	v_cmp_neq_f32_e64 s2, s24, 0
	s_lshl_b32 s0, s30, 2
	s_mov_b32 s3, 0
	s_sub_i32 s4, 0, s0
	s_branch .LBB58_84
.LBB58_83:                              ;   in Loop: Header=BB58_84 Depth=1
	v_add_co_u32 v5, vcc_lo, 0x100, v5
	v_add_co_ci_u32_e32 v6, vcc_lo, 0, v6, vcc_lo
	s_delay_alu instid0(VALU_DEP_3) | instskip(NEXT) | instid1(VALU_DEP_1)
	v_add_co_u32 v1, s0, s26, v1
	v_add_co_ci_u32_e64 v2, s0, s27, v2, s0
	s_delay_alu instid0(VALU_DEP_3) | instskip(SKIP_2) | instid1(SALU_CYCLE_1)
	v_cmp_le_i64_e32 vcc_lo, s[22:23], v[5:6]
	global_store_b32 v[1:2], v3, off
	s_or_b32 s3, vcc_lo, s3
	s_and_not1_b32 exec_lo, exec_lo, s3
	s_cbranch_execz .LBB58_90
.LBB58_84:                              ; =>This Loop Header: Depth=1
                                        ;     Child Loop BB58_86 Depth 2
	v_lshlrev_b64 v[1:2], 3, v[5:6]
	s_mov_b32 s0, exec_lo
	s_delay_alu instid0(VALU_DEP_1) | instskip(NEXT) | instid1(VALU_DEP_2)
	v_add_co_u32 v1, vcc_lo, s12, v1
	v_add_co_ci_u32_e32 v2, vcc_lo, s13, v2, vcc_lo
	global_load_b128 v[1:4], v[1:2], off
	s_waitcnt vmcnt(0)
	v_subrev_nc_u32_e32 v2, s30, v1
	v_subrev_nc_u32_e32 v4, s30, v3
	v_mov_b32_e32 v3, 0
	s_delay_alu instid0(VALU_DEP_2)
	v_cmpx_lt_i32_e64 v2, v4
	s_cbranch_execz .LBB58_88
; %bb.85:                               ;   in Loop: Header=BB58_84 Depth=1
	v_lshl_add_u32 v1, v1, 2, s4
	v_mov_b32_e32 v3, 0
	s_mov_b32 s5, 0
.LBB58_86:                              ;   Parent Loop BB58_84 Depth=1
                                        ; =>  This Inner Loop Header: Depth=2
	ds_load_b32 v8, v1
	v_add_nc_u32_e32 v2, 1, v2
	v_add_nc_u32_e32 v1, 4, v1
	s_waitcnt lgkmcnt(0)
	v_add_f32_e32 v3, v3, v8
	s_delay_alu instid0(VALU_DEP_3) | instskip(SKIP_1) | instid1(SALU_CYCLE_1)
	v_cmp_ge_i32_e32 vcc_lo, v2, v4
	s_or_b32 s5, vcc_lo, s5
	s_and_not1_b32 exec_lo, exec_lo, s5
	s_cbranch_execnz .LBB58_86
; %bb.87:                               ;   in Loop: Header=BB58_84 Depth=1
	s_or_b32 exec_lo, exec_lo, s5
.LBB58_88:                              ;   in Loop: Header=BB58_84 Depth=1
	s_delay_alu instid0(SALU_CYCLE_1)
	s_or_b32 exec_lo, exec_lo, s0
	v_lshlrev_b64 v[1:2], 2, v[5:6]
	s_and_b32 vcc_lo, exec_lo, s2
	s_cbranch_vccz .LBB58_83
; %bb.89:                               ;   in Loop: Header=BB58_84 Depth=1
	s_delay_alu instid0(VALU_DEP_1) | instskip(NEXT) | instid1(VALU_DEP_2)
	v_add_co_u32 v8, vcc_lo, s26, v1
	v_add_co_ci_u32_e32 v9, vcc_lo, s27, v2, vcc_lo
	global_load_b32 v4, v[8:9], off
	s_waitcnt vmcnt(0)
	v_fmac_f32_e32 v3, s24, v4
	s_branch .LBB58_83
.LBB58_90:
	s_or_b32 exec_lo, exec_lo, s1
	s_mov_b32 s0, 0
.LBB58_91:
	s_delay_alu instid0(SALU_CYCLE_1)
	s_and_not1_b32 vcc_lo, exec_lo, s0
	s_cbranch_vccnz .LBB58_116
; %bb.92:
	s_clz_i32_u32 s0, s25
	s_add_i32 s1, s25, -1
	s_xor_b32 s0, s0, 31
	v_mov_b32_e32 v3, 0
	v_lshrrev_b32_e32 v4, s0, v0
	v_and_b32_e32 v0, s1, v0
	s_mov_b32 s1, exec_lo
	s_delay_alu instid0(VALU_DEP_2) | instskip(NEXT) | instid1(VALU_DEP_1)
	v_add_co_u32 v1, s0, s20, v4
	v_add_co_ci_u32_e64 v2, null, s21, 0, s0
	s_delay_alu instid0(VALU_DEP_1)
	v_cmp_le_i64_e32 vcc_lo, s[22:23], v[1:2]
	v_cmpx_gt_i64_e64 s[22:23], v[1:2]
	s_cbranch_execz .LBB58_98
; %bb.93:
	v_lshlrev_b32_e32 v3, 3, v4
	s_mov_b32 s2, exec_lo
	s_clause 0x1
	global_load_b32 v4, v3, s[28:29]
	global_load_b32 v3, v3, s[28:29] offset:8
	s_waitcnt vmcnt(1)
	v_subrev_nc_u32_e32 v5, s30, v4
	s_waitcnt vmcnt(0)
	v_subrev_nc_u32_e32 v4, s30, v3
	v_mov_b32_e32 v3, 0
	s_delay_alu instid0(VALU_DEP_3) | instskip(NEXT) | instid1(VALU_DEP_1)
	v_add_nc_u32_e32 v5, v0, v5
	v_cmpx_lt_i32_e64 v5, v4
	s_cbranch_execz .LBB58_97
; %bb.94:
	v_dual_mov_b32 v3, 0 :: v_dual_lshlrev_b32 v6, 2, v5
	s_lshl_b32 s4, s25, 2
	s_mov_b32 s3, 0
.LBB58_95:                              ; =>This Inner Loop Header: Depth=1
	ds_load_b32 v8, v6
	v_add_nc_u32_e32 v5, s25, v5
	v_add_nc_u32_e32 v6, s4, v6
	s_delay_alu instid0(VALU_DEP_2) | instskip(NEXT) | instid1(VALU_DEP_1)
	v_cmp_ge_i32_e64 s0, v5, v4
	s_or_b32 s3, s0, s3
	s_waitcnt lgkmcnt(0)
	v_add_f32_e32 v3, v3, v8
	s_and_not1_b32 exec_lo, exec_lo, s3
	s_cbranch_execnz .LBB58_95
; %bb.96:
	s_or_b32 exec_lo, exec_lo, s3
.LBB58_97:
	s_delay_alu instid0(SALU_CYCLE_1)
	s_or_b32 exec_lo, exec_lo, s2
.LBB58_98:
	s_delay_alu instid0(SALU_CYCLE_1)
	s_or_b32 exec_lo, exec_lo, s1
	s_cmpk_lt_i32 s25, 0x81
	s_waitcnt_vscnt null, 0x0
	s_barrier
	buffer_gl0_inv
	ds_store_b32 v7, v3
	s_waitcnt lgkmcnt(0)
	s_barrier
	buffer_gl0_inv
	s_cbranch_scc1 .LBB58_100
; %bb.99:
	ds_load_b32 v4, v7 offset:512
	s_waitcnt lgkmcnt(0)
	s_barrier
	buffer_gl0_inv
	v_add_f32_e32 v3, v3, v4
	ds_store_b32 v7, v3
.LBB58_100:
	s_cmpk_lt_i32 s25, 0x41
	s_waitcnt lgkmcnt(0)
	s_barrier
	buffer_gl0_inv
	s_cbranch_scc1 .LBB58_102
; %bb.101:
	ds_load_b32 v4, v7 offset:256
	s_waitcnt lgkmcnt(0)
	s_barrier
	buffer_gl0_inv
	v_add_f32_e32 v3, v3, v4
	ds_store_b32 v7, v3
.LBB58_102:
	s_cmp_lt_i32 s25, 33
	s_waitcnt lgkmcnt(0)
	s_barrier
	buffer_gl0_inv
	s_cbranch_scc1 .LBB58_104
; %bb.103:
	ds_load_b32 v4, v7 offset:128
	s_waitcnt lgkmcnt(0)
	s_barrier
	buffer_gl0_inv
	v_add_f32_e32 v3, v3, v4
	ds_store_b32 v7, v3
.LBB58_104:
	s_cmp_lt_i32 s25, 17
	;; [unrolled: 13-line block ×4, first 2 shown]
	s_waitcnt lgkmcnt(0)
	s_barrier
	buffer_gl0_inv
	s_cbranch_scc1 .LBB58_110
; %bb.109:
	ds_load_b32 v4, v7 offset:16
	s_waitcnt lgkmcnt(0)
	s_barrier
	buffer_gl0_inv
	v_add_f32_e32 v3, v3, v4
	ds_store_b32 v7, v3
.LBB58_110:
	s_cmp_eq_u32 s25, 2
	s_waitcnt lgkmcnt(0)
	s_barrier
	buffer_gl0_inv
	s_cbranch_scc1 .LBB58_112
; %bb.111:
	ds_load_b32 v4, v7 offset:8
	s_waitcnt lgkmcnt(0)
	s_barrier
	buffer_gl0_inv
	v_add_f32_e32 v3, v3, v4
	ds_store_b32 v7, v3
.LBB58_112:
	s_waitcnt lgkmcnt(0)
	s_barrier
	buffer_gl0_inv
	ds_load_b32 v4, v7 offset:4
	v_cmp_eq_u32_e64 s0, 0, v0
	s_xor_b32 s1, vcc_lo, -1
	s_waitcnt lgkmcnt(0)
	s_barrier
	buffer_gl0_inv
	s_and_b32 s0, s0, s1
	v_add_f32_e32 v3, v3, v4
	ds_store_b32 v7, v3
	s_and_saveexec_b32 s1, s0
	s_cbranch_execz .LBB58_116
; %bb.113:
	v_cmp_eq_f32_e64 s0, s24, 0
	v_lshlrev_b64 v[0:1], 2, v[1:2]
	s_delay_alu instid0(VALU_DEP_2)
	s_and_b32 vcc_lo, exec_lo, s0
	s_cbranch_vccnz .LBB58_115
; %bb.114:
	s_delay_alu instid0(VALU_DEP_1) | instskip(NEXT) | instid1(VALU_DEP_2)
	v_add_co_u32 v4, vcc_lo, s26, v0
	v_add_co_ci_u32_e32 v5, vcc_lo, s27, v1, vcc_lo
	global_load_b32 v2, v[4:5], off
	s_waitcnt vmcnt(0)
	v_fmac_f32_e32 v3, s24, v2
.LBB58_115:
	s_delay_alu instid0(VALU_DEP_1) | instskip(NEXT) | instid1(VALU_DEP_2)
	v_add_co_u32 v0, vcc_lo, s26, v0
	v_add_co_ci_u32_e32 v1, vcc_lo, s27, v1, vcc_lo
	global_store_b32 v[0:1], v3, off
.LBB58_116:
	s_nop 0
	s_sendmsg sendmsg(MSG_DEALLOC_VGPRS)
	s_endpgm
	.section	.rodata,"a",@progbits
	.p2align	6, 0x0
	.amdhsa_kernel _ZN9rocsparseL22csrmvn_adaptive_kernelIliaaffEEvbT_PKS1_PjPKT0_NS_24const_host_device_scalarIT4_EES3_S7_PKT1_PKT2_SA_PT3_21rocsparse_index_base_b
		.amdhsa_group_segment_fixed_size 4096
		.amdhsa_private_segment_fixed_size 0
		.amdhsa_kernarg_size 104
		.amdhsa_user_sgpr_count 15
		.amdhsa_user_sgpr_dispatch_ptr 0
		.amdhsa_user_sgpr_queue_ptr 0
		.amdhsa_user_sgpr_kernarg_segment_ptr 1
		.amdhsa_user_sgpr_dispatch_id 0
		.amdhsa_user_sgpr_private_segment_size 0
		.amdhsa_wavefront_size32 1
		.amdhsa_uses_dynamic_stack 0
		.amdhsa_enable_private_segment 0
		.amdhsa_system_sgpr_workgroup_id_x 1
		.amdhsa_system_sgpr_workgroup_id_y 0
		.amdhsa_system_sgpr_workgroup_id_z 0
		.amdhsa_system_sgpr_workgroup_info 0
		.amdhsa_system_vgpr_workitem_id 0
		.amdhsa_next_free_vgpr 16
		.amdhsa_next_free_sgpr 50
		.amdhsa_reserve_vcc 1
		.amdhsa_float_round_mode_32 0
		.amdhsa_float_round_mode_16_64 0
		.amdhsa_float_denorm_mode_32 3
		.amdhsa_float_denorm_mode_16_64 3
		.amdhsa_dx10_clamp 1
		.amdhsa_ieee_mode 1
		.amdhsa_fp16_overflow 0
		.amdhsa_workgroup_processor_mode 1
		.amdhsa_memory_ordered 1
		.amdhsa_forward_progress 0
		.amdhsa_shared_vgpr_count 0
		.amdhsa_exception_fp_ieee_invalid_op 0
		.amdhsa_exception_fp_denorm_src 0
		.amdhsa_exception_fp_ieee_div_zero 0
		.amdhsa_exception_fp_ieee_overflow 0
		.amdhsa_exception_fp_ieee_underflow 0
		.amdhsa_exception_fp_ieee_inexact 0
		.amdhsa_exception_int_div_zero 0
	.end_amdhsa_kernel
	.section	.text._ZN9rocsparseL22csrmvn_adaptive_kernelIliaaffEEvbT_PKS1_PjPKT0_NS_24const_host_device_scalarIT4_EES3_S7_PKT1_PKT2_SA_PT3_21rocsparse_index_base_b,"axG",@progbits,_ZN9rocsparseL22csrmvn_adaptive_kernelIliaaffEEvbT_PKS1_PjPKT0_NS_24const_host_device_scalarIT4_EES3_S7_PKT1_PKT2_SA_PT3_21rocsparse_index_base_b,comdat
.Lfunc_end58:
	.size	_ZN9rocsparseL22csrmvn_adaptive_kernelIliaaffEEvbT_PKS1_PjPKT0_NS_24const_host_device_scalarIT4_EES3_S7_PKT1_PKT2_SA_PT3_21rocsparse_index_base_b, .Lfunc_end58-_ZN9rocsparseL22csrmvn_adaptive_kernelIliaaffEEvbT_PKS1_PjPKT0_NS_24const_host_device_scalarIT4_EES3_S7_PKT1_PKT2_SA_PT3_21rocsparse_index_base_b
                                        ; -- End function
	.section	.AMDGPU.csdata,"",@progbits
; Kernel info:
; codeLenInByte = 4500
; NumSgprs: 52
; NumVgprs: 16
; ScratchSize: 0
; MemoryBound: 0
; FloatMode: 240
; IeeeMode: 1
; LDSByteSize: 4096 bytes/workgroup (compile time only)
; SGPRBlocks: 6
; VGPRBlocks: 1
; NumSGPRsForWavesPerEU: 52
; NumVGPRsForWavesPerEU: 16
; Occupancy: 16
; WaveLimiterHint : 1
; COMPUTE_PGM_RSRC2:SCRATCH_EN: 0
; COMPUTE_PGM_RSRC2:USER_SGPR: 15
; COMPUTE_PGM_RSRC2:TRAP_HANDLER: 0
; COMPUTE_PGM_RSRC2:TGID_X_EN: 1
; COMPUTE_PGM_RSRC2:TGID_Y_EN: 0
; COMPUTE_PGM_RSRC2:TGID_Z_EN: 0
; COMPUTE_PGM_RSRC2:TIDIG_COMP_CNT: 0
	.section	.text._ZN9rocsparseL27csrmvn_symm_adaptive_kernelIliaaffEEvbT_S1_PKS1_NS_24const_host_device_scalarIT4_EES3_PKT0_PKT1_PKT2_S6_PT3_21rocsparse_index_base_b,"axG",@progbits,_ZN9rocsparseL27csrmvn_symm_adaptive_kernelIliaaffEEvbT_S1_PKS1_NS_24const_host_device_scalarIT4_EES3_PKT0_PKT1_PKT2_S6_PT3_21rocsparse_index_base_b,comdat
	.globl	_ZN9rocsparseL27csrmvn_symm_adaptive_kernelIliaaffEEvbT_S1_PKS1_NS_24const_host_device_scalarIT4_EES3_PKT0_PKT1_PKT2_S6_PT3_21rocsparse_index_base_b ; -- Begin function _ZN9rocsparseL27csrmvn_symm_adaptive_kernelIliaaffEEvbT_S1_PKS1_NS_24const_host_device_scalarIT4_EES3_PKT0_PKT1_PKT2_S6_PT3_21rocsparse_index_base_b
	.p2align	8
	.type	_ZN9rocsparseL27csrmvn_symm_adaptive_kernelIliaaffEEvbT_S1_PKS1_NS_24const_host_device_scalarIT4_EES3_PKT0_PKT1_PKT2_S6_PT3_21rocsparse_index_base_b,@function
_ZN9rocsparseL27csrmvn_symm_adaptive_kernelIliaaffEEvbT_S1_PKS1_NS_24const_host_device_scalarIT4_EES3_PKT0_PKT1_PKT2_S6_PT3_21rocsparse_index_base_b: ; @_ZN9rocsparseL27csrmvn_symm_adaptive_kernelIliaaffEEvbT_S1_PKS1_NS_24const_host_device_scalarIT4_EES3_PKT0_PKT1_PKT2_S6_PT3_21rocsparse_index_base_b
; %bb.0:
	s_clause 0x2
	s_load_b64 s[24:25], s[0:1], 0x58
	s_load_b64 s[30:31], s[0:1], 0x20
	;; [unrolled: 1-line block ×3, first 2 shown]
	s_mov_b32 s2, s15
	s_waitcnt lgkmcnt(0)
	s_bitcmp1_b32 s25, 0
	s_cselect_b32 s3, -1, 0
	s_delay_alu instid0(SALU_CYCLE_1)
	s_and_b32 vcc_lo, exec_lo, s3
	s_xor_b32 s3, s3, -1
	s_cbranch_vccnz .LBB59_2
; %bb.1:
	s_load_b32 s30, s[30:31], 0x0
.LBB59_2:
	s_and_not1_b32 vcc_lo, exec_lo, s3
	s_cbranch_vccnz .LBB59_4
; %bb.3:
	s_load_b32 s4, s[4:5], 0x0
.LBB59_4:
	s_waitcnt lgkmcnt(0)
	v_cmp_neq_f32_e64 s3, s30, 0
	v_cmp_neq_f32_e64 s4, s4, 1.0
	s_delay_alu instid0(VALU_DEP_1) | instskip(NEXT) | instid1(SALU_CYCLE_1)
	s_or_b32 s3, s3, s4
	s_and_not1_b32 vcc_lo, exec_lo, s3
	s_cbranch_vccnz .LBB59_167
; %bb.5:
	s_load_b64 s[4:5], s[0:1], 0x18
	s_ashr_i32 s3, s2, 31
	v_lshlrev_b32_e32 v15, 2, v0
	v_mov_b32_e32 v1, 0
	s_lshl_b64 s[2:3], s[2:3], 3
	ds_store_2addr_stride64_b32 v15, v1, v1 offset1:4
	ds_store_2addr_stride64_b32 v15, v1, v1 offset0:8 offset1:12
	s_waitcnt lgkmcnt(0)
	s_barrier
	buffer_gl0_inv
	s_add_u32 s2, s4, s2
	s_addc_u32 s3, s5, s3
	s_load_b128 s[16:19], s[2:3], 0x0
	s_clause 0x1
	s_load_b256 s[8:15], s[0:1], 0x28
	s_load_b64 s[20:21], s[0:1], 0x50
	s_waitcnt lgkmcnt(0)
	s_sub_u32 s22, s18, s16
	s_subb_u32 s23, s19, s17
	s_delay_alu instid0(SALU_CYCLE_1) | instskip(NEXT) | instid1(VALU_DEP_1)
	v_cmp_gt_i64_e64 s2, s[22:23], 2
	s_and_b32 vcc_lo, exec_lo, s2
	s_mov_b32 s2, -1
	s_cbranch_vccnz .LBB59_40
; %bb.6:
	v_cmp_gt_i64_e64 s2, s[18:19], s[16:17]
	v_sub_co_u32 v5, s3, v0, s24
	s_delay_alu instid0(VALU_DEP_1) | instskip(NEXT) | instid1(VALU_DEP_3)
	v_sub_co_ci_u32_e64 v6, null, 0, 0, s3
	s_and_b32 vcc_lo, exec_lo, s2
	s_mov_b32 s2, 0
	s_cbranch_vccnz .LBB59_8
; %bb.7:
	s_lshl_b64 s[4:5], s[16:17], 3
	s_delay_alu instid0(SALU_CYCLE_1)
	s_add_u32 s4, s8, s4
	s_addc_u32 s5, s9, s5
	s_load_b64 s[26:27], s[4:5], 0x0
	s_and_not1_b32 vcc_lo, exec_lo, s2
	s_cbranch_vccz .LBB59_9
	s_branch .LBB59_29
.LBB59_8:
                                        ; implicit-def: $sgpr26_sgpr27
.LBB59_9:
	s_lshl_b64 s[2:3], s[16:17], 3
	v_cmp_gt_u32_e64 s4, 16, v0
	s_add_u32 s2, s8, s2
	s_addc_u32 s3, s9, s3
	v_cmp_gt_u32_e64 s5, 4, v0
	s_waitcnt lgkmcnt(0)
	s_load_b64 s[26:27], s[2:3], 0x0
	v_cmp_gt_u32_e64 s2, 0x100, v0
	v_cmp_gt_u32_e64 s3, 64, v0
	v_cmp_eq_u32_e64 s6, 0, v0
	v_mov_b32_e32 v7, 0
	s_add_u32 s25, s8, 8
	s_addc_u32 s31, s9, 0
	s_mov_b64 s[28:29], s[16:17]
	s_waitcnt lgkmcnt(0)
	s_mov_b64 s[34:35], s[26:27]
	s_branch .LBB59_11
.LBB59_10:                              ;   in Loop: Header=BB59_11 Depth=1
	s_or_b32 exec_lo, exec_lo, s7
	s_add_u32 s28, s28, 1
	s_addc_u32 s29, s29, 0
	s_delay_alu instid0(SALU_CYCLE_1) | instskip(NEXT) | instid1(VALU_DEP_1)
	v_cmp_ge_i64_e64 s7, s[28:29], s[18:19]
	s_and_b32 vcc_lo, exec_lo, s7
	s_cbranch_vccnz .LBB59_29
.LBB59_11:                              ; =>This Loop Header: Depth=1
                                        ;     Child Loop BB59_13 Depth 2
                                        ;     Child Loop BB59_28 Depth 2
	s_lshl_b64 s[36:37], s[28:29], 3
	s_mov_b64 s[38:39], s[34:35]
	s_add_u32 s36, s25, s36
	s_addc_u32 s37, s31, s37
	v_add_co_u32 v1, vcc_lo, s38, v5
	s_load_b64 s[34:35], s[36:37], 0x0
	v_add_co_ci_u32_e32 v2, vcc_lo, s39, v6, vcc_lo
	v_mov_b32_e32 v8, 0
	s_mov_b32 s33, exec_lo
	s_waitcnt lgkmcnt(0)
	s_sub_u32 s36, s34, s24
	s_subb_u32 s37, s35, 0
	s_delay_alu instid0(SALU_CYCLE_1)
	v_cmpx_gt_i64_e64 s[36:37], v[1:2]
	s_cbranch_execz .LBB59_15
; %bb.12:                               ;   in Loop: Header=BB59_11 Depth=1
	v_lshlrev_b64 v[3:4], 2, v[1:2]
	v_mov_b32_e32 v8, 0
	s_mov_b32 s38, 0
	s_delay_alu instid0(VALU_DEP_2) | instskip(NEXT) | instid1(VALU_DEP_3)
	v_add_co_u32 v3, vcc_lo, s10, v3
	v_add_co_ci_u32_e32 v4, vcc_lo, s11, v4, vcc_lo
	.p2align	6
.LBB59_13:                              ;   Parent Loop BB59_11 Depth=1
                                        ; =>  This Inner Loop Header: Depth=2
	global_load_b32 v9, v[3:4], off
	v_add_co_u32 v3, s7, 0x400, v3
	s_delay_alu instid0(VALU_DEP_1) | instskip(SKIP_4) | instid1(VALU_DEP_3)
	v_add_co_ci_u32_e64 v4, s7, 0, v4, s7
	s_waitcnt vmcnt(0)
	v_subrev_nc_u32_e32 v11, s24, v9
	v_add_co_u32 v9, vcc_lo, s12, v1
	v_add_co_ci_u32_e32 v10, vcc_lo, s13, v2, vcc_lo
	v_ashrrev_i32_e32 v12, 31, v11
	v_add_co_u32 v11, vcc_lo, s14, v11
	s_delay_alu instid0(VALU_DEP_2) | instskip(SKIP_4) | instid1(VALU_DEP_1)
	v_add_co_ci_u32_e32 v12, vcc_lo, s15, v12, vcc_lo
	v_add_co_u32 v1, vcc_lo, 0x100, v1
	global_load_i8 v9, v[9:10], off
	global_load_i8 v10, v[11:12], off
	v_add_co_ci_u32_e32 v2, vcc_lo, 0, v2, vcc_lo
	v_cmp_le_i64_e32 vcc_lo, s[36:37], v[1:2]
	s_or_b32 s38, vcc_lo, s38
	s_waitcnt vmcnt(1)
	v_cvt_f32_i32_e32 v9, v9
	s_waitcnt vmcnt(0)
	v_cvt_f32_i32_e32 v10, v10
	s_delay_alu instid0(VALU_DEP_1)
	v_fmac_f32_e32 v8, v9, v10
	s_and_not1_b32 exec_lo, exec_lo, s38
	s_cbranch_execnz .LBB59_13
; %bb.14:                               ;   in Loop: Header=BB59_11 Depth=1
	s_or_b32 exec_lo, exec_lo, s38
.LBB59_15:                              ;   in Loop: Header=BB59_11 Depth=1
	s_delay_alu instid0(SALU_CYCLE_1)
	s_or_b32 exec_lo, exec_lo, s33
	ds_store_b32 v15, v8
	s_waitcnt lgkmcnt(0)
	s_barrier
	buffer_gl0_inv
	s_and_saveexec_b32 s7, s2
	s_cbranch_execz .LBB59_17
; %bb.16:                               ;   in Loop: Header=BB59_11 Depth=1
	ds_load_2addr_stride64_b32 v[1:2], v15 offset1:4
	ds_load_2addr_stride64_b32 v[3:4], v15 offset0:8 offset1:12
	s_waitcnt lgkmcnt(0)
	v_add_f32_e32 v2, v2, v3
	s_delay_alu instid0(VALU_DEP_1) | instskip(NEXT) | instid1(VALU_DEP_1)
	v_add_f32_e32 v2, v2, v4
	v_add_f32_e32 v1, v1, v2
	ds_store_b32 v15, v1
.LBB59_17:                              ;   in Loop: Header=BB59_11 Depth=1
	s_or_b32 exec_lo, exec_lo, s7
	s_waitcnt lgkmcnt(0)
	s_barrier
	buffer_gl0_inv
	s_and_saveexec_b32 s7, s3
	s_cbranch_execz .LBB59_19
; %bb.18:                               ;   in Loop: Header=BB59_11 Depth=1
	ds_load_2addr_stride64_b32 v[1:2], v15 offset1:1
	ds_load_2addr_stride64_b32 v[3:4], v15 offset0:2 offset1:3
	s_waitcnt lgkmcnt(0)
	v_add_f32_e32 v2, v2, v3
	s_delay_alu instid0(VALU_DEP_1) | instskip(NEXT) | instid1(VALU_DEP_1)
	v_add_f32_e32 v2, v2, v4
	v_add_f32_e32 v1, v1, v2
	ds_store_b32 v15, v1
.LBB59_19:                              ;   in Loop: Header=BB59_11 Depth=1
	s_or_b32 exec_lo, exec_lo, s7
	s_waitcnt lgkmcnt(0)
	s_barrier
	buffer_gl0_inv
	s_and_saveexec_b32 s7, s4
	s_cbranch_execz .LBB59_21
; %bb.20:                               ;   in Loop: Header=BB59_11 Depth=1
	ds_load_2addr_b32 v[1:2], v15 offset1:16
	ds_load_2addr_b32 v[3:4], v15 offset0:32 offset1:48
	s_waitcnt lgkmcnt(0)
	v_add_f32_e32 v2, v2, v3
	s_delay_alu instid0(VALU_DEP_1) | instskip(NEXT) | instid1(VALU_DEP_1)
	v_add_f32_e32 v2, v2, v4
	v_add_f32_e32 v1, v1, v2
	ds_store_b32 v15, v1
.LBB59_21:                              ;   in Loop: Header=BB59_11 Depth=1
	s_or_b32 exec_lo, exec_lo, s7
	s_waitcnt lgkmcnt(0)
	s_barrier
	buffer_gl0_inv
	s_and_saveexec_b32 s7, s5
	s_cbranch_execz .LBB59_23
; %bb.22:                               ;   in Loop: Header=BB59_11 Depth=1
	ds_load_2addr_b32 v[1:2], v15 offset1:4
	ds_load_2addr_b32 v[3:4], v15 offset0:8 offset1:12
	s_waitcnt lgkmcnt(0)
	v_add_f32_e32 v2, v2, v3
	s_delay_alu instid0(VALU_DEP_1) | instskip(NEXT) | instid1(VALU_DEP_1)
	v_add_f32_e32 v2, v2, v4
	v_add_f32_e32 v1, v1, v2
	ds_store_b32 v15, v1
.LBB59_23:                              ;   in Loop: Header=BB59_11 Depth=1
	s_or_b32 exec_lo, exec_lo, s7
	s_waitcnt lgkmcnt(0)
	s_barrier
	buffer_gl0_inv
	s_and_saveexec_b32 s7, s6
	s_cbranch_execz .LBB59_25
; %bb.24:                               ;   in Loop: Header=BB59_11 Depth=1
	ds_load_2addr_b32 v[1:2], v7 offset0:1 offset1:2
	ds_load_b32 v3, v7 offset:12
	ds_load_b32 v4, v15
	s_waitcnt lgkmcnt(2)
	v_add_f32_e32 v1, v1, v2
	s_waitcnt lgkmcnt(1)
	s_delay_alu instid0(VALU_DEP_1) | instskip(SKIP_1) | instid1(VALU_DEP_1)
	v_add_f32_e32 v1, v1, v3
	s_waitcnt lgkmcnt(0)
	v_add_f32_e32 v1, v4, v1
	ds_store_b32 v15, v1
.LBB59_25:                              ;   in Loop: Header=BB59_11 Depth=1
	s_or_b32 exec_lo, exec_lo, s7
	s_waitcnt lgkmcnt(0)
	s_barrier
	buffer_gl0_inv
	s_and_saveexec_b32 s7, s6
	s_cbranch_execz .LBB59_10
; %bb.26:                               ;   in Loop: Header=BB59_11 Depth=1
	s_mov_b32 s33, exec_lo
	s_delay_alu instid0(SALU_CYCLE_1) | instskip(NEXT) | instid1(VALU_DEP_1)
	v_mbcnt_lo_u32_b32 v1, s33, 0
	v_cmp_eq_u32_e32 vcc_lo, 0, v1
	s_and_b32 s36, exec_lo, vcc_lo
	s_delay_alu instid0(SALU_CYCLE_1)
	s_mov_b32 exec_lo, s36
	s_cbranch_execz .LBB59_10
; %bb.27:                               ;   in Loop: Header=BB59_11 Depth=1
	s_lshl_b64 s[36:37], s[28:29], 2
	ds_load_b32 v1, v7
	s_add_u32 s36, s20, s36
	s_addc_u32 s37, s21, s37
	s_bcnt1_i32_b32 s33, s33
	global_load_b32 v2, v7, s[36:37]
	v_cvt_f32_ubyte0_e32 v3, s33
	s_mov_b32 s33, 0
	s_waitcnt lgkmcnt(0)
	v_mul_f32_e32 v1, s30, v1
	s_delay_alu instid0(VALU_DEP_1)
	v_mul_f32_e32 v3, v1, v3
.LBB59_28:                              ;   Parent Loop BB59_11 Depth=1
                                        ; =>  This Inner Loop Header: Depth=2
	s_waitcnt vmcnt(0)
	s_delay_alu instid0(VALU_DEP_1)
	v_add_f32_e32 v1, v2, v3
	global_atomic_cmpswap_b32 v1, v7, v[1:2], s[36:37] glc
	s_waitcnt vmcnt(0)
	v_cmp_eq_u32_e32 vcc_lo, v1, v2
	v_mov_b32_e32 v2, v1
	s_or_b32 s33, vcc_lo, s33
	s_delay_alu instid0(SALU_CYCLE_1)
	s_and_not1_b32 exec_lo, exec_lo, s33
	s_cbranch_execnz .LBB59_28
	s_branch .LBB59_10
.LBB59_29:
	s_lshl_b64 s[2:3], s[18:19], 3
	s_waitcnt lgkmcnt(0)
	v_add_co_u32 v1, vcc_lo, s26, v5
	s_add_u32 s2, s8, s2
	s_addc_u32 s3, s9, s3
	v_add_co_ci_u32_e32 v2, vcc_lo, s27, v6, vcc_lo
	s_load_b64 s[2:3], s[2:3], 0x0
	s_waitcnt lgkmcnt(0)
	s_sub_u32 s4, s2, s24
	s_subb_u32 s5, s3, 0
	s_mov_b32 s3, exec_lo
	v_cmpx_gt_i64_e64 s[4:5], v[1:2]
	s_cbranch_execz .LBB59_39
; %bb.30:
	s_add_u32 s6, s18, -1
	s_addc_u32 s7, s19, -1
	s_add_u32 s26, s18, -2
	v_cmp_gt_i64_e64 s2, s[6:7], s[16:17]
	s_addc_u32 s27, s19, -1
	s_delay_alu instid0(SALU_CYCLE_1)
	s_cmp_lg_u64 s[26:27], s[16:17]
	s_mov_b32 s26, 0
	s_cselect_b32 s25, -1, 0
	s_delay_alu instid0(VALU_DEP_1) | instid1(SALU_CYCLE_1)
	s_and_b32 s25, s2, s25
	s_branch .LBB59_32
.LBB59_31:                              ;   in Loop: Header=BB59_32 Depth=1
	s_or_b32 exec_lo, exec_lo, s2
	v_add_co_u32 v1, vcc_lo, 0x100, v1
	v_add_co_ci_u32_e32 v2, vcc_lo, 0, v2, vcc_lo
	s_delay_alu instid0(VALU_DEP_1) | instskip(SKIP_1) | instid1(SALU_CYCLE_1)
	v_cmp_le_i64_e32 vcc_lo, s[4:5], v[1:2]
	s_or_b32 s26, vcc_lo, s26
	s_and_not1_b32 exec_lo, exec_lo, s26
	s_cbranch_execz .LBB59_39
.LBB59_32:                              ; =>This Loop Header: Depth=1
                                        ;     Child Loop BB59_34 Depth 2
                                        ;     Child Loop BB59_38 Depth 2
	v_dual_mov_b32 v3, s16 :: v_dual_mov_b32 v4, s17
	v_dual_mov_b32 v5, s6 :: v_dual_mov_b32 v6, s7
	s_and_not1_b32 vcc_lo, exec_lo, s25
	s_cbranch_vccnz .LBB59_36
; %bb.33:                               ;   in Loop: Header=BB59_32 Depth=1
	v_dual_mov_b32 v3, s16 :: v_dual_mov_b32 v4, s17
	v_dual_mov_b32 v5, s6 :: v_dual_mov_b32 v6, s7
	s_mov_b32 s27, 0
	s_set_inst_prefetch_distance 0x1
	.p2align	6
.LBB59_34:                              ;   Parent Loop BB59_32 Depth=1
                                        ; =>  This Inner Loop Header: Depth=2
	s_delay_alu instid0(VALU_DEP_1) | instskip(NEXT) | instid1(VALU_DEP_2)
	v_add_co_u32 v7, vcc_lo, v5, v3
	v_add_co_ci_u32_e32 v8, vcc_lo, v6, v4, vcc_lo
	s_delay_alu instid0(VALU_DEP_1) | instskip(NEXT) | instid1(VALU_DEP_1)
	v_lshrrev_b32_e32 v9, 31, v8
	v_add_co_u32 v7, vcc_lo, v7, v9
	v_add_co_ci_u32_e32 v8, vcc_lo, 0, v8, vcc_lo
	s_delay_alu instid0(VALU_DEP_1) | instskip(NEXT) | instid1(VALU_DEP_1)
	v_ashrrev_i64 v[7:8], 1, v[7:8]
	v_lshlrev_b64 v[9:10], 3, v[7:8]
	s_delay_alu instid0(VALU_DEP_1) | instskip(NEXT) | instid1(VALU_DEP_2)
	v_add_co_u32 v9, vcc_lo, s8, v9
	v_add_co_ci_u32_e32 v10, vcc_lo, s9, v10, vcc_lo
	global_load_b64 v[9:10], v[9:10], off
	s_waitcnt vmcnt(0)
	v_sub_co_u32 v9, vcc_lo, v9, s24
	v_subrev_co_ci_u32_e32 v10, vcc_lo, 0, v10, vcc_lo
	s_delay_alu instid0(VALU_DEP_1) | instskip(SKIP_2) | instid1(VALU_DEP_2)
	v_cmp_gt_i64_e32 vcc_lo, v[9:10], v[1:2]
	v_dual_cndmask_b32 v6, v6, v8 :: v_dual_cndmask_b32 v5, v5, v7
	v_dual_cndmask_b32 v4, v8, v4 :: v_dual_cndmask_b32 v3, v7, v3
	v_add_co_u32 v7, vcc_lo, v5, -1
	s_delay_alu instid0(VALU_DEP_3) | instskip(NEXT) | instid1(VALU_DEP_3)
	v_add_co_ci_u32_e32 v8, vcc_lo, -1, v6, vcc_lo
	v_cmp_ge_i64_e32 vcc_lo, v[3:4], v[5:6]
	s_delay_alu instid0(VALU_DEP_2) | instskip(NEXT) | instid1(VALU_DEP_1)
	v_cmp_eq_u64_e64 s2, v[3:4], v[7:8]
	s_or_b32 s2, vcc_lo, s2
	s_delay_alu instid0(SALU_CYCLE_1) | instskip(NEXT) | instid1(SALU_CYCLE_1)
	s_and_b32 s2, exec_lo, s2
	s_or_b32 s27, s2, s27
	s_delay_alu instid0(SALU_CYCLE_1)
	s_and_not1_b32 exec_lo, exec_lo, s27
	s_cbranch_execnz .LBB59_34
; %bb.35:                               ;   in Loop: Header=BB59_32 Depth=1
	s_set_inst_prefetch_distance 0x2
	s_or_b32 exec_lo, exec_lo, s27
.LBB59_36:                              ;   in Loop: Header=BB59_32 Depth=1
	s_delay_alu instid0(VALU_DEP_1) | instskip(SKIP_2) | instid1(VALU_DEP_2)
	v_lshlrev_b64 v[7:8], 3, v[5:6]
	v_lshlrev_b64 v[9:10], 2, v[1:2]
	s_mov_b32 s2, exec_lo
	v_add_co_u32 v7, vcc_lo, s8, v7
	s_delay_alu instid0(VALU_DEP_3) | instskip(NEXT) | instid1(VALU_DEP_3)
	v_add_co_ci_u32_e32 v8, vcc_lo, s9, v8, vcc_lo
	v_add_co_u32 v9, vcc_lo, s10, v9
	s_delay_alu instid0(VALU_DEP_4)
	v_add_co_ci_u32_e32 v10, vcc_lo, s11, v10, vcc_lo
	global_load_b64 v[7:8], v[7:8], off
	global_load_b32 v9, v[9:10], off
	s_waitcnt vmcnt(1)
	v_sub_co_u32 v7, vcc_lo, v7, s24
	v_subrev_co_ci_u32_e32 v8, vcc_lo, 0, v8, vcc_lo
	s_delay_alu instid0(VALU_DEP_1) | instskip(SKIP_2) | instid1(VALU_DEP_1)
	v_cmp_gt_i64_e32 vcc_lo, v[7:8], v[1:2]
	s_waitcnt vmcnt(0)
	v_subrev_nc_u32_e32 v7, s24, v9
	v_ashrrev_i32_e32 v8, 31, v7
	v_dual_cndmask_b32 v4, v6, v4 :: v_dual_cndmask_b32 v3, v5, v3
	s_delay_alu instid0(VALU_DEP_1)
	v_cmpx_ne_u64_e64 v[3:4], v[7:8]
	s_cbranch_execz .LBB59_31
; %bb.37:                               ;   in Loop: Header=BB59_32 Depth=1
	v_add_co_u32 v5, vcc_lo, s12, v1
	v_add_co_ci_u32_e32 v6, vcc_lo, s13, v2, vcc_lo
	v_add_co_u32 v3, vcc_lo, s14, v3
	v_add_co_ci_u32_e32 v4, vcc_lo, s15, v4, vcc_lo
	global_load_i8 v9, v[5:6], off
	v_lshlrev_b64 v[5:6], 2, v[7:8]
	s_mov_b32 s27, 0
	global_load_i8 v7, v[3:4], off
	v_add_co_u32 v3, vcc_lo, s20, v5
	v_add_co_ci_u32_e32 v4, vcc_lo, s21, v6, vcc_lo
	global_load_b32 v6, v[3:4], off
	s_waitcnt vmcnt(2)
	v_cvt_f32_i32_e32 v5, v9
	s_waitcnt vmcnt(1)
	v_cvt_f32_i32_e32 v7, v7
	s_delay_alu instid0(VALU_DEP_2) | instskip(NEXT) | instid1(VALU_DEP_1)
	v_mul_f32_e32 v5, s30, v5
	v_mul_f32_e32 v7, v5, v7
.LBB59_38:                              ;   Parent Loop BB59_32 Depth=1
                                        ; =>  This Inner Loop Header: Depth=2
	s_waitcnt vmcnt(0)
	s_delay_alu instid0(VALU_DEP_1)
	v_add_f32_e32 v5, v6, v7
	global_atomic_cmpswap_b32 v5, v[3:4], v[5:6], off glc
	s_waitcnt vmcnt(0)
	v_cmp_eq_u32_e32 vcc_lo, v5, v6
	v_mov_b32_e32 v6, v5
	s_or_b32 s27, vcc_lo, s27
	s_delay_alu instid0(SALU_CYCLE_1)
	s_and_not1_b32 exec_lo, exec_lo, s27
	s_cbranch_execnz .LBB59_38
	s_branch .LBB59_31
.LBB59_39:
	s_or_b32 exec_lo, exec_lo, s3
	s_mov_b32 s2, 0
.LBB59_40:
	s_delay_alu instid0(SALU_CYCLE_1)
	s_and_b32 vcc_lo, exec_lo, s2
	s_cbranch_vccz .LBB59_167
; %bb.41:
	s_load_b32 s2, s[0:1], 0x6c
	s_mov_b32 s7, 0
	s_mov_b64 s[28:29], 0
	s_waitcnt lgkmcnt(0)
	s_and_b32 s6, s2, 0xffff
	s_delay_alu instid0(SALU_CYCLE_1) | instskip(NEXT) | instid1(VALU_DEP_1)
	v_cmp_lt_u64_e64 s2, s[6:7], s[22:23]
	s_and_b32 vcc_lo, exec_lo, s2
	s_cbranch_vccnz .LBB59_43
; %bb.42:
	v_cvt_f32_u32_e32 v1, s22
	s_sub_i32 s3, 0, s22
	s_delay_alu instid0(VALU_DEP_1) | instskip(SKIP_2) | instid1(VALU_DEP_1)
	v_rcp_iflag_f32_e32 v1, v1
	s_waitcnt_depctr 0xfff
	v_mul_f32_e32 v1, 0x4f7ffffe, v1
	v_cvt_u32_f32_e32 v1, v1
	s_delay_alu instid0(VALU_DEP_1) | instskip(NEXT) | instid1(VALU_DEP_1)
	v_readfirstlane_b32 s2, v1
	s_mul_i32 s3, s3, s2
	s_delay_alu instid0(SALU_CYCLE_1) | instskip(NEXT) | instid1(SALU_CYCLE_1)
	s_mul_hi_u32 s3, s2, s3
	s_add_i32 s2, s2, s3
	s_delay_alu instid0(SALU_CYCLE_1) | instskip(NEXT) | instid1(SALU_CYCLE_1)
	s_mul_hi_u32 s2, s6, s2
	s_mul_i32 s3, s2, s22
	s_add_i32 s4, s2, 1
	s_sub_i32 s3, s6, s3
	s_delay_alu instid0(SALU_CYCLE_1)
	s_sub_i32 s5, s3, s22
	s_cmp_ge_u32 s3, s22
	s_cselect_b32 s2, s4, s2
	s_cselect_b32 s3, s5, s3
	s_add_i32 s4, s2, 1
	s_cmp_ge_u32 s3, s22
	s_cselect_b32 s28, s4, s2
.LBB59_43:
	s_lshl_b64 s[2:3], s[16:17], 3
	v_sub_co_u32 v1, s7, v0, s24
	s_add_u32 s26, s8, s2
	s_addc_u32 s27, s9, s3
	s_load_b64 s[4:5], s[26:27], 0x0
	s_load_b128 s[0:3], s[0:1], 0x8
	v_sub_co_ci_u32_e64 v3, null, 0, 0, s7
	s_waitcnt lgkmcnt(0)
	v_add_co_u32 v2, vcc_lo, s4, v1
	s_delay_alu instid0(VALU_DEP_2) | instskip(SKIP_1) | instid1(VALU_DEP_3)
	v_add_co_ci_u32_e32 v3, vcc_lo, s5, v3, vcc_lo
	v_mov_b32_e32 v1, 0
	v_add_co_u32 v4, vcc_lo, 0x300, v2
	s_delay_alu instid0(VALU_DEP_3) | instskip(NEXT) | instid1(VALU_DEP_1)
	v_add_co_ci_u32_e32 v5, vcc_lo, 0, v3, vcc_lo
	v_cmp_le_i64_e32 vcc_lo, s[0:1], v[4:5]
	s_and_saveexec_b32 s0, vcc_lo
	s_delay_alu instid0(SALU_CYCLE_1)
	s_xor_b32 s1, exec_lo, s0
	s_cbranch_execnz .LBB59_46
; %bb.44:
	s_and_not1_saveexec_b32 s1, s1
	s_cbranch_execnz .LBB59_50
.LBB59_45:
	s_or_b32 exec_lo, exec_lo, s1
	s_delay_alu instid0(SALU_CYCLE_1)
	s_mov_b32 s1, exec_lo
	v_cmpx_gt_i64_e64 s[2:3], v[0:1]
	s_cbranch_execnz .LBB59_51
	s_branch .LBB59_53
.LBB59_46:
	s_lshl_b64 s[34:35], s[18:19], 3
	s_mov_b32 s7, exec_lo
	s_add_u32 s34, s8, s34
	s_addc_u32 s35, s9, s35
	s_load_b64 s[34:35], s[34:35], 0x0
	s_waitcnt lgkmcnt(0)
	s_sub_u32 s34, s34, s4
	s_subb_u32 s35, s35, s5
	s_delay_alu instid0(SALU_CYCLE_1)
	v_cmpx_gt_i64_e64 s[34:35], v[0:1]
	s_cbranch_execz .LBB59_49
; %bb.47:
	v_dual_mov_b32 v8, v15 :: v_dual_mov_b32 v7, v1
	s_sub_u32 s0, s4, s24
	v_mov_b32_e32 v6, v0
	s_subb_u32 s29, s5, 0
	s_add_u32 s25, s12, s0
	s_addc_u32 s29, s13, s29
	s_mov_b32 s31, 0
	.p2align	6
.LBB59_48:                              ; =>This Inner Loop Header: Depth=1
	v_add_co_u32 v9, s0, s25, v6
	s_delay_alu instid0(VALU_DEP_1) | instskip(SKIP_1) | instid1(VALU_DEP_1)
	v_add_co_ci_u32_e64 v10, s0, s29, v7, s0
	v_add_co_u32 v6, s0, 0x100, v6
	v_add_co_ci_u32_e64 v7, s0, 0, v7, s0
	global_load_i8 v9, v[9:10], off
	v_cmp_le_i64_e64 s0, s[34:35], v[6:7]
	s_delay_alu instid0(VALU_DEP_1) | instskip(SKIP_2) | instid1(VALU_DEP_1)
	s_or_b32 s31, s0, s31
	s_waitcnt vmcnt(0)
	v_cvt_f32_i32_e32 v9, v9
	v_mul_f32_e32 v9, s30, v9
	ds_store_b32 v8, v9
	v_add_nc_u32_e32 v8, 0x400, v8
	s_and_not1_b32 exec_lo, exec_lo, s31
	s_cbranch_execnz .LBB59_48
.LBB59_49:
	s_or_b32 exec_lo, exec_lo, s7
	s_and_not1_saveexec_b32 s1, s1
	s_cbranch_execz .LBB59_45
.LBB59_50:
	v_add_co_u32 v6, s0, s12, v2
	s_delay_alu instid0(VALU_DEP_1)
	v_add_co_ci_u32_e64 v7, s0, s13, v3, s0
	s_clause 0x3
	global_load_i8 v8, v[6:7], off
	global_load_i8 v9, v[6:7], off offset:256
	global_load_i8 v10, v[6:7], off offset:512
	;; [unrolled: 1-line block ×3, first 2 shown]
	s_waitcnt vmcnt(3)
	v_cvt_f32_i32_e32 v7, v8
	s_waitcnt vmcnt(2)
	v_cvt_f32_i32_e32 v8, v9
	;; [unrolled: 2-line block ×4, first 2 shown]
	v_dual_mul_f32 v7, s30, v7 :: v_dual_mul_f32 v8, s30, v8
	s_delay_alu instid0(VALU_DEP_2) | instskip(SKIP_3) | instid1(SALU_CYCLE_1)
	v_dual_mul_f32 v9, s30, v9 :: v_dual_mul_f32 v6, s30, v6
	ds_store_2addr_stride64_b32 v15, v7, v8 offset1:4
	ds_store_2addr_stride64_b32 v15, v9, v6 offset0:8 offset1:12
	s_or_b32 exec_lo, exec_lo, s1
	s_mov_b32 s1, exec_lo
	v_cmpx_gt_i64_e64 s[2:3], v[0:1]
	s_cbranch_execz .LBB59_53
.LBB59_51:
	v_mov_b32_e32 v7, v1
	v_lshl_add_u32 v8, v0, 2, 0x1000
	v_dual_mov_b32 v9, 0 :: v_dual_mov_b32 v6, v0
	s_mov_b32 s7, 0
.LBB59_52:                              ; =>This Inner Loop Header: Depth=1
	s_delay_alu instid0(VALU_DEP_1) | instskip(NEXT) | instid1(VALU_DEP_1)
	v_add_co_u32 v6, s0, 0x100, v6
	v_add_co_ci_u32_e64 v7, s0, 0, v7, s0
	ds_store_b32 v8, v9
	v_add_nc_u32_e32 v8, 0x400, v8
	v_cmp_le_i64_e64 s0, s[2:3], v[6:7]
	s_delay_alu instid0(VALU_DEP_1) | instskip(NEXT) | instid1(SALU_CYCLE_1)
	s_or_b32 s7, s0, s7
	s_and_not1_b32 exec_lo, exec_lo, s7
	s_cbranch_execnz .LBB59_52
.LBB59_53:
	s_or_b32 exec_lo, exec_lo, s1
	v_cmp_ge_i64_e64 s0, s[18:19], s[2:3]
	s_sub_u32 s1, s18, s2
	s_subb_u32 s7, s19, s3
	s_waitcnt lgkmcnt(0)
	s_barrier
	buffer_gl0_inv
	s_and_b32 s0, s0, exec_lo
	s_cselect_b32 s13, s7, 0
	s_cselect_b32 s12, s1, 0
	s_and_saveexec_b32 s0, vcc_lo
	s_delay_alu instid0(SALU_CYCLE_1)
	s_xor_b32 s7, exec_lo, s0
	s_cbranch_execz .LBB59_72
; %bb.54:
	s_lshl_b64 s[0:1], s[18:19], 3
	s_mov_b32 s25, exec_lo
	s_add_u32 s0, s8, s0
	s_addc_u32 s1, s9, s1
	s_load_b64 s[0:1], s[0:1], 0x0
	s_waitcnt lgkmcnt(0)
	s_sub_u32 s30, s0, s4
	s_subb_u32 s31, s1, s5
	s_delay_alu instid0(SALU_CYCLE_1)
	v_cmpx_gt_i64_e64 s[30:31], v[0:1]
	s_cbranch_execz .LBB59_71
; %bb.55:
	s_add_u32 s34, s18, -1
	s_addc_u32 s35, s19, -1
	s_add_u32 s36, s18, -2
	v_cmp_gt_i64_e64 s29, s[34:35], s[16:17]
	s_addc_u32 s37, s19, -1
	s_mov_b64 s[38:39], 0
	s_cmp_lg_u64 s[36:37], s[16:17]
	s_cselect_b32 s33, -1, 0
	s_delay_alu instid0(VALU_DEP_1) | instid1(SALU_CYCLE_1)
	s_and_b32 s29, s29, s33
	s_sub_u32 s36, s0, s24
	s_subb_u32 s37, s1, 0
	s_mov_b32 s1, 0
	s_branch .LBB59_58
.LBB59_56:                              ;   in Loop: Header=BB59_58 Depth=1
	s_or_b32 exec_lo, exec_lo, s0
.LBB59_57:                              ;   in Loop: Header=BB59_58 Depth=1
	s_delay_alu instid0(SALU_CYCLE_1)
	s_or_b32 exec_lo, exec_lo, s33
	v_add_co_u32 v4, vcc_lo, s14, v4
	v_add_co_ci_u32_e32 v5, vcc_lo, s15, v5, vcc_lo
	s_add_u32 s38, s38, 0x100
	s_addc_u32 s39, s39, 0
	global_load_i8 v6, v[4:5], off
	v_add_co_u32 v4, s0, s38, v0
	s_delay_alu instid0(VALU_DEP_1) | instskip(NEXT) | instid1(VALU_DEP_1)
	v_add_co_ci_u32_e64 v5, null, s39, 0, s0
	v_cmp_le_i64_e32 vcc_lo, s[30:31], v[4:5]
	v_lshlrev_b32_e32 v4, 2, v10
	s_or_b32 s1, vcc_lo, s1
	s_waitcnt vmcnt(0)
	v_cvt_f32_i32_e32 v6, v6
	s_waitcnt lgkmcnt(0)
	s_delay_alu instid0(VALU_DEP_1)
	v_mul_f32_e32 v5, v11, v6
	ds_store_b32 v4, v5
	s_and_not1_b32 exec_lo, exec_lo, s1
	s_cbranch_execz .LBB59_71
.LBB59_58:                              ; =>This Loop Header: Depth=1
                                        ;     Child Loop BB59_60 Depth 2
                                        ;     Child Loop BB59_67 Depth 2
	v_add_co_u32 v6, vcc_lo, s38, v2
	v_add_co_ci_u32_e32 v7, vcc_lo, s39, v3, vcc_lo
	v_dual_mov_b32 v8, s16 :: v_dual_mov_b32 v9, s17
	v_dual_mov_b32 v10, s34 :: v_dual_mov_b32 v11, s35
	s_and_not1_b32 vcc_lo, exec_lo, s29
	s_cbranch_vccnz .LBB59_62
; %bb.59:                               ;   in Loop: Header=BB59_58 Depth=1
	v_dual_mov_b32 v8, s16 :: v_dual_mov_b32 v9, s17
	v_dual_mov_b32 v10, s34 :: v_dual_mov_b32 v11, s35
	s_mov_b32 s33, 0
	s_set_inst_prefetch_distance 0x1
	.p2align	6
.LBB59_60:                              ;   Parent Loop BB59_58 Depth=1
                                        ; =>  This Inner Loop Header: Depth=2
	s_delay_alu instid0(VALU_DEP_1) | instskip(NEXT) | instid1(VALU_DEP_2)
	v_add_co_u32 v4, vcc_lo, v10, v8
	v_add_co_ci_u32_e32 v5, vcc_lo, v11, v9, vcc_lo
	s_delay_alu instid0(VALU_DEP_1) | instskip(NEXT) | instid1(VALU_DEP_1)
	v_lshrrev_b32_e32 v12, 31, v5
	v_add_co_u32 v4, vcc_lo, v4, v12
	v_add_co_ci_u32_e32 v5, vcc_lo, 0, v5, vcc_lo
	s_delay_alu instid0(VALU_DEP_1) | instskip(NEXT) | instid1(VALU_DEP_1)
	v_ashrrev_i64 v[4:5], 1, v[4:5]
	v_lshlrev_b64 v[12:13], 3, v[4:5]
	s_delay_alu instid0(VALU_DEP_1) | instskip(NEXT) | instid1(VALU_DEP_2)
	v_add_co_u32 v12, vcc_lo, s8, v12
	v_add_co_ci_u32_e32 v13, vcc_lo, s9, v13, vcc_lo
	global_load_b64 v[12:13], v[12:13], off
	s_waitcnt vmcnt(0)
	v_sub_co_u32 v12, vcc_lo, v12, s24
	v_subrev_co_ci_u32_e32 v13, vcc_lo, 0, v13, vcc_lo
	s_delay_alu instid0(VALU_DEP_1) | instskip(SKIP_2) | instid1(VALU_DEP_2)
	v_cmp_gt_i64_e32 vcc_lo, v[12:13], v[6:7]
	v_dual_cndmask_b32 v11, v11, v5 :: v_dual_cndmask_b32 v10, v10, v4
	v_dual_cndmask_b32 v9, v5, v9 :: v_dual_cndmask_b32 v8, v4, v8
	v_add_co_u32 v4, vcc_lo, v10, -1
	s_delay_alu instid0(VALU_DEP_3) | instskip(NEXT) | instid1(VALU_DEP_3)
	v_add_co_ci_u32_e32 v5, vcc_lo, -1, v11, vcc_lo
	v_cmp_ge_i64_e32 vcc_lo, v[8:9], v[10:11]
	s_delay_alu instid0(VALU_DEP_2) | instskip(NEXT) | instid1(VALU_DEP_1)
	v_cmp_eq_u64_e64 s0, v[8:9], v[4:5]
	s_or_b32 s0, vcc_lo, s0
	s_delay_alu instid0(SALU_CYCLE_1) | instskip(NEXT) | instid1(SALU_CYCLE_1)
	s_and_b32 s0, exec_lo, s0
	s_or_b32 s33, s0, s33
	s_delay_alu instid0(SALU_CYCLE_1)
	s_and_not1_b32 exec_lo, exec_lo, s33
	s_cbranch_execnz .LBB59_60
; %bb.61:                               ;   in Loop: Header=BB59_58 Depth=1
	s_set_inst_prefetch_distance 0x2
	s_or_b32 exec_lo, exec_lo, s33
.LBB59_62:                              ;   in Loop: Header=BB59_58 Depth=1
	s_delay_alu instid0(VALU_DEP_1) | instskip(SKIP_2) | instid1(VALU_DEP_3)
	v_lshlrev_b64 v[4:5], 3, v[10:11]
	v_lshlrev_b64 v[12:13], 2, v[6:7]
	v_cmp_le_i64_e64 s0, s[36:37], v[6:7]
	v_add_co_u32 v4, vcc_lo, s8, v4
	s_delay_alu instid0(VALU_DEP_4) | instskip(NEXT) | instid1(VALU_DEP_4)
	v_add_co_ci_u32_e32 v5, vcc_lo, s9, v5, vcc_lo
	v_add_co_u32 v12, vcc_lo, s10, v12
	v_add_co_ci_u32_e32 v13, vcc_lo, s11, v13, vcc_lo
	global_load_b64 v[4:5], v[4:5], off
	global_load_b32 v14, v[12:13], off
	s_waitcnt vmcnt(1)
	v_sub_co_u32 v12, vcc_lo, v4, s24
	v_subrev_co_ci_u32_e32 v13, vcc_lo, 0, v5, vcc_lo
	s_waitcnt vmcnt(0)
	v_subrev_nc_u32_e32 v4, s24, v14
	s_delay_alu instid0(VALU_DEP_2) | instskip(NEXT) | instid1(VALU_DEP_2)
	v_cmp_gt_i64_e32 vcc_lo, v[12:13], v[6:7]
	v_ashrrev_i32_e32 v5, 31, v4
	v_dual_cndmask_b32 v9, v11, v9 :: v_dual_cndmask_b32 v8, v10, v8
	v_add_co_u32 v10, null, s38, v0
                                        ; implicit-def: $vgpr11
	s_delay_alu instid0(VALU_DEP_2) | instskip(NEXT) | instid1(VALU_DEP_2)
	v_cmp_eq_u64_e32 vcc_lo, v[8:9], v[4:5]
	v_lshlrev_b32_e32 v12, 2, v10
	s_or_b32 s0, vcc_lo, s0
	s_delay_alu instid0(SALU_CYCLE_1) | instskip(NEXT) | instid1(SALU_CYCLE_1)
	s_and_saveexec_b32 s33, s0
	s_xor_b32 s0, exec_lo, s33
	s_cbranch_execz .LBB59_64
; %bb.63:                               ;   in Loop: Header=BB59_58 Depth=1
	ds_load_b32 v11, v12
                                        ; implicit-def: $vgpr12
                                        ; implicit-def: $vgpr8_vgpr9
.LBB59_64:                              ;   in Loop: Header=BB59_58 Depth=1
	s_and_not1_saveexec_b32 s33, s0
	s_cbranch_execz .LBB59_57
; %bb.65:                               ;   in Loop: Header=BB59_58 Depth=1
	v_cmp_gt_i64_e32 vcc_lo, s[12:13], v[4:5]
	v_cmp_le_i64_e64 s0, s[18:19], v[4:5]
                                        ; implicit-def: $vgpr11
	s_delay_alu instid0(VALU_DEP_1) | instskip(NEXT) | instid1(SALU_CYCLE_1)
	s_or_b32 s0, vcc_lo, s0
	s_and_saveexec_b32 s40, s0
	s_delay_alu instid0(SALU_CYCLE_1)
	s_xor_b32 s0, exec_lo, s40
	s_cbranch_execz .LBB59_69
; %bb.66:                               ;   in Loop: Header=BB59_58 Depth=1
	v_add_co_u32 v6, vcc_lo, s14, v8
	v_add_co_ci_u32_e32 v7, vcc_lo, s15, v9, vcc_lo
	v_lshlrev_b64 v[8:9], 2, v[4:5]
	s_waitcnt lgkmcnt(0)
	ds_load_b32 v11, v12
	s_mov_b32 s40, 0
	global_load_i8 v13, v[6:7], off
	v_add_co_u32 v6, vcc_lo, s20, v8
	v_add_co_ci_u32_e32 v7, vcc_lo, s21, v9, vcc_lo
	global_load_b32 v9, v[6:7], off
	s_waitcnt vmcnt(1)
	v_cvt_f32_i32_e32 v8, v13
	s_waitcnt lgkmcnt(0)
	s_delay_alu instid0(VALU_DEP_1)
	v_mul_f32_e32 v12, v11, v8
.LBB59_67:                              ;   Parent Loop BB59_58 Depth=1
                                        ; =>  This Inner Loop Header: Depth=2
	s_waitcnt vmcnt(0)
	s_delay_alu instid0(VALU_DEP_1)
	v_add_f32_e32 v8, v9, v12
	global_atomic_cmpswap_b32 v8, v[6:7], v[8:9], off glc
	s_waitcnt vmcnt(0)
	v_cmp_eq_u32_e32 vcc_lo, v8, v9
	v_mov_b32_e32 v9, v8
	s_or_b32 s40, vcc_lo, s40
	s_delay_alu instid0(SALU_CYCLE_1)
	s_and_not1_b32 exec_lo, exec_lo, s40
	s_cbranch_execnz .LBB59_67
; %bb.68:                               ;   in Loop: Header=BB59_58 Depth=1
	s_or_b32 exec_lo, exec_lo, s40
                                        ; implicit-def: $vgpr12
                                        ; implicit-def: $vgpr8_vgpr9
.LBB59_69:                              ;   in Loop: Header=BB59_58 Depth=1
	s_and_not1_saveexec_b32 s0, s0
	s_cbranch_execz .LBB59_56
; %bb.70:                               ;   in Loop: Header=BB59_58 Depth=1
	v_add_co_u32 v6, vcc_lo, s14, v8
	v_add_co_ci_u32_e32 v7, vcc_lo, s15, v9, vcc_lo
	s_waitcnt lgkmcnt(0)
	ds_load_b32 v11, v12
	global_load_i8 v6, v[6:7], off
	v_subrev_nc_u32_e32 v7, s12, v4
	s_delay_alu instid0(VALU_DEP_1) | instskip(SKIP_3) | instid1(VALU_DEP_1)
	v_lshl_add_u32 v7, v7, 2, 0x1000
	s_waitcnt vmcnt(0)
	v_cvt_f32_i32_e32 v6, v6
	s_waitcnt lgkmcnt(0)
	v_mul_f32_e32 v6, v11, v6
	ds_add_f32 v7, v6
	s_branch .LBB59_56
.LBB59_71:
	s_or_b32 exec_lo, exec_lo, s25
                                        ; implicit-def: $vgpr4_vgpr5
                                        ; implicit-def: $vgpr2
.LBB59_72:
	s_and_not1_saveexec_b32 s1, s7
	s_cbranch_execz .LBB59_122
; %bb.73:
	s_add_u32 s30, s18, -1
	s_addc_u32 s31, s19, -1
	s_add_u32 s34, s18, -2
	v_cmp_le_i64_e64 s0, s[30:31], s[16:17]
	s_addc_u32 s35, s19, -1
	v_dual_mov_b32 v9, s16 :: v_dual_mov_b32 v10, s17
	s_cmp_eq_u64 s[34:35], s[16:17]
	v_dual_mov_b32 v11, s30 :: v_dual_mov_b32 v12, s31
	s_cselect_b32 s7, -1, 0
	s_delay_alu instid0(SALU_CYCLE_1) | instskip(NEXT) | instid1(SALU_CYCLE_1)
	s_or_b32 s7, s0, s7
	s_and_b32 vcc_lo, exec_lo, s7
	s_cbranch_vccnz .LBB59_77
; %bb.74:
	v_dual_mov_b32 v9, s16 :: v_dual_mov_b32 v10, s17
	v_dual_mov_b32 v11, s30 :: v_dual_mov_b32 v12, s31
	s_mov_b32 s25, 0
	s_set_inst_prefetch_distance 0x1
	.p2align	6
.LBB59_75:                              ; =>This Inner Loop Header: Depth=1
	s_delay_alu instid0(VALU_DEP_1) | instskip(NEXT) | instid1(VALU_DEP_2)
	v_add_co_u32 v6, vcc_lo, v11, v9
	v_add_co_ci_u32_e32 v7, vcc_lo, v12, v10, vcc_lo
	s_delay_alu instid0(VALU_DEP_1) | instskip(NEXT) | instid1(VALU_DEP_1)
	v_lshrrev_b32_e32 v8, 31, v7
	v_add_co_u32 v6, vcc_lo, v6, v8
	v_add_co_ci_u32_e32 v7, vcc_lo, 0, v7, vcc_lo
	s_delay_alu instid0(VALU_DEP_1) | instskip(NEXT) | instid1(VALU_DEP_1)
	v_ashrrev_i64 v[6:7], 1, v[6:7]
	v_lshlrev_b64 v[13:14], 3, v[6:7]
	s_delay_alu instid0(VALU_DEP_1) | instskip(NEXT) | instid1(VALU_DEP_2)
	v_add_co_u32 v13, vcc_lo, s8, v13
	v_add_co_ci_u32_e32 v14, vcc_lo, s9, v14, vcc_lo
	global_load_b64 v[13:14], v[13:14], off
	s_waitcnt vmcnt(0)
	v_sub_co_u32 v13, vcc_lo, v13, s24
	v_subrev_co_ci_u32_e32 v14, vcc_lo, 0, v14, vcc_lo
	s_delay_alu instid0(VALU_DEP_1) | instskip(SKIP_2) | instid1(VALU_DEP_2)
	v_cmp_gt_i64_e32 vcc_lo, v[13:14], v[2:3]
	v_dual_cndmask_b32 v12, v12, v7 :: v_dual_cndmask_b32 v11, v11, v6
	v_dual_cndmask_b32 v10, v7, v10 :: v_dual_cndmask_b32 v9, v6, v9
	v_add_co_u32 v6, vcc_lo, v11, -1
	s_delay_alu instid0(VALU_DEP_3) | instskip(NEXT) | instid1(VALU_DEP_3)
	v_add_co_ci_u32_e32 v7, vcc_lo, -1, v12, vcc_lo
	v_cmp_ge_i64_e32 vcc_lo, v[9:10], v[11:12]
	s_delay_alu instid0(VALU_DEP_2) | instskip(NEXT) | instid1(VALU_DEP_1)
	v_cmp_eq_u64_e64 s0, v[9:10], v[6:7]
	s_or_b32 s0, vcc_lo, s0
	s_delay_alu instid0(SALU_CYCLE_1) | instskip(NEXT) | instid1(SALU_CYCLE_1)
	s_and_b32 s0, exec_lo, s0
	s_or_b32 s25, s0, s25
	s_delay_alu instid0(SALU_CYCLE_1)
	s_and_not1_b32 exec_lo, exec_lo, s25
	s_cbranch_execnz .LBB59_75
; %bb.76:
	s_set_inst_prefetch_distance 0x2
	s_or_b32 exec_lo, exec_lo, s25
.LBB59_77:
	v_lshlrev_b64 v[6:7], 3, v[11:12]
	v_lshlrev_b64 v[13:14], 2, v[2:3]
	s_xor_b32 s7, s7, -1
	s_mov_b32 s25, exec_lo
	s_delay_alu instid0(VALU_DEP_2) | instskip(NEXT) | instid1(VALU_DEP_3)
	v_add_co_u32 v6, vcc_lo, s8, v6
	v_add_co_ci_u32_e32 v7, vcc_lo, s9, v7, vcc_lo
	global_load_b64 v[16:17], v[6:7], off
	v_add_co_u32 v6, vcc_lo, s10, v13
	v_add_co_ci_u32_e32 v7, vcc_lo, s11, v14, vcc_lo
	s_lshl_b64 s[10:11], s[18:19], 3
	s_delay_alu instid0(SALU_CYCLE_1)
	s_add_u32 s10, s8, s10
	global_load_b32 v8, v[6:7], off
	s_addc_u32 s11, s9, s11
	s_waitcnt vmcnt(1)
	v_sub_co_u32 v13, vcc_lo, v16, s24
	v_subrev_co_ci_u32_e32 v14, vcc_lo, 0, v17, vcc_lo
	s_delay_alu instid0(VALU_DEP_1) | instskip(SKIP_3) | instid1(VALU_DEP_2)
	v_cmp_gt_i64_e32 vcc_lo, v[13:14], v[2:3]
	s_waitcnt vmcnt(0)
	v_subrev_nc_u32_e32 v8, s24, v8
	v_dual_cndmask_b32 v12, v12, v10 :: v_dual_cndmask_b32 v11, v11, v9
	v_ashrrev_i32_e32 v9, 31, v8
	s_delay_alu instid0(VALU_DEP_1)
	v_cmpx_ne_u64_e64 v[11:12], v[8:9]
	s_cbranch_execz .LBB59_85
; %bb.78:
	s_load_b64 s[34:35], s[10:11], 0x0
	s_waitcnt lgkmcnt(0)
	s_sub_u32 s34, s34, s24
	s_subb_u32 s35, s35, 0
	s_delay_alu instid0(SALU_CYCLE_1)
	v_cmp_gt_i64_e32 vcc_lo, s[34:35], v[2:3]
	s_and_b32 exec_lo, exec_lo, vcc_lo
	s_cbranch_execz .LBB59_85
; %bb.79:
	v_cmp_gt_i64_e32 vcc_lo, s[12:13], v[8:9]
	v_cmp_le_i64_e64 s0, s[18:19], v[8:9]
	s_delay_alu instid0(VALU_DEP_1) | instskip(NEXT) | instid1(SALU_CYCLE_1)
	s_or_b32 s0, vcc_lo, s0
	s_and_saveexec_b32 s29, s0
	s_delay_alu instid0(SALU_CYCLE_1)
	s_xor_b32 s0, exec_lo, s29
	s_cbranch_execz .LBB59_83
; %bb.80:
	v_add_co_u32 v10, vcc_lo, s14, v11
	v_add_co_ci_u32_e32 v11, vcc_lo, s15, v12, vcc_lo
	v_lshlrev_b64 v[12:13], 2, v[8:9]
	s_mov_b32 s29, 0
	global_load_i8 v14, v[10:11], off
	v_add_co_u32 v10, vcc_lo, s20, v12
	v_add_co_ci_u32_e32 v11, vcc_lo, s21, v13, vcc_lo
	ds_load_b32 v12, v15
	global_load_b32 v13, v[10:11], off
	s_waitcnt vmcnt(1)
	v_cvt_f32_i32_e32 v14, v14
	s_waitcnt lgkmcnt(0)
	s_delay_alu instid0(VALU_DEP_1)
	v_mul_f32_e32 v14, v12, v14
.LBB59_81:                              ; =>This Inner Loop Header: Depth=1
	s_waitcnt vmcnt(0)
	s_delay_alu instid0(VALU_DEP_1)
	v_add_f32_e32 v12, v13, v14
	global_atomic_cmpswap_b32 v12, v[10:11], v[12:13], off glc
	s_waitcnt vmcnt(0)
	v_cmp_eq_u32_e32 vcc_lo, v12, v13
	v_mov_b32_e32 v13, v12
	s_or_b32 s29, vcc_lo, s29
	s_delay_alu instid0(SALU_CYCLE_1)
	s_and_not1_b32 exec_lo, exec_lo, s29
	s_cbranch_execnz .LBB59_81
; %bb.82:
	s_or_b32 exec_lo, exec_lo, s29
                                        ; implicit-def: $vgpr11_vgpr12
.LBB59_83:
	s_and_not1_saveexec_b32 s0, s0
	s_cbranch_execz .LBB59_85
; %bb.84:
	v_add_co_u32 v10, vcc_lo, s14, v11
	v_add_co_ci_u32_e32 v11, vcc_lo, s15, v12, vcc_lo
	v_subrev_nc_u32_e32 v12, s12, v8
	global_load_i8 v10, v[10:11], off
	ds_load_b32 v11, v15
	v_lshl_add_u32 v12, v12, 2, 0x1000
	s_waitcnt vmcnt(0)
	v_cvt_f32_i32_e32 v10, v10
	s_waitcnt lgkmcnt(0)
	s_delay_alu instid0(VALU_DEP_1)
	v_mul_f32_e32 v10, v11, v10
	ds_add_f32 v12, v10
.LBB59_85:
	s_or_b32 exec_lo, exec_lo, s25
	v_add_co_u32 v8, vcc_lo, s14, v8
	v_add_co_ci_u32_e32 v9, vcc_lo, s15, v9, vcc_lo
	ds_load_b32 v10, v15
	v_cndmask_b32_e64 v16, 0, 1, s7
	v_mov_b32_e32 v13, s30
	global_load_i8 v8, v[8:9], off
	v_mov_b32_e32 v14, s31
	s_waitcnt vmcnt(0)
	v_cvt_f32_i32_e32 v11, v8
	v_add_co_u32 v8, vcc_lo, 0x100, v2
	v_add_co_ci_u32_e32 v9, vcc_lo, 0, v3, vcc_lo
	s_waitcnt lgkmcnt(0)
	s_delay_alu instid0(VALU_DEP_3)
	v_dual_mul_f32 v10, v10, v11 :: v_dual_mov_b32 v11, s16
	v_mov_b32_e32 v12, s17
	s_and_not1_b32 vcc_lo, exec_lo, s7
	ds_store_b32 v15, v10
	s_cbranch_vccnz .LBB59_89
; %bb.86:
	v_dual_mov_b32 v11, s16 :: v_dual_mov_b32 v12, s17
	v_dual_mov_b32 v13, s30 :: v_dual_mov_b32 v14, s31
	s_mov_b32 s7, 0
	s_set_inst_prefetch_distance 0x1
	.p2align	6
.LBB59_87:                              ; =>This Inner Loop Header: Depth=1
	s_delay_alu instid0(VALU_DEP_1) | instskip(NEXT) | instid1(VALU_DEP_2)
	v_add_co_u32 v10, vcc_lo, v13, v11
	v_add_co_ci_u32_e32 v18, vcc_lo, v14, v12, vcc_lo
	s_delay_alu instid0(VALU_DEP_1) | instskip(NEXT) | instid1(VALU_DEP_1)
	v_lshrrev_b32_e32 v17, 31, v18
	v_add_co_u32 v17, vcc_lo, v10, v17
	v_add_co_ci_u32_e32 v18, vcc_lo, 0, v18, vcc_lo
	s_delay_alu instid0(VALU_DEP_1) | instskip(NEXT) | instid1(VALU_DEP_1)
	v_ashrrev_i64 v[17:18], 1, v[17:18]
	v_lshlrev_b64 v[19:20], 3, v[17:18]
	s_delay_alu instid0(VALU_DEP_1) | instskip(NEXT) | instid1(VALU_DEP_2)
	v_add_co_u32 v19, vcc_lo, s8, v19
	v_add_co_ci_u32_e32 v20, vcc_lo, s9, v20, vcc_lo
	global_load_b64 v[19:20], v[19:20], off
	s_waitcnt vmcnt(0)
	v_sub_co_u32 v19, vcc_lo, v19, s24
	v_subrev_co_ci_u32_e32 v20, vcc_lo, 0, v20, vcc_lo
	s_delay_alu instid0(VALU_DEP_1) | instskip(SKIP_2) | instid1(VALU_DEP_2)
	v_cmp_gt_i64_e32 vcc_lo, v[19:20], v[8:9]
	v_dual_cndmask_b32 v14, v14, v18 :: v_dual_cndmask_b32 v13, v13, v17
	v_dual_cndmask_b32 v12, v18, v12 :: v_dual_cndmask_b32 v11, v17, v11
	v_add_co_u32 v17, vcc_lo, v13, -1
	s_delay_alu instid0(VALU_DEP_3) | instskip(NEXT) | instid1(VALU_DEP_3)
	v_add_co_ci_u32_e32 v18, vcc_lo, -1, v14, vcc_lo
	v_cmp_ge_i64_e32 vcc_lo, v[11:12], v[13:14]
	s_delay_alu instid0(VALU_DEP_2) | instskip(NEXT) | instid1(VALU_DEP_1)
	v_cmp_eq_u64_e64 s0, v[11:12], v[17:18]
	s_or_b32 s0, vcc_lo, s0
	s_delay_alu instid0(SALU_CYCLE_1) | instskip(NEXT) | instid1(SALU_CYCLE_1)
	s_and_b32 s0, exec_lo, s0
	s_or_b32 s7, s0, s7
	s_delay_alu instid0(SALU_CYCLE_1)
	s_and_not1_b32 exec_lo, exec_lo, s7
	s_cbranch_execnz .LBB59_87
; %bb.88:
	s_set_inst_prefetch_distance 0x2
	s_or_b32 exec_lo, exec_lo, s7
.LBB59_89:
	v_lshlrev_b64 v[17:18], 3, v[13:14]
	s_mov_b32 s7, exec_lo
	s_delay_alu instid0(VALU_DEP_1) | instskip(NEXT) | instid1(VALU_DEP_2)
	v_add_co_u32 v17, vcc_lo, s8, v17
	v_add_co_ci_u32_e32 v18, vcc_lo, s9, v18, vcc_lo
	global_load_b64 v[17:18], v[17:18], off
	global_load_b32 v10, v[6:7], off offset:1024
	s_waitcnt vmcnt(1)
	v_sub_co_u32 v17, vcc_lo, v17, s24
	v_subrev_co_ci_u32_e32 v18, vcc_lo, 0, v18, vcc_lo
	s_waitcnt vmcnt(0)
	v_subrev_nc_u32_e32 v10, s24, v10
	s_delay_alu instid0(VALU_DEP_2) | instskip(SKIP_1) | instid1(VALU_DEP_3)
	v_cmp_gt_i64_e32 vcc_lo, v[17:18], v[8:9]
	v_dual_cndmask_b32 v14, v14, v12 :: v_dual_cndmask_b32 v13, v13, v11
	v_ashrrev_i32_e32 v11, 31, v10
	s_delay_alu instid0(VALU_DEP_1)
	v_cmpx_ne_u64_e64 v[13:14], v[10:11]
	s_cbranch_execz .LBB59_97
; %bb.90:
	s_load_b64 s[34:35], s[10:11], 0x0
	s_waitcnt lgkmcnt(0)
	s_sub_u32 s34, s34, s24
	s_subb_u32 s35, s35, 0
	s_delay_alu instid0(SALU_CYCLE_1)
	v_cmp_gt_i64_e32 vcc_lo, s[34:35], v[8:9]
	s_and_b32 exec_lo, exec_lo, vcc_lo
	s_cbranch_execz .LBB59_97
; %bb.91:
	v_cmp_gt_i64_e32 vcc_lo, s[12:13], v[10:11]
	v_cmp_le_i64_e64 s0, s[18:19], v[10:11]
	s_delay_alu instid0(VALU_DEP_1) | instskip(NEXT) | instid1(SALU_CYCLE_1)
	s_or_b32 s0, vcc_lo, s0
	s_and_saveexec_b32 s25, s0
	s_delay_alu instid0(SALU_CYCLE_1)
	s_xor_b32 s0, exec_lo, s25
	s_cbranch_execz .LBB59_95
; %bb.92:
	v_add_co_u32 v8, vcc_lo, s14, v13
	v_add_co_ci_u32_e32 v9, vcc_lo, s15, v14, vcc_lo
	v_lshlrev_b64 v[12:13], 2, v[10:11]
	s_mov_b32 s25, 0
	global_load_i8 v14, v[8:9], off
	v_add_co_u32 v8, vcc_lo, s20, v12
	v_add_co_ci_u32_e32 v9, vcc_lo, s21, v13, vcc_lo
	ds_load_b32 v12, v15 offset:1024
	global_load_b32 v13, v[8:9], off
	s_waitcnt vmcnt(1)
	v_cvt_f32_i32_e32 v14, v14
	s_waitcnt lgkmcnt(0)
	s_delay_alu instid0(VALU_DEP_1)
	v_mul_f32_e32 v14, v12, v14
.LBB59_93:                              ; =>This Inner Loop Header: Depth=1
	s_waitcnt vmcnt(0)
	s_delay_alu instid0(VALU_DEP_1)
	v_add_f32_e32 v12, v13, v14
	global_atomic_cmpswap_b32 v12, v[8:9], v[12:13], off glc
	s_waitcnt vmcnt(0)
	v_cmp_eq_u32_e32 vcc_lo, v12, v13
	v_mov_b32_e32 v13, v12
	s_or_b32 s25, vcc_lo, s25
	s_delay_alu instid0(SALU_CYCLE_1)
	s_and_not1_b32 exec_lo, exec_lo, s25
	s_cbranch_execnz .LBB59_93
; %bb.94:
	s_or_b32 exec_lo, exec_lo, s25
                                        ; implicit-def: $vgpr13_vgpr14
.LBB59_95:
	s_and_not1_saveexec_b32 s0, s0
	s_cbranch_execz .LBB59_97
; %bb.96:
	v_add_co_u32 v8, vcc_lo, s14, v13
	v_add_co_ci_u32_e32 v9, vcc_lo, s15, v14, vcc_lo
	v_subrev_nc_u32_e32 v12, s12, v10
	global_load_i8 v8, v[8:9], off
	ds_load_b32 v9, v15 offset:1024
	v_lshl_add_u32 v12, v12, 2, 0x1000
	s_waitcnt vmcnt(0)
	v_cvt_f32_i32_e32 v8, v8
	s_waitcnt lgkmcnt(0)
	s_delay_alu instid0(VALU_DEP_1)
	v_mul_f32_e32 v8, v9, v8
	ds_add_f32 v12, v8
.LBB59_97:
	s_or_b32 exec_lo, exec_lo, s7
	v_add_co_u32 v8, vcc_lo, s14, v10
	v_add_co_ci_u32_e32 v9, vcc_lo, s15, v11, vcc_lo
	v_add_co_u32 v2, vcc_lo, 0x200, v2
	v_add_co_ci_u32_e32 v3, vcc_lo, 0, v3, vcc_lo
	global_load_i8 v8, v[8:9], off
	ds_load_b32 v9, v15 offset:1024
	v_cmp_ne_u32_e32 vcc_lo, 1, v16
	v_dual_mov_b32 v11, s30 :: v_dual_mov_b32 v12, s31
	s_and_b32 vcc_lo, exec_lo, vcc_lo
	s_waitcnt vmcnt(0)
	v_cvt_f32_i32_e32 v8, v8
	s_waitcnt lgkmcnt(0)
	s_delay_alu instid0(VALU_DEP_1)
	v_dual_mul_f32 v8, v9, v8 :: v_dual_mov_b32 v9, s16
	v_mov_b32_e32 v10, s17
	ds_store_b32 v15, v8 offset:1024
	s_cbranch_vccnz .LBB59_101
; %bb.98:
	v_dual_mov_b32 v9, s16 :: v_dual_mov_b32 v10, s17
	v_dual_mov_b32 v11, s30 :: v_dual_mov_b32 v12, s31
	s_mov_b32 s7, 0
	s_set_inst_prefetch_distance 0x1
	.p2align	6
.LBB59_99:                              ; =>This Inner Loop Header: Depth=1
	s_delay_alu instid0(VALU_DEP_1) | instskip(NEXT) | instid1(VALU_DEP_2)
	v_add_co_u32 v8, vcc_lo, v11, v9
	v_add_co_ci_u32_e32 v14, vcc_lo, v12, v10, vcc_lo
	s_delay_alu instid0(VALU_DEP_1) | instskip(NEXT) | instid1(VALU_DEP_1)
	v_lshrrev_b32_e32 v13, 31, v14
	v_add_co_u32 v13, vcc_lo, v8, v13
	v_add_co_ci_u32_e32 v14, vcc_lo, 0, v14, vcc_lo
	s_delay_alu instid0(VALU_DEP_1) | instskip(NEXT) | instid1(VALU_DEP_1)
	v_ashrrev_i64 v[13:14], 1, v[13:14]
	v_lshlrev_b64 v[17:18], 3, v[13:14]
	s_delay_alu instid0(VALU_DEP_1) | instskip(NEXT) | instid1(VALU_DEP_2)
	v_add_co_u32 v17, vcc_lo, s8, v17
	v_add_co_ci_u32_e32 v18, vcc_lo, s9, v18, vcc_lo
	global_load_b64 v[17:18], v[17:18], off
	s_waitcnt vmcnt(0)
	v_sub_co_u32 v17, vcc_lo, v17, s24
	v_subrev_co_ci_u32_e32 v18, vcc_lo, 0, v18, vcc_lo
	s_delay_alu instid0(VALU_DEP_1) | instskip(SKIP_2) | instid1(VALU_DEP_2)
	v_cmp_gt_i64_e32 vcc_lo, v[17:18], v[2:3]
	v_dual_cndmask_b32 v12, v12, v14 :: v_dual_cndmask_b32 v11, v11, v13
	v_dual_cndmask_b32 v10, v14, v10 :: v_dual_cndmask_b32 v9, v13, v9
	v_add_co_u32 v13, vcc_lo, v11, -1
	s_delay_alu instid0(VALU_DEP_3) | instskip(NEXT) | instid1(VALU_DEP_3)
	v_add_co_ci_u32_e32 v14, vcc_lo, -1, v12, vcc_lo
	v_cmp_ge_i64_e32 vcc_lo, v[9:10], v[11:12]
	s_delay_alu instid0(VALU_DEP_2) | instskip(NEXT) | instid1(VALU_DEP_1)
	v_cmp_eq_u64_e64 s0, v[9:10], v[13:14]
	s_or_b32 s0, vcc_lo, s0
	s_delay_alu instid0(SALU_CYCLE_1) | instskip(NEXT) | instid1(SALU_CYCLE_1)
	s_and_b32 s0, exec_lo, s0
	s_or_b32 s7, s0, s7
	s_delay_alu instid0(SALU_CYCLE_1)
	s_and_not1_b32 exec_lo, exec_lo, s7
	s_cbranch_execnz .LBB59_99
; %bb.100:
	s_set_inst_prefetch_distance 0x2
	s_or_b32 exec_lo, exec_lo, s7
.LBB59_101:
	v_lshlrev_b64 v[13:14], 3, v[11:12]
	s_mov_b32 s7, exec_lo
	s_delay_alu instid0(VALU_DEP_1) | instskip(NEXT) | instid1(VALU_DEP_2)
	v_add_co_u32 v13, vcc_lo, s8, v13
	v_add_co_ci_u32_e32 v14, vcc_lo, s9, v14, vcc_lo
	global_load_b64 v[13:14], v[13:14], off
	global_load_b32 v8, v[6:7], off offset:2048
	s_waitcnt vmcnt(1)
	v_sub_co_u32 v13, vcc_lo, v13, s24
	v_subrev_co_ci_u32_e32 v14, vcc_lo, 0, v14, vcc_lo
	s_waitcnt vmcnt(0)
	v_subrev_nc_u32_e32 v8, s24, v8
	s_delay_alu instid0(VALU_DEP_2) | instskip(SKIP_1) | instid1(VALU_DEP_3)
	v_cmp_gt_i64_e32 vcc_lo, v[13:14], v[2:3]
	v_dual_cndmask_b32 v12, v12, v10 :: v_dual_cndmask_b32 v11, v11, v9
	v_ashrrev_i32_e32 v9, 31, v8
	s_delay_alu instid0(VALU_DEP_1)
	v_cmpx_ne_u64_e64 v[11:12], v[8:9]
	s_cbranch_execz .LBB59_109
; %bb.102:
	s_load_b64 s[34:35], s[10:11], 0x0
	s_waitcnt lgkmcnt(0)
	s_sub_u32 s34, s34, s24
	s_subb_u32 s35, s35, 0
	s_delay_alu instid0(SALU_CYCLE_1)
	v_cmp_gt_i64_e32 vcc_lo, s[34:35], v[2:3]
	s_and_b32 exec_lo, exec_lo, vcc_lo
	s_cbranch_execz .LBB59_109
; %bb.103:
	v_cmp_gt_i64_e32 vcc_lo, s[12:13], v[8:9]
	v_cmp_le_i64_e64 s0, s[18:19], v[8:9]
	s_delay_alu instid0(VALU_DEP_1) | instskip(NEXT) | instid1(SALU_CYCLE_1)
	s_or_b32 s0, vcc_lo, s0
	s_and_saveexec_b32 s25, s0
	s_delay_alu instid0(SALU_CYCLE_1)
	s_xor_b32 s0, exec_lo, s25
	s_cbranch_execz .LBB59_107
; %bb.104:
	v_add_co_u32 v2, vcc_lo, s14, v11
	v_add_co_ci_u32_e32 v3, vcc_lo, s15, v12, vcc_lo
	v_lshlrev_b64 v[10:11], 2, v[8:9]
	s_mov_b32 s25, 0
	global_load_i8 v12, v[2:3], off
	v_add_co_u32 v2, vcc_lo, s20, v10
	v_add_co_ci_u32_e32 v3, vcc_lo, s21, v11, vcc_lo
	ds_load_b32 v10, v15 offset:2048
	global_load_b32 v11, v[2:3], off
	s_waitcnt vmcnt(1)
	v_cvt_f32_i32_e32 v12, v12
	s_waitcnt lgkmcnt(0)
	s_delay_alu instid0(VALU_DEP_1)
	v_mul_f32_e32 v12, v10, v12
.LBB59_105:                             ; =>This Inner Loop Header: Depth=1
	s_waitcnt vmcnt(0)
	s_delay_alu instid0(VALU_DEP_1)
	v_add_f32_e32 v10, v11, v12
	global_atomic_cmpswap_b32 v10, v[2:3], v[10:11], off glc
	s_waitcnt vmcnt(0)
	v_cmp_eq_u32_e32 vcc_lo, v10, v11
	v_mov_b32_e32 v11, v10
	s_or_b32 s25, vcc_lo, s25
	s_delay_alu instid0(SALU_CYCLE_1)
	s_and_not1_b32 exec_lo, exec_lo, s25
	s_cbranch_execnz .LBB59_105
; %bb.106:
	s_or_b32 exec_lo, exec_lo, s25
                                        ; implicit-def: $vgpr11_vgpr12
.LBB59_107:
	s_and_not1_saveexec_b32 s0, s0
	s_cbranch_execz .LBB59_109
; %bb.108:
	v_add_co_u32 v2, vcc_lo, s14, v11
	v_add_co_ci_u32_e32 v3, vcc_lo, s15, v12, vcc_lo
	v_subrev_nc_u32_e32 v10, s12, v8
	global_load_i8 v2, v[2:3], off
	ds_load_b32 v3, v15 offset:2048
	v_lshl_add_u32 v10, v10, 2, 0x1000
	s_waitcnt vmcnt(0)
	v_cvt_f32_i32_e32 v2, v2
	s_waitcnt lgkmcnt(0)
	s_delay_alu instid0(VALU_DEP_1)
	v_mul_f32_e32 v2, v3, v2
	ds_add_f32 v10, v2
.LBB59_109:
	s_or_b32 exec_lo, exec_lo, s7
	v_add_co_u32 v2, vcc_lo, s14, v8
	v_add_co_ci_u32_e32 v3, vcc_lo, s15, v9, vcc_lo
	v_cmp_ne_u32_e32 vcc_lo, 1, v16
	v_mov_b32_e32 v8, s16
	v_dual_mov_b32 v10, s30 :: v_dual_mov_b32 v11, s31
	global_load_i8 v2, v[2:3], off
	ds_load_b32 v3, v15 offset:2048
	s_and_b32 vcc_lo, exec_lo, vcc_lo
	v_mov_b32_e32 v9, s17
	s_waitcnt vmcnt(0)
	v_cvt_f32_i32_e32 v2, v2
	s_waitcnt lgkmcnt(0)
	s_delay_alu instid0(VALU_DEP_1)
	v_mul_f32_e32 v2, v3, v2
	ds_store_b32 v15, v2 offset:2048
	s_cbranch_vccnz .LBB59_113
; %bb.110:
	v_dual_mov_b32 v8, s16 :: v_dual_mov_b32 v9, s17
	v_dual_mov_b32 v10, s30 :: v_dual_mov_b32 v11, s31
	s_mov_b32 s7, 0
	s_set_inst_prefetch_distance 0x1
	.p2align	6
.LBB59_111:                             ; =>This Inner Loop Header: Depth=1
	s_delay_alu instid0(VALU_DEP_1) | instskip(NEXT) | instid1(VALU_DEP_2)
	v_add_co_u32 v2, vcc_lo, v10, v8
	v_add_co_ci_u32_e32 v3, vcc_lo, v11, v9, vcc_lo
	s_delay_alu instid0(VALU_DEP_1) | instskip(NEXT) | instid1(VALU_DEP_1)
	v_lshrrev_b32_e32 v12, 31, v3
	v_add_co_u32 v2, vcc_lo, v2, v12
	v_add_co_ci_u32_e32 v3, vcc_lo, 0, v3, vcc_lo
	s_delay_alu instid0(VALU_DEP_1) | instskip(NEXT) | instid1(VALU_DEP_1)
	v_ashrrev_i64 v[2:3], 1, v[2:3]
	v_lshlrev_b64 v[12:13], 3, v[2:3]
	s_delay_alu instid0(VALU_DEP_1) | instskip(NEXT) | instid1(VALU_DEP_2)
	v_add_co_u32 v12, vcc_lo, s8, v12
	v_add_co_ci_u32_e32 v13, vcc_lo, s9, v13, vcc_lo
	global_load_b64 v[12:13], v[12:13], off
	s_waitcnt vmcnt(0)
	v_sub_co_u32 v12, vcc_lo, v12, s24
	v_subrev_co_ci_u32_e32 v13, vcc_lo, 0, v13, vcc_lo
	s_delay_alu instid0(VALU_DEP_1) | instskip(SKIP_2) | instid1(VALU_DEP_2)
	v_cmp_gt_i64_e32 vcc_lo, v[12:13], v[4:5]
	v_dual_cndmask_b32 v11, v11, v3 :: v_dual_cndmask_b32 v10, v10, v2
	v_dual_cndmask_b32 v9, v3, v9 :: v_dual_cndmask_b32 v8, v2, v8
	v_add_co_u32 v2, vcc_lo, v10, -1
	s_delay_alu instid0(VALU_DEP_3) | instskip(NEXT) | instid1(VALU_DEP_3)
	v_add_co_ci_u32_e32 v3, vcc_lo, -1, v11, vcc_lo
	v_cmp_ge_i64_e32 vcc_lo, v[8:9], v[10:11]
	s_delay_alu instid0(VALU_DEP_2) | instskip(NEXT) | instid1(VALU_DEP_1)
	v_cmp_eq_u64_e64 s0, v[8:9], v[2:3]
	s_or_b32 s0, vcc_lo, s0
	s_delay_alu instid0(SALU_CYCLE_1) | instskip(NEXT) | instid1(SALU_CYCLE_1)
	s_and_b32 s0, exec_lo, s0
	s_or_b32 s7, s0, s7
	s_delay_alu instid0(SALU_CYCLE_1)
	s_and_not1_b32 exec_lo, exec_lo, s7
	s_cbranch_execnz .LBB59_111
; %bb.112:
	s_set_inst_prefetch_distance 0x2
	s_or_b32 exec_lo, exec_lo, s7
.LBB59_113:
	v_lshlrev_b64 v[2:3], 3, v[10:11]
	s_mov_b32 s7, exec_lo
	s_delay_alu instid0(VALU_DEP_1) | instskip(NEXT) | instid1(VALU_DEP_2)
	v_add_co_u32 v2, vcc_lo, s8, v2
	v_add_co_ci_u32_e32 v3, vcc_lo, s9, v3, vcc_lo
	global_load_b64 v[2:3], v[2:3], off
	global_load_b32 v6, v[6:7], off offset:3072
	s_waitcnt vmcnt(1)
	v_sub_co_u32 v2, vcc_lo, v2, s24
	v_subrev_co_ci_u32_e32 v3, vcc_lo, 0, v3, vcc_lo
	s_delay_alu instid0(VALU_DEP_1) | instskip(SKIP_2) | instid1(VALU_DEP_1)
	v_cmp_gt_i64_e32 vcc_lo, v[2:3], v[4:5]
	s_waitcnt vmcnt(0)
	v_subrev_nc_u32_e32 v2, s24, v6
	v_ashrrev_i32_e32 v3, 31, v2
	v_dual_cndmask_b32 v7, v11, v9 :: v_dual_cndmask_b32 v6, v10, v8
	s_delay_alu instid0(VALU_DEP_1)
	v_cmpx_ne_u64_e64 v[6:7], v[2:3]
	s_cbranch_execz .LBB59_121
; %bb.114:
	s_load_b64 s[10:11], s[10:11], 0x0
	s_waitcnt lgkmcnt(0)
	s_sub_u32 s10, s10, s24
	s_subb_u32 s11, s11, 0
	s_delay_alu instid0(SALU_CYCLE_1)
	v_cmp_gt_i64_e32 vcc_lo, s[10:11], v[4:5]
	s_and_b32 exec_lo, exec_lo, vcc_lo
	s_cbranch_execz .LBB59_121
; %bb.115:
	v_cmp_gt_i64_e32 vcc_lo, s[12:13], v[2:3]
	v_cmp_le_i64_e64 s0, s[18:19], v[2:3]
	s_delay_alu instid0(VALU_DEP_1) | instskip(NEXT) | instid1(SALU_CYCLE_1)
	s_or_b32 s0, vcc_lo, s0
	s_and_saveexec_b32 s10, s0
	s_delay_alu instid0(SALU_CYCLE_1)
	s_xor_b32 s0, exec_lo, s10
	s_cbranch_execz .LBB59_119
; %bb.116:
	v_add_co_u32 v4, vcc_lo, s14, v6
	v_add_co_ci_u32_e32 v5, vcc_lo, s15, v7, vcc_lo
	v_lshlrev_b64 v[6:7], 2, v[2:3]
	s_mov_b32 s10, 0
	global_load_i8 v8, v[4:5], off
	v_add_co_u32 v4, vcc_lo, s20, v6
	v_add_co_ci_u32_e32 v5, vcc_lo, s21, v7, vcc_lo
	ds_load_b32 v6, v15 offset:3072
	global_load_b32 v7, v[4:5], off
	s_waitcnt vmcnt(1)
	v_cvt_f32_i32_e32 v8, v8
	s_waitcnt lgkmcnt(0)
	s_delay_alu instid0(VALU_DEP_1)
	v_mul_f32_e32 v8, v6, v8
.LBB59_117:                             ; =>This Inner Loop Header: Depth=1
	s_waitcnt vmcnt(0)
	s_delay_alu instid0(VALU_DEP_1)
	v_add_f32_e32 v6, v7, v8
	global_atomic_cmpswap_b32 v6, v[4:5], v[6:7], off glc
	s_waitcnt vmcnt(0)
	v_cmp_eq_u32_e32 vcc_lo, v6, v7
	v_mov_b32_e32 v7, v6
	s_or_b32 s10, vcc_lo, s10
	s_delay_alu instid0(SALU_CYCLE_1)
	s_and_not1_b32 exec_lo, exec_lo, s10
	s_cbranch_execnz .LBB59_117
; %bb.118:
	s_or_b32 exec_lo, exec_lo, s10
                                        ; implicit-def: $vgpr6_vgpr7
.LBB59_119:
	s_and_not1_saveexec_b32 s0, s0
	s_cbranch_execz .LBB59_121
; %bb.120:
	v_add_co_u32 v4, vcc_lo, s14, v6
	v_add_co_ci_u32_e32 v5, vcc_lo, s15, v7, vcc_lo
	v_subrev_nc_u32_e32 v6, s12, v2
	global_load_i8 v4, v[4:5], off
	ds_load_b32 v5, v15 offset:3072
	v_lshl_add_u32 v6, v6, 2, 0x1000
	s_waitcnt vmcnt(0)
	v_cvt_f32_i32_e32 v4, v4
	s_waitcnt lgkmcnt(0)
	s_delay_alu instid0(VALU_DEP_1)
	v_mul_f32_e32 v4, v5, v4
	ds_add_f32 v6, v4
.LBB59_121:
	s_or_b32 exec_lo, exec_lo, s7
	v_add_co_u32 v2, vcc_lo, s14, v2
	v_add_co_ci_u32_e32 v3, vcc_lo, s15, v3, vcc_lo
	global_load_i8 v2, v[2:3], off
	ds_load_b32 v3, v15 offset:3072
	s_waitcnt vmcnt(0)
	v_cvt_f32_i32_e32 v2, v2
	s_waitcnt lgkmcnt(0)
	s_delay_alu instid0(VALU_DEP_1)
	v_mul_f32_e32 v2, v3, v2
	ds_store_b32 v15, v2 offset:3072
.LBB59_122:
	s_or_b32 exec_lo, exec_lo, s1
	v_cmp_lt_i64_e64 s0, s[18:19], s[2:3]
	s_waitcnt lgkmcnt(0)
	s_barrier
	buffer_gl0_inv
	s_and_b32 s0, s0, exec_lo
	s_cselect_b32 s1, s18, s2
	s_cselect_b32 s0, s19, s3
	s_sub_u32 s2, s1, s22
	s_subb_u32 s3, s0, s23
	s_mov_b32 s0, exec_lo
	v_cmpx_gt_i64_e64 s[2:3], v[0:1]
	s_cbranch_execz .LBB59_127
; %bb.123:
	s_lshl_b64 s[10:11], s[12:13], 2
	v_dual_mov_b32 v3, v1 :: v_dual_mov_b32 v2, v0
	s_add_u32 s7, s20, s10
	s_addc_u32 s10, s21, s11
	s_mov_b32 s11, 0
	.p2align	6
.LBB59_124:                             ; =>This Loop Header: Depth=1
                                        ;     Child Loop BB59_125 Depth 2
	s_delay_alu instid0(VALU_DEP_1)
	v_lshlrev_b64 v[4:5], 2, v[2:3]
	v_lshl_add_u32 v6, v2, 2, 0x1000
	s_mov_b32 s12, 0
	ds_load_b32 v8, v6
	v_add_co_u32 v4, vcc_lo, s7, v4
	v_add_co_ci_u32_e32 v5, vcc_lo, s10, v5, vcc_lo
	global_load_b32 v7, v[4:5], off
.LBB59_125:                             ;   Parent Loop BB59_124 Depth=1
                                        ; =>  This Inner Loop Header: Depth=2
	s_waitcnt vmcnt(0) lgkmcnt(0)
	v_add_f32_e32 v6, v7, v8
	global_atomic_cmpswap_b32 v6, v[4:5], v[6:7], off glc
	s_waitcnt vmcnt(0)
	v_cmp_eq_u32_e32 vcc_lo, v6, v7
	v_mov_b32_e32 v7, v6
	s_or_b32 s12, vcc_lo, s12
	s_delay_alu instid0(SALU_CYCLE_1)
	s_and_not1_b32 exec_lo, exec_lo, s12
	s_cbranch_execnz .LBB59_125
; %bb.126:                              ;   in Loop: Header=BB59_124 Depth=1
	s_or_b32 exec_lo, exec_lo, s12
	v_add_co_u32 v2, vcc_lo, 0x100, v2
	v_add_co_ci_u32_e32 v3, vcc_lo, 0, v3, vcc_lo
	s_delay_alu instid0(VALU_DEP_1) | instskip(SKIP_1) | instid1(SALU_CYCLE_1)
	v_cmp_le_i64_e32 vcc_lo, s[2:3], v[2:3]
	s_or_b32 s11, vcc_lo, s11
	s_and_not1_b32 exec_lo, exec_lo, s11
	s_cbranch_execnz .LBB59_124
.LBB59_127:
	s_or_b32 exec_lo, exec_lo, s0
	s_add_i32 s0, s28, -1
	v_add_co_u32 v6, s10, s16, v0
	s_ashr_i32 s3, s0, 1
	v_add_co_ci_u32_e64 v7, null, s17, 0, s10
	s_or_b32 s0, s3, s0
	s_delay_alu instid0(SALU_CYCLE_1) | instskip(SKIP_4) | instid1(SALU_CYCLE_1)
	s_ashr_i32 s3, s0, 2
	s_barrier
	s_or_b32 s0, s3, s0
	buffer_gl0_inv
	s_ashr_i32 s3, s0, 4
	s_or_b32 s0, s3, s0
	s_delay_alu instid0(SALU_CYCLE_1) | instskip(NEXT) | instid1(SALU_CYCLE_1)
	s_ashr_i32 s3, s0, 8
	s_or_b32 s0, s3, s0
	s_delay_alu instid0(SALU_CYCLE_1) | instskip(NEXT) | instid1(SALU_CYCLE_1)
	s_ashr_i32 s3, s0, 16
	s_or_b32 s3, s3, s0
	s_mov_b32 s0, -1
	s_add_i32 s3, s3, 1
	s_delay_alu instid0(SALU_CYCLE_1) | instskip(NEXT) | instid1(SALU_CYCLE_1)
	s_ashr_i32 s7, s3, 1
	s_cmp_gt_i32 s7, 1
	s_cbranch_scc1 .LBB59_138
; %bb.128:
	s_mov_b32 s0, exec_lo
	v_cmpx_gt_i64_e64 s[18:19], v[6:7]
	s_cbranch_execz .LBB59_137
; %bb.129:
	s_sub_i32 s1, s1, s18
	v_dual_mov_b32 v9, v7 :: v_dual_mov_b32 v8, v6
	s_lshl_b32 s11, s4, 2
	s_lshl_b32 s1, s1, 2
	s_mov_b32 s10, 0
	s_addk_i32 s1, 0x1000
	s_sub_i32 s11, 0, s11
.LBB59_130:                             ; =>This Loop Header: Depth=1
                                        ;     Child Loop BB59_132 Depth 2
                                        ;     Child Loop BB59_135 Depth 2
	v_lshlrev_b64 v[2:3], 3, v[8:9]
	v_mov_b32_e32 v12, 0
	s_mov_b32 s12, exec_lo
	s_delay_alu instid0(VALU_DEP_2) | instskip(NEXT) | instid1(VALU_DEP_3)
	v_add_co_u32 v2, vcc_lo, s8, v2
	v_add_co_ci_u32_e32 v3, vcc_lo, s9, v3, vcc_lo
	global_load_b128 v[2:5], v[2:3], off
	s_waitcnt vmcnt(0)
	v_cmpx_lt_i64_e64 v[2:3], v[4:5]
	s_cbranch_execz .LBB59_134
; %bb.131:                              ;   in Loop: Header=BB59_130 Depth=1
	v_sub_co_u32 v4, vcc_lo, v4, s4
	v_subrev_co_ci_u32_e32 v5, vcc_lo, s5, v5, vcc_lo
	v_sub_co_u32 v10, vcc_lo, v2, s4
	v_subrev_co_ci_u32_e32 v11, vcc_lo, s5, v3, vcc_lo
	v_lshl_add_u32 v2, v2, 2, s11
	v_mov_b32_e32 v12, 0
	s_mov_b32 s13, 0
.LBB59_132:                             ;   Parent Loop BB59_130 Depth=1
                                        ; =>  This Inner Loop Header: Depth=2
	ds_load_b32 v3, v2
	v_add_co_u32 v10, vcc_lo, v10, 1
	v_add_co_ci_u32_e32 v11, vcc_lo, 0, v11, vcc_lo
	v_add_nc_u32_e32 v2, 4, v2
	s_delay_alu instid0(VALU_DEP_2)
	v_cmp_ge_i64_e32 vcc_lo, v[10:11], v[4:5]
	s_or_b32 s13, vcc_lo, s13
	s_waitcnt lgkmcnt(0)
	v_add_f32_e32 v12, v12, v3
	s_and_not1_b32 exec_lo, exec_lo, s13
	s_cbranch_execnz .LBB59_132
; %bb.133:                              ;   in Loop: Header=BB59_130 Depth=1
	s_or_b32 exec_lo, exec_lo, s13
.LBB59_134:                             ;   in Loop: Header=BB59_130 Depth=1
	s_delay_alu instid0(SALU_CYCLE_1)
	s_or_b32 exec_lo, exec_lo, s12
	v_lshlrev_b64 v[2:3], 2, v[8:9]
	v_lshl_add_u32 v4, v8, 2, s1
	s_mov_b32 s12, 0
	ds_load_b32 v4, v4
	v_add_co_u32 v2, vcc_lo, s20, v2
	v_add_co_ci_u32_e32 v3, vcc_lo, s21, v3, vcc_lo
	global_load_b32 v5, v[2:3], off
	s_waitcnt lgkmcnt(0)
	v_add_f32_e32 v10, v12, v4
.LBB59_135:                             ;   Parent Loop BB59_130 Depth=1
                                        ; =>  This Inner Loop Header: Depth=2
	s_waitcnt vmcnt(0)
	s_delay_alu instid0(VALU_DEP_1)
	v_add_f32_e32 v4, v5, v10
	global_atomic_cmpswap_b32 v4, v[2:3], v[4:5], off glc
	s_waitcnt vmcnt(0)
	v_cmp_eq_u32_e32 vcc_lo, v4, v5
	v_mov_b32_e32 v5, v4
	s_or_b32 s12, vcc_lo, s12
	s_delay_alu instid0(SALU_CYCLE_1)
	s_and_not1_b32 exec_lo, exec_lo, s12
	s_cbranch_execnz .LBB59_135
; %bb.136:                              ;   in Loop: Header=BB59_130 Depth=1
	s_or_b32 exec_lo, exec_lo, s12
	v_add_co_u32 v8, vcc_lo, v8, s6
	v_add_co_ci_u32_e32 v9, vcc_lo, 0, v9, vcc_lo
	s_delay_alu instid0(VALU_DEP_1) | instskip(SKIP_1) | instid1(SALU_CYCLE_1)
	v_cmp_le_i64_e32 vcc_lo, s[18:19], v[8:9]
	s_or_b32 s10, vcc_lo, s10
	s_and_not1_b32 exec_lo, exec_lo, s10
	s_cbranch_execnz .LBB59_130
.LBB59_137:
	s_or_b32 exec_lo, exec_lo, s0
	s_mov_b32 s0, 0
.LBB59_138:
	s_delay_alu instid0(SALU_CYCLE_1)
	s_and_not1_b32 vcc_lo, exec_lo, s0
	s_cbranch_vccnz .LBB59_167
; %bb.139:
	v_cvt_f32_u32_e32 v13, s7
	s_sub_i32 s1, 0, s7
	v_mov_b32_e32 v11, 0
	s_delay_alu instid0(VALU_DEP_2) | instskip(SKIP_2) | instid1(VALU_DEP_1)
	v_rcp_iflag_f32_e32 v2, v13
	s_waitcnt_depctr 0xfff
	v_mul_f32_e32 v2, 0x4f7ffffe, v2
	v_cvt_u32_f32_e32 v2, v2
	s_delay_alu instid0(VALU_DEP_1) | instskip(NEXT) | instid1(VALU_DEP_1)
	v_mul_lo_u32 v3, s1, v2
	v_mul_hi_u32 v3, v2, v3
	s_delay_alu instid0(VALU_DEP_1) | instskip(NEXT) | instid1(VALU_DEP_1)
	v_add_nc_u32_e32 v2, v2, v3
	v_mul_hi_u32 v2, v0, v2
	s_delay_alu instid0(VALU_DEP_1) | instskip(SKIP_1) | instid1(VALU_DEP_2)
	v_mul_lo_u32 v3, v2, s7
	v_add_nc_u32_e32 v4, 1, v2
	v_sub_nc_u32_e32 v3, v0, v3
	s_delay_alu instid0(VALU_DEP_1) | instskip(SKIP_1) | instid1(VALU_DEP_2)
	v_subrev_nc_u32_e32 v5, s7, v3
	v_cmp_le_u32_e32 vcc_lo, s7, v3
	v_dual_cndmask_b32 v2, v2, v4 :: v_dual_cndmask_b32 v3, v3, v5
	s_delay_alu instid0(VALU_DEP_1) | instskip(NEXT) | instid1(VALU_DEP_2)
	v_add_nc_u32_e32 v4, 1, v2
	v_cmp_le_u32_e32 vcc_lo, s7, v3
	s_delay_alu instid0(VALU_DEP_2) | instskip(NEXT) | instid1(VALU_DEP_1)
	v_cndmask_b32_e32 v10, v2, v4, vcc_lo
	v_lshlrev_b64 v[2:3], 3, v[10:11]
	s_delay_alu instid0(VALU_DEP_1) | instskip(NEXT) | instid1(VALU_DEP_2)
	v_add_co_u32 v2, vcc_lo, s26, v2
	v_add_co_ci_u32_e32 v3, vcc_lo, s27, v3, vcc_lo
	global_load_b128 v[2:5], v[2:3], off
	s_waitcnt vmcnt(0)
	v_sub_co_u32 v8, vcc_lo, v2, s4
	v_subrev_co_ci_u32_e32 v9, vcc_lo, s5, v3, vcc_lo
	v_sub_co_u32 v14, vcc_lo, v4, s4
	v_subrev_co_ci_u32_e32 v16, vcc_lo, s5, v5, vcc_lo
	v_mov_b32_e32 v4, v11
	s_delay_alu instid0(VALU_DEP_3) | instskip(NEXT) | instid1(VALU_DEP_3)
	v_sub_co_u32 v12, vcc_lo, v14, v8
	v_sub_co_ci_u32_e32 v5, vcc_lo, v16, v9, vcc_lo
	s_delay_alu instid0(VALU_DEP_1) | instskip(SKIP_1) | instid1(SALU_CYCLE_1)
	v_cmp_ne_u64_e32 vcc_lo, 0, v[4:5]
                                        ; implicit-def: $vgpr3_vgpr4
	s_and_saveexec_b32 s0, vcc_lo
	s_xor_b32 s5, exec_lo, s0
	s_cbranch_execz .LBB59_141
; %bb.140:
	v_cvt_f32_ubyte0_e32 v3, 0
	s_sub_u32 s0, 0, s7
	s_subb_u32 s6, 0, 0
	s_delay_alu instid0(VALU_DEP_1) | instskip(NEXT) | instid1(VALU_DEP_1)
	v_fmamk_f32 v3, v3, 0x4f800000, v13
	v_rcp_f32_e32 v3, v3
	s_waitcnt_depctr 0xfff
	v_mul_f32_e32 v3, 0x5f7ffffc, v3
	s_delay_alu instid0(VALU_DEP_1) | instskip(NEXT) | instid1(VALU_DEP_1)
	v_mul_f32_e32 v4, 0x2f800000, v3
	v_trunc_f32_e32 v4, v4
	s_delay_alu instid0(VALU_DEP_1) | instskip(SKIP_1) | instid1(VALU_DEP_2)
	v_fmamk_f32 v3, v4, 0xcf800000, v3
	v_cvt_u32_f32_e32 v4, v4
	v_cvt_u32_f32_e32 v3, v3
	s_delay_alu instid0(VALU_DEP_2) | instskip(NEXT) | instid1(VALU_DEP_2)
	v_mul_lo_u32 v13, s0, v4
	v_mul_hi_u32 v17, s0, v3
	v_mul_lo_u32 v18, s6, v3
	s_delay_alu instid0(VALU_DEP_2) | instskip(SKIP_1) | instid1(VALU_DEP_2)
	v_add_nc_u32_e32 v13, v17, v13
	v_mul_lo_u32 v17, s0, v3
	v_add_nc_u32_e32 v13, v13, v18
	s_delay_alu instid0(VALU_DEP_2) | instskip(NEXT) | instid1(VALU_DEP_2)
	v_mul_hi_u32 v18, v3, v17
	v_mul_lo_u32 v19, v3, v13
	v_mul_hi_u32 v20, v3, v13
	v_mul_hi_u32 v21, v4, v17
	v_mul_lo_u32 v17, v4, v17
	v_mul_hi_u32 v22, v4, v13
	v_mul_lo_u32 v13, v4, v13
	v_add_co_u32 v18, vcc_lo, v18, v19
	v_add_co_ci_u32_e32 v19, vcc_lo, 0, v20, vcc_lo
	s_delay_alu instid0(VALU_DEP_2) | instskip(NEXT) | instid1(VALU_DEP_2)
	v_add_co_u32 v17, vcc_lo, v18, v17
	v_add_co_ci_u32_e32 v17, vcc_lo, v19, v21, vcc_lo
	v_add_co_ci_u32_e32 v18, vcc_lo, 0, v22, vcc_lo
	v_ashrrev_i32_e32 v21, 31, v5
	s_delay_alu instid0(VALU_DEP_3) | instskip(NEXT) | instid1(VALU_DEP_3)
	v_add_co_u32 v13, vcc_lo, v17, v13
	v_add_co_ci_u32_e32 v17, vcc_lo, 0, v18, vcc_lo
	s_delay_alu instid0(VALU_DEP_2) | instskip(NEXT) | instid1(VALU_DEP_2)
	v_add_co_u32 v3, vcc_lo, v3, v13
	v_add_co_ci_u32_e32 v4, vcc_lo, v4, v17, vcc_lo
	s_delay_alu instid0(VALU_DEP_2) | instskip(SKIP_1) | instid1(VALU_DEP_3)
	v_mul_hi_u32 v13, s0, v3
	v_mul_lo_u32 v18, s6, v3
	v_mul_lo_u32 v17, s0, v4
	s_delay_alu instid0(VALU_DEP_1) | instskip(SKIP_1) | instid1(VALU_DEP_2)
	v_add_nc_u32_e32 v13, v13, v17
	v_mul_lo_u32 v17, s0, v3
	v_add_nc_u32_e32 v13, v13, v18
	s_delay_alu instid0(VALU_DEP_2) | instskip(NEXT) | instid1(VALU_DEP_2)
	v_mul_hi_u32 v18, v3, v17
	v_mul_lo_u32 v19, v3, v13
	v_mul_hi_u32 v20, v3, v13
	v_mul_hi_u32 v22, v4, v17
	v_mul_lo_u32 v17, v4, v17
	v_mul_hi_u32 v23, v4, v13
	v_mul_lo_u32 v13, v4, v13
	v_add_co_u32 v18, vcc_lo, v18, v19
	v_add_co_ci_u32_e32 v19, vcc_lo, 0, v20, vcc_lo
	s_delay_alu instid0(VALU_DEP_2) | instskip(NEXT) | instid1(VALU_DEP_2)
	v_add_co_u32 v17, vcc_lo, v18, v17
	v_add_co_ci_u32_e32 v17, vcc_lo, v19, v22, vcc_lo
	v_add_co_ci_u32_e32 v18, vcc_lo, 0, v23, vcc_lo
	v_add_co_u32 v12, vcc_lo, v12, v21
	v_add_co_ci_u32_e32 v5, vcc_lo, v5, v21, vcc_lo
	s_delay_alu instid0(VALU_DEP_4) | instskip(NEXT) | instid1(VALU_DEP_4)
	v_add_co_u32 v13, vcc_lo, v17, v13
	v_add_co_ci_u32_e32 v17, vcc_lo, 0, v18, vcc_lo
	s_delay_alu instid0(VALU_DEP_4) | instskip(NEXT) | instid1(VALU_DEP_3)
	v_xor_b32_e32 v19, v12, v21
	v_add_co_u32 v18, vcc_lo, v3, v13
	s_delay_alu instid0(VALU_DEP_3) | instskip(SKIP_1) | instid1(VALU_DEP_3)
	v_add_co_ci_u32_e32 v20, vcc_lo, v4, v17, vcc_lo
	v_xor_b32_e32 v5, v5, v21
	v_mul_hi_u32 v22, v19, v18
	s_delay_alu instid0(VALU_DEP_3) | instskip(NEXT) | instid1(VALU_DEP_3)
	v_mad_u64_u32 v[3:4], null, v19, v20, 0
	v_mad_u64_u32 v[12:13], null, v5, v18, 0
	;; [unrolled: 1-line block ×3, first 2 shown]
	s_delay_alu instid0(VALU_DEP_3) | instskip(NEXT) | instid1(VALU_DEP_4)
	v_add_co_u32 v3, vcc_lo, v22, v3
	v_add_co_ci_u32_e32 v4, vcc_lo, 0, v4, vcc_lo
	s_delay_alu instid0(VALU_DEP_2) | instskip(NEXT) | instid1(VALU_DEP_2)
	v_add_co_u32 v3, vcc_lo, v3, v12
	v_add_co_ci_u32_e32 v3, vcc_lo, v4, v13, vcc_lo
	v_add_co_ci_u32_e32 v4, vcc_lo, 0, v18, vcc_lo
	s_delay_alu instid0(VALU_DEP_2) | instskip(NEXT) | instid1(VALU_DEP_2)
	v_add_co_u32 v17, vcc_lo, v3, v17
	v_add_co_ci_u32_e32 v18, vcc_lo, 0, v4, vcc_lo
	s_delay_alu instid0(VALU_DEP_2) | instskip(NEXT) | instid1(VALU_DEP_1)
	v_mad_u64_u32 v[3:4], null, s7, v17, 0
	v_mad_u64_u32 v[12:13], null, s7, v18, v[4:5]
	s_delay_alu instid0(VALU_DEP_2) | instskip(NEXT) | instid1(VALU_DEP_2)
	v_sub_co_u32 v3, vcc_lo, v19, v3
	v_sub_co_ci_u32_e32 v4, vcc_lo, v5, v12, vcc_lo
	s_delay_alu instid0(VALU_DEP_2) | instskip(NEXT) | instid1(VALU_DEP_2)
	v_sub_co_u32 v5, vcc_lo, v3, s7
	v_subrev_co_ci_u32_e32 v12, vcc_lo, 0, v4, vcc_lo
	s_delay_alu instid0(VALU_DEP_2)
	v_cmp_le_u32_e32 vcc_lo, s7, v5
	v_cmp_eq_u32_e64 s0, 0, v4
	v_cndmask_b32_e64 v5, 0, -1, vcc_lo
	v_add_co_u32 v13, vcc_lo, v17, 2
	v_add_co_ci_u32_e32 v19, vcc_lo, 0, v18, vcc_lo
	v_cmp_le_u32_e32 vcc_lo, s7, v3
	v_cndmask_b32_e64 v3, 0, -1, vcc_lo
	v_cmp_eq_u32_e32 vcc_lo, 0, v12
	s_delay_alu instid0(VALU_DEP_2) | instskip(SKIP_3) | instid1(VALU_DEP_3)
	v_cndmask_b32_e64 v3, -1, v3, s0
	v_cndmask_b32_e32 v5, -1, v5, vcc_lo
	v_add_co_u32 v12, vcc_lo, v17, 1
	v_add_co_ci_u32_e32 v20, vcc_lo, 0, v18, vcc_lo
	v_cmp_ne_u32_e32 vcc_lo, 0, v5
	s_delay_alu instid0(VALU_DEP_2) | instskip(NEXT) | instid1(VALU_DEP_4)
	v_cndmask_b32_e32 v4, v20, v19, vcc_lo
	v_cndmask_b32_e32 v5, v12, v13, vcc_lo
	v_cmp_ne_u32_e32 vcc_lo, 0, v3
                                        ; implicit-def: $vgpr12
	s_delay_alu instid0(VALU_DEP_2) | instskip(NEXT) | instid1(VALU_DEP_1)
	v_dual_cndmask_b32 v3, v18, v4 :: v_dual_cndmask_b32 v4, v17, v5
	v_xor_b32_e32 v5, v3, v21
	s_delay_alu instid0(VALU_DEP_2) | instskip(NEXT) | instid1(VALU_DEP_1)
	v_xor_b32_e32 v4, v4, v21
	v_sub_co_u32 v3, vcc_lo, v4, v21
	s_delay_alu instid0(VALU_DEP_3)
	v_sub_co_ci_u32_e32 v4, vcc_lo, v5, v21, vcc_lo
.LBB59_141:
	s_and_not1_saveexec_b32 s0, s5
	s_cbranch_execz .LBB59_143
; %bb.142:
	v_cvt_f32_u32_e32 v3, s7
	s_delay_alu instid0(VALU_DEP_1) | instskip(SKIP_2) | instid1(VALU_DEP_1)
	v_rcp_iflag_f32_e32 v3, v3
	s_waitcnt_depctr 0xfff
	v_mul_f32_e32 v3, 0x4f7ffffe, v3
	v_cvt_u32_f32_e32 v3, v3
	s_delay_alu instid0(VALU_DEP_1) | instskip(NEXT) | instid1(VALU_DEP_1)
	v_mul_lo_u32 v4, s1, v3
	v_mul_hi_u32 v4, v3, v4
	s_delay_alu instid0(VALU_DEP_1) | instskip(NEXT) | instid1(VALU_DEP_1)
	v_add_nc_u32_e32 v3, v3, v4
	v_mul_hi_u32 v3, v12, v3
	s_delay_alu instid0(VALU_DEP_1) | instskip(SKIP_1) | instid1(VALU_DEP_2)
	v_mul_lo_u32 v4, v3, s7
	v_add_nc_u32_e32 v5, 1, v3
	v_sub_nc_u32_e32 v4, v12, v4
	s_delay_alu instid0(VALU_DEP_1) | instskip(SKIP_1) | instid1(VALU_DEP_2)
	v_subrev_nc_u32_e32 v12, s7, v4
	v_cmp_le_u32_e32 vcc_lo, s7, v4
	v_dual_cndmask_b32 v4, v4, v12 :: v_dual_cndmask_b32 v3, v3, v5
	s_delay_alu instid0(VALU_DEP_1) | instskip(NEXT) | instid1(VALU_DEP_2)
	v_cmp_le_u32_e32 vcc_lo, s7, v4
	v_dual_mov_b32 v4, 0 :: v_dual_add_nc_u32 v5, 1, v3
	s_delay_alu instid0(VALU_DEP_1)
	v_cndmask_b32_e32 v3, v3, v5, vcc_lo
.LBB59_143:
	s_or_b32 exec_lo, exec_lo, s0
	v_mov_b32_e32 v5, 0
	s_mov_b32 s5, exec_lo
	v_cmpx_gt_i64_e64 s[22:23], v[10:11]
	s_cbranch_execz .LBB59_157
; %bb.144:
	s_add_i32 s0, s7, -1
	s_mov_b32 s6, exec_lo
	v_dual_mov_b32 v5, 0 :: v_dual_and_b32 v10, s0, v0
	v_cmpx_lt_i64_e32 0, v[3:4]
	s_cbranch_execz .LBB59_154
; %bb.145:
	v_mov_b32_e32 v11, 0
	v_dual_mov_b32 v12, 0 :: v_dual_mov_b32 v5, 0
	s_mov_b32 s8, exec_lo
	v_cmpx_lt_u64_e32 3, v[3:4]
	s_cbranch_execz .LBB59_149
; %bb.146:
	v_lshlrev_b32_e32 v5, 2, v2
	s_lshl_b32 s0, s7, 2
	s_lshl_b32 s1, s4, 2
	v_and_b32_e32 v12, 0x7fffffff, v4
	v_and_b32_e32 v11, -4, v3
	v_lshl_add_u32 v13, v10, 2, v5
	v_mov_b32_e32 v5, 0
	s_sub_i32 s9, s0, s1
	s_lshl_b32 s0, s7, 3
	s_mul_i32 s12, s7, 12
	s_lshl_b32 s10, s7, 4
	s_sub_i32 s11, s0, s1
	s_sub_i32 s12, s12, s1
	s_mov_b32 s13, 0
	s_sub_i32 s14, 0, s1
	s_mov_b64 s[0:1], 0
	.p2align	6
.LBB59_147:                             ; =>This Inner Loop Header: Depth=1
	v_add_nc_u32_e32 v17, s14, v13
	v_add_nc_u32_e32 v18, s9, v13
	;; [unrolled: 1-line block ×3, first 2 shown]
	s_add_u32 s0, s0, 4
	s_addc_u32 s1, s1, 0
	ds_load_b32 v17, v17
	ds_load_b32 v18, v18
	v_cmp_eq_u64_e32 vcc_lo, s[0:1], v[11:12]
	s_or_b32 s13, vcc_lo, s13
	s_waitcnt lgkmcnt(1)
	v_add_f32_e32 v5, v5, v17
	v_add_nc_u32_e32 v20, s12, v13
	v_add_nc_u32_e32 v13, s10, v13
	s_waitcnt lgkmcnt(0)
	s_delay_alu instid0(VALU_DEP_3)
	v_add_f32_e32 v5, v5, v18
	ds_load_b32 v19, v19
	ds_load_b32 v20, v20
	s_waitcnt lgkmcnt(1)
	v_add_f32_e32 v5, v5, v19
	s_waitcnt lgkmcnt(0)
	s_delay_alu instid0(VALU_DEP_1)
	v_add_f32_e32 v5, v5, v20
	s_and_not1_b32 exec_lo, exec_lo, s13
	s_cbranch_execnz .LBB59_147
; %bb.148:
	s_or_b32 exec_lo, exec_lo, s13
.LBB59_149:
	s_delay_alu instid0(SALU_CYCLE_1) | instskip(SKIP_2) | instid1(VALU_DEP_1)
	s_or_b32 exec_lo, exec_lo, s8
	v_dual_mov_b32 v13, 0 :: v_dual_and_b32 v12, 3, v3
	s_mov_b32 s0, exec_lo
	v_cmpx_ne_u64_e32 0, v[12:13]
	s_cbranch_execz .LBB59_153
; %bb.150:
	v_mul_lo_u32 v11, s7, v11
	s_mov_b32 s1, 0
	s_delay_alu instid0(VALU_DEP_1) | instskip(NEXT) | instid1(VALU_DEP_1)
	v_add3_u32 v2, v10, v11, v2
	v_subrev_nc_u32_e32 v2, s4, v2
	s_lshl_b32 s4, s7, 2
	s_delay_alu instid0(VALU_DEP_1)
	v_lshlrev_b32_e32 v2, 2, v2
.LBB59_151:                             ; =>This Inner Loop Header: Depth=1
	ds_load_b32 v11, v2
	v_add_co_u32 v12, vcc_lo, v12, -1
	v_add_co_ci_u32_e32 v13, vcc_lo, -1, v13, vcc_lo
	v_add_nc_u32_e32 v2, s4, v2
	s_delay_alu instid0(VALU_DEP_2)
	v_cmp_eq_u64_e32 vcc_lo, 0, v[12:13]
	s_or_b32 s1, vcc_lo, s1
	s_waitcnt lgkmcnt(0)
	v_add_f32_e32 v5, v5, v11
	s_and_not1_b32 exec_lo, exec_lo, s1
	s_cbranch_execnz .LBB59_151
; %bb.152:
	s_or_b32 exec_lo, exec_lo, s1
.LBB59_153:
	s_delay_alu instid0(SALU_CYCLE_1)
	s_or_b32 exec_lo, exec_lo, s0
.LBB59_154:
	s_delay_alu instid0(SALU_CYCLE_1) | instskip(SKIP_3) | instid1(VALU_DEP_2)
	s_or_b32 exec_lo, exec_lo, s6
	v_mad_u64_u32 v[12:13], null, v3, s7, v[8:9]
	v_mov_b32_e32 v11, 0
	s_mov_b32 s0, exec_lo
	v_mov_b32_e32 v2, v13
	s_delay_alu instid0(VALU_DEP_1) | instskip(NEXT) | instid1(VALU_DEP_4)
	v_mad_u64_u32 v[8:9], null, v4, s7, v[2:3]
	v_sub_co_u32 v2, vcc_lo, v14, v12
	s_delay_alu instid0(VALU_DEP_2) | instskip(NEXT) | instid1(VALU_DEP_1)
	v_mov_b32_e32 v3, v8
	v_sub_co_ci_u32_e32 v3, vcc_lo, v16, v3, vcc_lo
	s_delay_alu instid0(VALU_DEP_1)
	v_cmpx_gt_i64_e64 v[2:3], v[10:11]
	s_cbranch_execz .LBB59_156
; %bb.155:
	v_add_lshl_u32 v2, v10, v12, 2
	ds_load_b32 v2, v2
	s_waitcnt lgkmcnt(0)
	v_add_f32_e32 v5, v5, v2
.LBB59_156:
	s_or_b32 exec_lo, exec_lo, s0
.LBB59_157:
	s_delay_alu instid0(SALU_CYCLE_1)
	s_or_b32 exec_lo, exec_lo, s5
	s_barrier
	buffer_gl0_inv
	ds_store_b32 v15, v5
	s_waitcnt lgkmcnt(0)
	s_barrier
	buffer_gl0_inv
	s_mov_b32 s0, exec_lo
	v_cmpx_gt_i64_e64 s[22:23], v[0:1]
	s_cbranch_execz .LBB59_167
; %bb.158:
	v_mul_lo_u32 v1, s7, v0
	s_cmp_lt_u32 s7, 8
	s_cbranch_scc1 .LBB59_161
; %bb.159:
	s_delay_alu instid0(VALU_DEP_1)
	v_dual_mov_b32 v3, 0 :: v_dual_lshlrev_b32 v2, 2, v1
	s_and_b32 s0, s7, 0x7ffffff8
	s_mov_b32 s1, 0
	.p2align	6
.LBB59_160:                             ; =>This Inner Loop Header: Depth=1
	ds_load_2addr_b32 v[4:5], v2 offset1:1
	ds_load_2addr_b32 v[8:9], v2 offset0:2 offset1:3
	ds_load_2addr_b32 v[10:11], v2 offset0:4 offset1:5
	;; [unrolled: 1-line block ×3, first 2 shown]
	s_add_i32 s1, s1, 8
	v_add_nc_u32_e32 v2, 32, v2
	s_cmp_eq_u32 s0, s1
	s_waitcnt lgkmcnt(3)
	v_add_f32_e32 v3, v3, v4
	s_delay_alu instid0(VALU_DEP_1) | instskip(SKIP_1) | instid1(VALU_DEP_1)
	v_add_f32_e32 v3, v3, v5
	s_waitcnt lgkmcnt(2)
	v_add_f32_e32 v3, v3, v8
	s_delay_alu instid0(VALU_DEP_1) | instskip(SKIP_1) | instid1(VALU_DEP_1)
	v_add_f32_e32 v3, v3, v9
	;; [unrolled: 4-line block ×3, first 2 shown]
	s_waitcnt lgkmcnt(0)
	v_add_f32_e32 v3, v3, v12
	s_delay_alu instid0(VALU_DEP_1)
	v_add_f32_e32 v3, v3, v13
	s_cbranch_scc0 .LBB59_160
	s_branch .LBB59_162
.LBB59_161:
	v_mov_b32_e32 v3, 0
	s_mov_b32 s0, 0
.LBB59_162:
	s_bfe_u32 s1, s3, 0x30001
	s_delay_alu instid0(SALU_CYCLE_1)
	s_cmp_eq_u32 s1, 0
	s_cbranch_scc1 .LBB59_165
; %bb.163:
	v_add_lshl_u32 v1, s0, v1, 2
.LBB59_164:                             ; =>This Inner Loop Header: Depth=1
	ds_load_b32 v2, v1
	v_add_nc_u32_e32 v1, 4, v1
	s_add_i32 s1, s1, -1
	s_delay_alu instid0(SALU_CYCLE_1)
	s_cmp_lg_u32 s1, 0
	s_waitcnt lgkmcnt(0)
	v_add_f32_e32 v3, v3, v2
	s_cbranch_scc1 .LBB59_164
.LBB59_165:
	v_lshlrev_b64 v[1:2], 2, v[6:7]
	v_lshlrev_b32_e32 v0, 2, v0
	s_lshl_b32 s0, s2, 2
	s_delay_alu instid0(VALU_DEP_1) | instid1(SALU_CYCLE_1)
	v_add3_u32 v0, 0x1000, s0, v0
	s_delay_alu instid0(VALU_DEP_3) | instskip(NEXT) | instid1(VALU_DEP_4)
	v_add_co_u32 v1, vcc_lo, s20, v1
	v_add_co_ci_u32_e32 v2, vcc_lo, s21, v2, vcc_lo
	ds_load_b32 v0, v0
	s_mov_b32 s0, 0
	global_load_b32 v4, v[1:2], off
	s_waitcnt lgkmcnt(0)
	v_add_f32_e32 v0, v3, v0
.LBB59_166:                             ; =>This Inner Loop Header: Depth=1
	s_waitcnt vmcnt(0)
	s_delay_alu instid0(VALU_DEP_1)
	v_add_f32_e32 v3, v4, v0
	global_atomic_cmpswap_b32 v3, v[1:2], v[3:4], off glc
	s_waitcnt vmcnt(0)
	v_cmp_eq_u32_e32 vcc_lo, v3, v4
	v_mov_b32_e32 v4, v3
	s_or_b32 s0, vcc_lo, s0
	s_delay_alu instid0(SALU_CYCLE_1)
	s_and_not1_b32 exec_lo, exec_lo, s0
	s_cbranch_execnz .LBB59_166
.LBB59_167:
	s_endpgm
	.section	.rodata,"a",@progbits
	.p2align	6, 0x0
	.amdhsa_kernel _ZN9rocsparseL27csrmvn_symm_adaptive_kernelIliaaffEEvbT_S1_PKS1_NS_24const_host_device_scalarIT4_EES3_PKT0_PKT1_PKT2_S6_PT3_21rocsparse_index_base_b
		.amdhsa_group_segment_fixed_size 4096
		.amdhsa_private_segment_fixed_size 0
		.amdhsa_kernarg_size 352
		.amdhsa_user_sgpr_count 15
		.amdhsa_user_sgpr_dispatch_ptr 0
		.amdhsa_user_sgpr_queue_ptr 0
		.amdhsa_user_sgpr_kernarg_segment_ptr 1
		.amdhsa_user_sgpr_dispatch_id 0
		.amdhsa_user_sgpr_private_segment_size 0
		.amdhsa_wavefront_size32 1
		.amdhsa_uses_dynamic_stack 0
		.amdhsa_enable_private_segment 0
		.amdhsa_system_sgpr_workgroup_id_x 1
		.amdhsa_system_sgpr_workgroup_id_y 0
		.amdhsa_system_sgpr_workgroup_id_z 0
		.amdhsa_system_sgpr_workgroup_info 0
		.amdhsa_system_vgpr_workitem_id 0
		.amdhsa_next_free_vgpr 24
		.amdhsa_next_free_sgpr 41
		.amdhsa_reserve_vcc 1
		.amdhsa_float_round_mode_32 0
		.amdhsa_float_round_mode_16_64 0
		.amdhsa_float_denorm_mode_32 3
		.amdhsa_float_denorm_mode_16_64 3
		.amdhsa_dx10_clamp 1
		.amdhsa_ieee_mode 1
		.amdhsa_fp16_overflow 0
		.amdhsa_workgroup_processor_mode 1
		.amdhsa_memory_ordered 1
		.amdhsa_forward_progress 0
		.amdhsa_shared_vgpr_count 0
		.amdhsa_exception_fp_ieee_invalid_op 0
		.amdhsa_exception_fp_denorm_src 0
		.amdhsa_exception_fp_ieee_div_zero 0
		.amdhsa_exception_fp_ieee_overflow 0
		.amdhsa_exception_fp_ieee_underflow 0
		.amdhsa_exception_fp_ieee_inexact 0
		.amdhsa_exception_int_div_zero 0
	.end_amdhsa_kernel
	.section	.text._ZN9rocsparseL27csrmvn_symm_adaptive_kernelIliaaffEEvbT_S1_PKS1_NS_24const_host_device_scalarIT4_EES3_PKT0_PKT1_PKT2_S6_PT3_21rocsparse_index_base_b,"axG",@progbits,_ZN9rocsparseL27csrmvn_symm_adaptive_kernelIliaaffEEvbT_S1_PKS1_NS_24const_host_device_scalarIT4_EES3_PKT0_PKT1_PKT2_S6_PT3_21rocsparse_index_base_b,comdat
.Lfunc_end59:
	.size	_ZN9rocsparseL27csrmvn_symm_adaptive_kernelIliaaffEEvbT_S1_PKS1_NS_24const_host_device_scalarIT4_EES3_PKT0_PKT1_PKT2_S6_PT3_21rocsparse_index_base_b, .Lfunc_end59-_ZN9rocsparseL27csrmvn_symm_adaptive_kernelIliaaffEEvbT_S1_PKS1_NS_24const_host_device_scalarIT4_EES3_PKT0_PKT1_PKT2_S6_PT3_21rocsparse_index_base_b
                                        ; -- End function
	.section	.AMDGPU.csdata,"",@progbits
; Kernel info:
; codeLenInByte = 9256
; NumSgprs: 43
; NumVgprs: 24
; ScratchSize: 0
; MemoryBound: 0
; FloatMode: 240
; IeeeMode: 1
; LDSByteSize: 4096 bytes/workgroup (compile time only)
; SGPRBlocks: 5
; VGPRBlocks: 2
; NumSGPRsForWavesPerEU: 43
; NumVGPRsForWavesPerEU: 24
; Occupancy: 16
; WaveLimiterHint : 1
; COMPUTE_PGM_RSRC2:SCRATCH_EN: 0
; COMPUTE_PGM_RSRC2:USER_SGPR: 15
; COMPUTE_PGM_RSRC2:TRAP_HANDLER: 0
; COMPUTE_PGM_RSRC2:TGID_X_EN: 1
; COMPUTE_PGM_RSRC2:TGID_Y_EN: 0
; COMPUTE_PGM_RSRC2:TGID_Z_EN: 0
; COMPUTE_PGM_RSRC2:TIDIG_COMP_CNT: 0
	.section	.text._ZL33csrmvn_symm_large_adaptive_kernelIliaaffEvbT_PKS0_N9rocsparse24const_host_device_scalarIT4_EES2_PKT0_PKT1_PKT2_S6_PT3_21rocsparse_index_base_b,"axG",@progbits,_ZL33csrmvn_symm_large_adaptive_kernelIliaaffEvbT_PKS0_N9rocsparse24const_host_device_scalarIT4_EES2_PKT0_PKT1_PKT2_S6_PT3_21rocsparse_index_base_b,comdat
	.globl	_ZL33csrmvn_symm_large_adaptive_kernelIliaaffEvbT_PKS0_N9rocsparse24const_host_device_scalarIT4_EES2_PKT0_PKT1_PKT2_S6_PT3_21rocsparse_index_base_b ; -- Begin function _ZL33csrmvn_symm_large_adaptive_kernelIliaaffEvbT_PKS0_N9rocsparse24const_host_device_scalarIT4_EES2_PKT0_PKT1_PKT2_S6_PT3_21rocsparse_index_base_b
	.p2align	8
	.type	_ZL33csrmvn_symm_large_adaptive_kernelIliaaffEvbT_PKS0_N9rocsparse24const_host_device_scalarIT4_EES2_PKT0_PKT1_PKT2_S6_PT3_21rocsparse_index_base_b,@function
_ZL33csrmvn_symm_large_adaptive_kernelIliaaffEvbT_PKS0_N9rocsparse24const_host_device_scalarIT4_EES2_PKT0_PKT1_PKT2_S6_PT3_21rocsparse_index_base_b: ; @_ZL33csrmvn_symm_large_adaptive_kernelIliaaffEvbT_PKS0_N9rocsparse24const_host_device_scalarIT4_EES2_PKT0_PKT1_PKT2_S6_PT3_21rocsparse_index_base_b
; %bb.0:
	s_clause 0x2
	s_load_b64 s[6:7], s[0:1], 0x50
	s_load_b64 s[20:21], s[0:1], 0x18
	;; [unrolled: 1-line block ×3, first 2 shown]
	s_mov_b32 s2, s15
	s_waitcnt lgkmcnt(0)
	s_bitcmp1_b32 s7, 0
	s_cselect_b32 s3, -1, 0
	s_delay_alu instid0(SALU_CYCLE_1)
	s_and_b32 vcc_lo, exec_lo, s3
	s_xor_b32 s3, s3, -1
	s_cbranch_vccnz .LBB60_2
; %bb.1:
	s_load_b32 s20, s[20:21], 0x0
.LBB60_2:
	s_and_not1_b32 vcc_lo, exec_lo, s3
	s_cbranch_vccnz .LBB60_4
; %bb.3:
	s_load_b32 s4, s[4:5], 0x0
.LBB60_4:
	s_waitcnt lgkmcnt(0)
	v_cmp_neq_f32_e64 s3, s20, 0
	v_cmp_neq_f32_e64 s4, s4, 1.0
	s_delay_alu instid0(VALU_DEP_1) | instskip(NEXT) | instid1(SALU_CYCLE_1)
	s_or_b32 s3, s3, s4
	s_and_not1_b32 vcc_lo, exec_lo, s3
	s_cbranch_vccnz .LBB60_38
; %bb.5:
	s_load_b64 s[4:5], s[0:1], 0x10
	s_ashr_i32 s3, s2, 31
	v_dual_mov_b32 v1, 0 :: v_dual_lshlrev_b32 v4, 2, v0
	s_lshl_b64 s[2:3], s[2:3], 3
	ds_store_2addr_stride64_b32 v4, v1, v1 offset1:4
	ds_store_2addr_stride64_b32 v4, v1, v1 offset0:8 offset1:12
	s_waitcnt lgkmcnt(0)
	s_barrier
	buffer_gl0_inv
	s_add_u32 s2, s4, s2
	s_addc_u32 s3, s5, s3
	s_load_b128 s[16:19], s[2:3], 0x0
	s_clause 0x1
	s_load_b256 s[8:15], s[0:1], 0x20
	s_load_b64 s[22:23], s[0:1], 0x48
	v_sub_co_u32 v5, s1, v0, s6
	s_delay_alu instid0(VALU_DEP_1) | instskip(SKIP_2) | instid1(VALU_DEP_1)
	v_sub_co_ci_u32_e64 v6, null, 0, 0, s1
	s_waitcnt lgkmcnt(0)
	v_cmp_lt_i64_e64 s0, s[16:17], s[18:19]
	s_and_b32 vcc_lo, exec_lo, s0
	s_cbranch_vccnz .LBB60_7
; %bb.6:
	s_lshl_b64 s[0:1], s[16:17], 3
	s_delay_alu instid0(SALU_CYCLE_1)
	s_add_u32 s0, s8, s0
	s_addc_u32 s1, s9, s1
	s_load_b64 s[24:25], s[0:1], 0x0
	s_cbranch_execz .LBB60_8
	s_branch .LBB60_28
.LBB60_7:
                                        ; implicit-def: $sgpr24_sgpr25
.LBB60_8:
	s_lshl_b64 s[0:1], s[16:17], 3
	v_cmp_gt_u32_e64 s2, 16, v0
	s_add_u32 s0, s8, s0
	s_addc_u32 s1, s9, s1
	v_cmp_gt_u32_e64 s3, 4, v0
	s_waitcnt lgkmcnt(0)
	s_load_b64 s[24:25], s[0:1], 0x0
	v_cmp_gt_u32_e64 s0, 0x100, v0
	v_cmp_gt_u32_e64 s1, 64, v0
	v_cmp_eq_u32_e64 s4, 0, v0
	v_mov_b32_e32 v7, 0
	s_add_u32 s7, s8, 8
	s_addc_u32 s21, s9, 0
	s_mov_b64 s[26:27], s[16:17]
	s_waitcnt lgkmcnt(0)
	s_mov_b64 s[28:29], s[24:25]
	s_branch .LBB60_10
.LBB60_9:                               ;   in Loop: Header=BB60_10 Depth=1
	s_or_b32 exec_lo, exec_lo, s5
	s_add_u32 s26, s26, 1
	s_addc_u32 s27, s27, 0
	s_delay_alu instid0(SALU_CYCLE_1) | instskip(NEXT) | instid1(VALU_DEP_1)
	v_cmp_ge_i64_e64 s5, s[26:27], s[18:19]
	s_and_b32 vcc_lo, exec_lo, s5
	s_cbranch_vccnz .LBB60_28
.LBB60_10:                              ; =>This Loop Header: Depth=1
                                        ;     Child Loop BB60_12 Depth 2
                                        ;     Child Loop BB60_27 Depth 2
	s_lshl_b64 s[30:31], s[26:27], 3
	s_mov_b64 s[34:35], s[28:29]
	s_add_u32 s30, s7, s30
	s_addc_u32 s31, s21, s31
	v_add_co_u32 v0, vcc_lo, s34, v5
	s_load_b64 s[28:29], s[30:31], 0x0
	v_add_co_ci_u32_e32 v1, vcc_lo, s35, v6, vcc_lo
	v_mov_b32_e32 v8, 0
	s_mov_b32 s33, exec_lo
	s_waitcnt lgkmcnt(0)
	s_sub_u32 s30, s28, s6
	s_subb_u32 s31, s29, 0
	s_delay_alu instid0(SALU_CYCLE_1)
	v_cmpx_gt_i64_e64 s[30:31], v[0:1]
	s_cbranch_execz .LBB60_14
; %bb.11:                               ;   in Loop: Header=BB60_10 Depth=1
	v_lshlrev_b64 v[2:3], 2, v[0:1]
	v_mov_b32_e32 v8, 0
	s_mov_b32 s34, 0
	s_delay_alu instid0(VALU_DEP_2) | instskip(NEXT) | instid1(VALU_DEP_3)
	v_add_co_u32 v2, vcc_lo, s10, v2
	v_add_co_ci_u32_e32 v3, vcc_lo, s11, v3, vcc_lo
	.p2align	6
.LBB60_12:                              ;   Parent Loop BB60_10 Depth=1
                                        ; =>  This Inner Loop Header: Depth=2
	global_load_b32 v9, v[2:3], off
	v_add_co_u32 v2, s5, 0x400, v2
	s_delay_alu instid0(VALU_DEP_1) | instskip(SKIP_4) | instid1(VALU_DEP_3)
	v_add_co_ci_u32_e64 v3, s5, 0, v3, s5
	s_waitcnt vmcnt(0)
	v_subrev_nc_u32_e32 v11, s6, v9
	v_add_co_u32 v9, vcc_lo, s12, v0
	v_add_co_ci_u32_e32 v10, vcc_lo, s13, v1, vcc_lo
	v_ashrrev_i32_e32 v12, 31, v11
	v_add_co_u32 v11, vcc_lo, s14, v11
	s_delay_alu instid0(VALU_DEP_2) | instskip(SKIP_4) | instid1(VALU_DEP_1)
	v_add_co_ci_u32_e32 v12, vcc_lo, s15, v12, vcc_lo
	v_add_co_u32 v0, vcc_lo, 0x100, v0
	global_load_i8 v9, v[9:10], off
	global_load_i8 v10, v[11:12], off
	v_add_co_ci_u32_e32 v1, vcc_lo, 0, v1, vcc_lo
	v_cmp_le_i64_e32 vcc_lo, s[30:31], v[0:1]
	s_or_b32 s34, vcc_lo, s34
	s_waitcnt vmcnt(1)
	v_cvt_f32_i32_e32 v9, v9
	s_waitcnt vmcnt(0)
	v_cvt_f32_i32_e32 v10, v10
	s_delay_alu instid0(VALU_DEP_1)
	v_fmac_f32_e32 v8, v9, v10
	s_and_not1_b32 exec_lo, exec_lo, s34
	s_cbranch_execnz .LBB60_12
; %bb.13:                               ;   in Loop: Header=BB60_10 Depth=1
	s_or_b32 exec_lo, exec_lo, s34
.LBB60_14:                              ;   in Loop: Header=BB60_10 Depth=1
	s_delay_alu instid0(SALU_CYCLE_1)
	s_or_b32 exec_lo, exec_lo, s33
	ds_store_b32 v4, v8
	s_waitcnt lgkmcnt(0)
	s_barrier
	buffer_gl0_inv
	s_and_saveexec_b32 s5, s0
	s_cbranch_execz .LBB60_16
; %bb.15:                               ;   in Loop: Header=BB60_10 Depth=1
	ds_load_2addr_stride64_b32 v[0:1], v4 offset1:4
	ds_load_2addr_stride64_b32 v[2:3], v4 offset0:8 offset1:12
	s_waitcnt lgkmcnt(0)
	v_add_f32_e32 v1, v1, v2
	s_delay_alu instid0(VALU_DEP_1) | instskip(NEXT) | instid1(VALU_DEP_1)
	v_add_f32_e32 v1, v1, v3
	v_add_f32_e32 v0, v0, v1
	ds_store_b32 v4, v0
.LBB60_16:                              ;   in Loop: Header=BB60_10 Depth=1
	s_or_b32 exec_lo, exec_lo, s5
	s_waitcnt lgkmcnt(0)
	s_barrier
	buffer_gl0_inv
	s_and_saveexec_b32 s5, s1
	s_cbranch_execz .LBB60_18
; %bb.17:                               ;   in Loop: Header=BB60_10 Depth=1
	ds_load_2addr_stride64_b32 v[0:1], v4 offset1:1
	ds_load_2addr_stride64_b32 v[2:3], v4 offset0:2 offset1:3
	s_waitcnt lgkmcnt(0)
	v_add_f32_e32 v1, v1, v2
	s_delay_alu instid0(VALU_DEP_1) | instskip(NEXT) | instid1(VALU_DEP_1)
	v_add_f32_e32 v1, v1, v3
	v_add_f32_e32 v0, v0, v1
	ds_store_b32 v4, v0
.LBB60_18:                              ;   in Loop: Header=BB60_10 Depth=1
	s_or_b32 exec_lo, exec_lo, s5
	s_waitcnt lgkmcnt(0)
	s_barrier
	buffer_gl0_inv
	s_and_saveexec_b32 s5, s2
	s_cbranch_execz .LBB60_20
; %bb.19:                               ;   in Loop: Header=BB60_10 Depth=1
	ds_load_2addr_b32 v[0:1], v4 offset1:16
	ds_load_2addr_b32 v[2:3], v4 offset0:32 offset1:48
	s_waitcnt lgkmcnt(0)
	v_add_f32_e32 v1, v1, v2
	s_delay_alu instid0(VALU_DEP_1) | instskip(NEXT) | instid1(VALU_DEP_1)
	v_add_f32_e32 v1, v1, v3
	v_add_f32_e32 v0, v0, v1
	ds_store_b32 v4, v0
.LBB60_20:                              ;   in Loop: Header=BB60_10 Depth=1
	s_or_b32 exec_lo, exec_lo, s5
	s_waitcnt lgkmcnt(0)
	s_barrier
	buffer_gl0_inv
	s_and_saveexec_b32 s5, s3
	s_cbranch_execz .LBB60_22
; %bb.21:                               ;   in Loop: Header=BB60_10 Depth=1
	ds_load_2addr_b32 v[0:1], v4 offset1:4
	ds_load_2addr_b32 v[2:3], v4 offset0:8 offset1:12
	s_waitcnt lgkmcnt(0)
	v_add_f32_e32 v1, v1, v2
	s_delay_alu instid0(VALU_DEP_1) | instskip(NEXT) | instid1(VALU_DEP_1)
	v_add_f32_e32 v1, v1, v3
	v_add_f32_e32 v0, v0, v1
	ds_store_b32 v4, v0
.LBB60_22:                              ;   in Loop: Header=BB60_10 Depth=1
	s_or_b32 exec_lo, exec_lo, s5
	s_waitcnt lgkmcnt(0)
	s_barrier
	buffer_gl0_inv
	s_and_saveexec_b32 s5, s4
	s_cbranch_execz .LBB60_24
; %bb.23:                               ;   in Loop: Header=BB60_10 Depth=1
	ds_load_2addr_b32 v[0:1], v7 offset0:1 offset1:2
	ds_load_b32 v2, v7 offset:12
	ds_load_b32 v3, v4
	s_waitcnt lgkmcnt(2)
	v_add_f32_e32 v0, v0, v1
	s_waitcnt lgkmcnt(1)
	s_delay_alu instid0(VALU_DEP_1) | instskip(SKIP_1) | instid1(VALU_DEP_1)
	v_add_f32_e32 v0, v0, v2
	s_waitcnt lgkmcnt(0)
	v_add_f32_e32 v0, v3, v0
	ds_store_b32 v4, v0
.LBB60_24:                              ;   in Loop: Header=BB60_10 Depth=1
	s_or_b32 exec_lo, exec_lo, s5
	s_waitcnt lgkmcnt(0)
	s_barrier
	buffer_gl0_inv
	s_and_saveexec_b32 s5, s4
	s_cbranch_execz .LBB60_9
; %bb.25:                               ;   in Loop: Header=BB60_10 Depth=1
	s_mov_b32 s33, exec_lo
	s_delay_alu instid0(SALU_CYCLE_1) | instskip(NEXT) | instid1(VALU_DEP_1)
	v_mbcnt_lo_u32_b32 v0, s33, 0
	v_cmp_eq_u32_e32 vcc_lo, 0, v0
	s_and_b32 s30, exec_lo, vcc_lo
	s_delay_alu instid0(SALU_CYCLE_1)
	s_mov_b32 exec_lo, s30
	s_cbranch_execz .LBB60_9
; %bb.26:                               ;   in Loop: Header=BB60_10 Depth=1
	s_lshl_b64 s[30:31], s[26:27], 2
	ds_load_b32 v0, v7
	s_add_u32 s30, s22, s30
	s_addc_u32 s31, s23, s31
	s_bcnt1_i32_b32 s33, s33
	global_load_b32 v1, v7, s[30:31]
	v_cvt_f32_ubyte0_e32 v2, s33
	s_mov_b32 s33, 0
	s_waitcnt lgkmcnt(0)
	v_mul_f32_e32 v0, s20, v0
	s_delay_alu instid0(VALU_DEP_1)
	v_mul_f32_e32 v2, v0, v2
.LBB60_27:                              ;   Parent Loop BB60_10 Depth=1
                                        ; =>  This Inner Loop Header: Depth=2
	s_waitcnt vmcnt(0)
	s_delay_alu instid0(VALU_DEP_1)
	v_add_f32_e32 v0, v1, v2
	global_atomic_cmpswap_b32 v0, v7, v[0:1], s[30:31] glc
	s_waitcnt vmcnt(0)
	v_cmp_eq_u32_e32 vcc_lo, v0, v1
	v_mov_b32_e32 v1, v0
	s_or_b32 s33, vcc_lo, s33
	s_delay_alu instid0(SALU_CYCLE_1)
	s_and_not1_b32 exec_lo, exec_lo, s33
	s_cbranch_execnz .LBB60_27
	s_branch .LBB60_9
.LBB60_28:
	s_lshl_b64 s[0:1], s[18:19], 3
	s_waitcnt lgkmcnt(0)
	v_add_co_u32 v0, vcc_lo, s24, v5
	s_add_u32 s0, s8, s0
	s_addc_u32 s1, s9, s1
	v_add_co_ci_u32_e32 v1, vcc_lo, s25, v6, vcc_lo
	s_load_b64 s[0:1], s[0:1], 0x0
	s_waitcnt lgkmcnt(0)
	s_sub_u32 s2, s0, s6
	s_subb_u32 s3, s1, 0
	s_mov_b32 s0, exec_lo
	v_cmpx_gt_i64_e64 s[2:3], v[0:1]
	s_cbranch_execz .LBB60_38
; %bb.29:
	s_add_u32 s4, s18, -1
	s_addc_u32 s5, s19, -1
	s_add_u32 s0, s18, -2
	v_cmp_gt_i64_e64 s7, s[4:5], s[16:17]
	s_addc_u32 s1, s19, -1
	s_delay_alu instid0(SALU_CYCLE_1)
	s_cmp_lg_u64 s[0:1], s[16:17]
	s_cselect_b32 s0, -1, 0
	s_delay_alu instid0(VALU_DEP_1) | instid1(SALU_CYCLE_1)
	s_and_b32 s1, s7, s0
	s_mov_b32 s7, 0
	s_branch .LBB60_31
.LBB60_30:                              ;   in Loop: Header=BB60_31 Depth=1
	s_or_b32 exec_lo, exec_lo, s0
	v_add_co_u32 v0, vcc_lo, 0x100, v0
	v_add_co_ci_u32_e32 v1, vcc_lo, 0, v1, vcc_lo
	s_delay_alu instid0(VALU_DEP_1) | instskip(SKIP_1) | instid1(SALU_CYCLE_1)
	v_cmp_le_i64_e32 vcc_lo, s[2:3], v[0:1]
	s_or_b32 s7, vcc_lo, s7
	s_and_not1_b32 exec_lo, exec_lo, s7
	s_cbranch_execz .LBB60_38
.LBB60_31:                              ; =>This Loop Header: Depth=1
                                        ;     Child Loop BB60_33 Depth 2
                                        ;     Child Loop BB60_37 Depth 2
	v_dual_mov_b32 v2, s16 :: v_dual_mov_b32 v3, s17
	v_dual_mov_b32 v4, s4 :: v_dual_mov_b32 v5, s5
	s_and_not1_b32 vcc_lo, exec_lo, s1
	s_cbranch_vccnz .LBB60_35
; %bb.32:                               ;   in Loop: Header=BB60_31 Depth=1
	v_dual_mov_b32 v2, s16 :: v_dual_mov_b32 v3, s17
	v_dual_mov_b32 v4, s4 :: v_dual_mov_b32 v5, s5
	s_mov_b32 s18, 0
	s_set_inst_prefetch_distance 0x1
	.p2align	6
.LBB60_33:                              ;   Parent Loop BB60_31 Depth=1
                                        ; =>  This Inner Loop Header: Depth=2
	s_delay_alu instid0(VALU_DEP_1) | instskip(NEXT) | instid1(VALU_DEP_2)
	v_add_co_u32 v6, vcc_lo, v4, v2
	v_add_co_ci_u32_e32 v7, vcc_lo, v5, v3, vcc_lo
	s_delay_alu instid0(VALU_DEP_1) | instskip(NEXT) | instid1(VALU_DEP_1)
	v_lshrrev_b32_e32 v8, 31, v7
	v_add_co_u32 v6, vcc_lo, v6, v8
	v_add_co_ci_u32_e32 v7, vcc_lo, 0, v7, vcc_lo
	s_delay_alu instid0(VALU_DEP_1) | instskip(NEXT) | instid1(VALU_DEP_1)
	v_ashrrev_i64 v[6:7], 1, v[6:7]
	v_lshlrev_b64 v[8:9], 3, v[6:7]
	s_delay_alu instid0(VALU_DEP_1) | instskip(NEXT) | instid1(VALU_DEP_2)
	v_add_co_u32 v8, vcc_lo, s8, v8
	v_add_co_ci_u32_e32 v9, vcc_lo, s9, v9, vcc_lo
	global_load_b64 v[8:9], v[8:9], off
	s_waitcnt vmcnt(0)
	v_sub_co_u32 v8, vcc_lo, v8, s6
	v_subrev_co_ci_u32_e32 v9, vcc_lo, 0, v9, vcc_lo
	s_delay_alu instid0(VALU_DEP_1) | instskip(SKIP_2) | instid1(VALU_DEP_2)
	v_cmp_gt_i64_e32 vcc_lo, v[8:9], v[0:1]
	v_dual_cndmask_b32 v5, v5, v7 :: v_dual_cndmask_b32 v4, v4, v6
	v_dual_cndmask_b32 v3, v7, v3 :: v_dual_cndmask_b32 v2, v6, v2
	v_add_co_u32 v6, vcc_lo, v4, -1
	s_delay_alu instid0(VALU_DEP_3) | instskip(NEXT) | instid1(VALU_DEP_3)
	v_add_co_ci_u32_e32 v7, vcc_lo, -1, v5, vcc_lo
	v_cmp_ge_i64_e32 vcc_lo, v[2:3], v[4:5]
	s_delay_alu instid0(VALU_DEP_2) | instskip(NEXT) | instid1(VALU_DEP_1)
	v_cmp_eq_u64_e64 s0, v[2:3], v[6:7]
	s_or_b32 s0, vcc_lo, s0
	s_delay_alu instid0(SALU_CYCLE_1) | instskip(NEXT) | instid1(SALU_CYCLE_1)
	s_and_b32 s0, exec_lo, s0
	s_or_b32 s18, s0, s18
	s_delay_alu instid0(SALU_CYCLE_1)
	s_and_not1_b32 exec_lo, exec_lo, s18
	s_cbranch_execnz .LBB60_33
; %bb.34:                               ;   in Loop: Header=BB60_31 Depth=1
	s_set_inst_prefetch_distance 0x2
	s_or_b32 exec_lo, exec_lo, s18
.LBB60_35:                              ;   in Loop: Header=BB60_31 Depth=1
	s_delay_alu instid0(VALU_DEP_1) | instskip(SKIP_2) | instid1(VALU_DEP_2)
	v_lshlrev_b64 v[6:7], 3, v[4:5]
	v_lshlrev_b64 v[8:9], 2, v[0:1]
	s_mov_b32 s0, exec_lo
	v_add_co_u32 v6, vcc_lo, s8, v6
	s_delay_alu instid0(VALU_DEP_3) | instskip(NEXT) | instid1(VALU_DEP_3)
	v_add_co_ci_u32_e32 v7, vcc_lo, s9, v7, vcc_lo
	v_add_co_u32 v8, vcc_lo, s10, v8
	s_delay_alu instid0(VALU_DEP_4)
	v_add_co_ci_u32_e32 v9, vcc_lo, s11, v9, vcc_lo
	global_load_b64 v[6:7], v[6:7], off
	global_load_b32 v8, v[8:9], off
	s_waitcnt vmcnt(1)
	v_sub_co_u32 v6, vcc_lo, v6, s6
	v_subrev_co_ci_u32_e32 v7, vcc_lo, 0, v7, vcc_lo
	s_delay_alu instid0(VALU_DEP_1) | instskip(SKIP_2) | instid1(VALU_DEP_1)
	v_cmp_gt_i64_e32 vcc_lo, v[6:7], v[0:1]
	s_waitcnt vmcnt(0)
	v_subrev_nc_u32_e32 v6, s6, v8
	v_ashrrev_i32_e32 v7, 31, v6
	v_dual_cndmask_b32 v3, v5, v3 :: v_dual_cndmask_b32 v2, v4, v2
	s_delay_alu instid0(VALU_DEP_1)
	v_cmpx_ne_u64_e64 v[2:3], v[6:7]
	s_cbranch_execz .LBB60_30
; %bb.36:                               ;   in Loop: Header=BB60_31 Depth=1
	v_add_co_u32 v4, vcc_lo, s12, v0
	v_add_co_ci_u32_e32 v5, vcc_lo, s13, v1, vcc_lo
	v_add_co_u32 v2, vcc_lo, s14, v2
	v_add_co_ci_u32_e32 v3, vcc_lo, s15, v3, vcc_lo
	global_load_i8 v8, v[4:5], off
	v_lshlrev_b64 v[4:5], 2, v[6:7]
	s_mov_b32 s18, 0
	global_load_i8 v6, v[2:3], off
	v_add_co_u32 v2, vcc_lo, s22, v4
	v_add_co_ci_u32_e32 v3, vcc_lo, s23, v5, vcc_lo
	global_load_b32 v5, v[2:3], off
	s_waitcnt vmcnt(2)
	v_cvt_f32_i32_e32 v4, v8
	s_waitcnt vmcnt(1)
	v_cvt_f32_i32_e32 v6, v6
	s_delay_alu instid0(VALU_DEP_2) | instskip(NEXT) | instid1(VALU_DEP_1)
	v_mul_f32_e32 v4, s20, v4
	v_mul_f32_e32 v6, v4, v6
.LBB60_37:                              ;   Parent Loop BB60_31 Depth=1
                                        ; =>  This Inner Loop Header: Depth=2
	s_waitcnt vmcnt(0)
	s_delay_alu instid0(VALU_DEP_1)
	v_add_f32_e32 v4, v5, v6
	global_atomic_cmpswap_b32 v4, v[2:3], v[4:5], off glc
	s_waitcnt vmcnt(0)
	v_cmp_eq_u32_e32 vcc_lo, v4, v5
	v_mov_b32_e32 v5, v4
	s_or_b32 s18, vcc_lo, s18
	s_delay_alu instid0(SALU_CYCLE_1)
	s_and_not1_b32 exec_lo, exec_lo, s18
	s_cbranch_execnz .LBB60_37
	s_branch .LBB60_30
.LBB60_38:
	s_endpgm
	.section	.rodata,"a",@progbits
	.p2align	6, 0x0
	.amdhsa_kernel _ZL33csrmvn_symm_large_adaptive_kernelIliaaffEvbT_PKS0_N9rocsparse24const_host_device_scalarIT4_EES2_PKT0_PKT1_PKT2_S6_PT3_21rocsparse_index_base_b
		.amdhsa_group_segment_fixed_size 4096
		.amdhsa_private_segment_fixed_size 0
		.amdhsa_kernarg_size 88
		.amdhsa_user_sgpr_count 15
		.amdhsa_user_sgpr_dispatch_ptr 0
		.amdhsa_user_sgpr_queue_ptr 0
		.amdhsa_user_sgpr_kernarg_segment_ptr 1
		.amdhsa_user_sgpr_dispatch_id 0
		.amdhsa_user_sgpr_private_segment_size 0
		.amdhsa_wavefront_size32 1
		.amdhsa_uses_dynamic_stack 0
		.amdhsa_enable_private_segment 0
		.amdhsa_system_sgpr_workgroup_id_x 1
		.amdhsa_system_sgpr_workgroup_id_y 0
		.amdhsa_system_sgpr_workgroup_id_z 0
		.amdhsa_system_sgpr_workgroup_info 0
		.amdhsa_system_vgpr_workitem_id 0
		.amdhsa_next_free_vgpr 13
		.amdhsa_next_free_sgpr 36
		.amdhsa_reserve_vcc 1
		.amdhsa_float_round_mode_32 0
		.amdhsa_float_round_mode_16_64 0
		.amdhsa_float_denorm_mode_32 3
		.amdhsa_float_denorm_mode_16_64 3
		.amdhsa_dx10_clamp 1
		.amdhsa_ieee_mode 1
		.amdhsa_fp16_overflow 0
		.amdhsa_workgroup_processor_mode 1
		.amdhsa_memory_ordered 1
		.amdhsa_forward_progress 0
		.amdhsa_shared_vgpr_count 0
		.amdhsa_exception_fp_ieee_invalid_op 0
		.amdhsa_exception_fp_denorm_src 0
		.amdhsa_exception_fp_ieee_div_zero 0
		.amdhsa_exception_fp_ieee_overflow 0
		.amdhsa_exception_fp_ieee_underflow 0
		.amdhsa_exception_fp_ieee_inexact 0
		.amdhsa_exception_int_div_zero 0
	.end_amdhsa_kernel
	.section	.text._ZL33csrmvn_symm_large_adaptive_kernelIliaaffEvbT_PKS0_N9rocsparse24const_host_device_scalarIT4_EES2_PKT0_PKT1_PKT2_S6_PT3_21rocsparse_index_base_b,"axG",@progbits,_ZL33csrmvn_symm_large_adaptive_kernelIliaaffEvbT_PKS0_N9rocsparse24const_host_device_scalarIT4_EES2_PKT0_PKT1_PKT2_S6_PT3_21rocsparse_index_base_b,comdat
.Lfunc_end60:
	.size	_ZL33csrmvn_symm_large_adaptive_kernelIliaaffEvbT_PKS0_N9rocsparse24const_host_device_scalarIT4_EES2_PKT0_PKT1_PKT2_S6_PT3_21rocsparse_index_base_b, .Lfunc_end60-_ZL33csrmvn_symm_large_adaptive_kernelIliaaffEvbT_PKS0_N9rocsparse24const_host_device_scalarIT4_EES2_PKT0_PKT1_PKT2_S6_PT3_21rocsparse_index_base_b
                                        ; -- End function
	.section	.AMDGPU.csdata,"",@progbits
; Kernel info:
; codeLenInByte = 1904
; NumSgprs: 38
; NumVgprs: 13
; ScratchSize: 0
; MemoryBound: 0
; FloatMode: 240
; IeeeMode: 1
; LDSByteSize: 4096 bytes/workgroup (compile time only)
; SGPRBlocks: 4
; VGPRBlocks: 1
; NumSGPRsForWavesPerEU: 38
; NumVGPRsForWavesPerEU: 13
; Occupancy: 16
; WaveLimiterHint : 1
; COMPUTE_PGM_RSRC2:SCRATCH_EN: 0
; COMPUTE_PGM_RSRC2:USER_SGPR: 15
; COMPUTE_PGM_RSRC2:TRAP_HANDLER: 0
; COMPUTE_PGM_RSRC2:TGID_X_EN: 1
; COMPUTE_PGM_RSRC2:TGID_Y_EN: 0
; COMPUTE_PGM_RSRC2:TGID_Z_EN: 0
; COMPUTE_PGM_RSRC2:TIDIG_COMP_CNT: 0
	.section	.text._ZN9rocsparseL22csrmvn_adaptive_kernelIllaaffEEvbT_PKS1_PjPKT0_NS_24const_host_device_scalarIT4_EES3_S7_PKT1_PKT2_SA_PT3_21rocsparse_index_base_b,"axG",@progbits,_ZN9rocsparseL22csrmvn_adaptive_kernelIllaaffEEvbT_PKS1_PjPKT0_NS_24const_host_device_scalarIT4_EES3_S7_PKT1_PKT2_SA_PT3_21rocsparse_index_base_b,comdat
	.globl	_ZN9rocsparseL22csrmvn_adaptive_kernelIllaaffEEvbT_PKS1_PjPKT0_NS_24const_host_device_scalarIT4_EES3_S7_PKT1_PKT2_SA_PT3_21rocsparse_index_base_b ; -- Begin function _ZN9rocsparseL22csrmvn_adaptive_kernelIllaaffEEvbT_PKS1_PjPKT0_NS_24const_host_device_scalarIT4_EES3_S7_PKT1_PKT2_SA_PT3_21rocsparse_index_base_b
	.p2align	8
	.type	_ZN9rocsparseL22csrmvn_adaptive_kernelIllaaffEEvbT_PKS1_PjPKT0_NS_24const_host_device_scalarIT4_EES3_S7_PKT1_PKT2_SA_PT3_21rocsparse_index_base_b,@function
_ZN9rocsparseL22csrmvn_adaptive_kernelIllaaffEEvbT_PKS1_PjPKT0_NS_24const_host_device_scalarIT4_EES3_S7_PKT1_PKT2_SA_PT3_21rocsparse_index_base_b: ; @_ZN9rocsparseL22csrmvn_adaptive_kernelIllaaffEEvbT_PKS1_PjPKT0_NS_24const_host_device_scalarIT4_EES3_S7_PKT1_PKT2_SA_PT3_21rocsparse_index_base_b
; %bb.0:
	s_clause 0x2
	s_load_b64 s[38:39], s[0:1], 0x60
	s_load_b64 s[36:37], s[0:1], 0x28
	;; [unrolled: 1-line block ×3, first 2 shown]
	s_mov_b32 s40, s15
	s_waitcnt lgkmcnt(0)
	s_bitcmp1_b32 s39, 0
	s_cselect_b32 s2, -1, 0
	s_delay_alu instid0(SALU_CYCLE_1)
	s_and_b32 vcc_lo, exec_lo, s2
	s_xor_b32 s2, s2, -1
	s_cbranch_vccnz .LBB61_2
; %bb.1:
	s_load_b32 s36, s[36:37], 0x0
.LBB61_2:
	s_and_not1_b32 vcc_lo, exec_lo, s2
	s_cbranch_vccnz .LBB61_4
; %bb.3:
	s_load_b32 s24, s[24:25], 0x0
.LBB61_4:
	s_waitcnt lgkmcnt(0)
	v_cmp_neq_f32_e64 s2, s36, 0
	v_cmp_neq_f32_e64 s3, s24, 1.0
	s_delay_alu instid0(VALU_DEP_1) | instskip(NEXT) | instid1(SALU_CYCLE_1)
	s_or_b32 s2, s2, s3
	s_and_not1_b32 vcc_lo, exec_lo, s2
	s_cbranch_vccnz .LBB61_116
; %bb.5:
	s_clause 0x2
	s_load_b64 s[2:3], s[0:1], 0x10
	s_load_b64 s[6:7], s[0:1], 0x20
	;; [unrolled: 1-line block ×3, first 2 shown]
	s_ashr_i32 s41, s40, 31
	s_delay_alu instid0(SALU_CYCLE_1)
	s_lshl_b64 s[4:5], s[40:41], 3
	s_waitcnt lgkmcnt(0)
	s_add_u32 s2, s2, s4
	s_addc_u32 s3, s3, s5
	s_load_b128 s[20:23], s[2:3], 0x0
	s_load_b256 s[12:19], s[0:1], 0x30
	s_waitcnt lgkmcnt(0)
	s_sub_u32 s2, s22, s20
	s_subb_u32 s3, s23, s21
	s_add_u32 s4, s6, s4
	s_addc_u32 s5, s7, s5
	s_lshl_b64 s[6:7], s[20:21], 3
	s_delay_alu instid0(SALU_CYCLE_1) | instskip(SKIP_4) | instid1(VALU_DEP_1)
	s_add_u32 s34, s12, s6
	s_addc_u32 s35, s13, s7
	s_load_b64 s[28:29], s[4:5], 0x0
	s_load_b64 s[30:31], s[34:35], 0x0
	v_cmp_lt_i64_e64 s4, s[2:3], 2
	s_and_b32 vcc_lo, exec_lo, s4
	s_mov_b32 s4, -1
	s_cbranch_vccz .LBB61_72
; %bb.6:
	s_cmp_lg_u64 s[2:3], 1
	s_cselect_b32 s2, -1, 0
	s_waitcnt lgkmcnt(0)
	s_cmp_lg_u64 s[28:29], 0
	s_cselect_b32 s3, -1, 0
	s_delay_alu instid0(SALU_CYCLE_1) | instskip(NEXT) | instid1(SALU_CYCLE_1)
	s_or_b32 s2, s2, s3
	s_and_b32 vcc_lo, exec_lo, s2
	s_mov_b32 s2, -1
	s_cbranch_vccnz .LBB61_35
; %bb.7:
	v_cmp_le_i64_e64 s2, s[22:23], s[20:21]
	s_delay_alu instid0(VALU_DEP_1)
	s_and_b32 vcc_lo, exec_lo, s2
	s_cbranch_vccnz .LBB61_34
; %bb.8:
	v_sub_co_u32 v5, s2, v0, s38
	s_delay_alu instid0(VALU_DEP_1)
	v_sub_co_ci_u32_e64 v6, null, 0, 0, s2
	v_dual_mov_b32 v8, 0 :: v_dual_lshlrev_b32 v7, 2, v0
	v_cmp_gt_u32_e64 s2, 0x80, v0
	v_cmp_gt_u32_e64 s3, 64, v0
	;; [unrolled: 1-line block ×7, first 2 shown]
	v_cmp_eq_u32_e64 s9, 0, v0
	v_cmp_neq_f32_e64 s25, s24, 0
	s_add_u32 s11, s12, 8
	s_addc_u32 s33, s13, 0
	s_mov_b64 s[44:45], s[30:31]
	s_mov_b64 s[42:43], s[20:21]
	s_branch .LBB61_11
.LBB61_9:                               ;   in Loop: Header=BB61_11 Depth=1
	s_lshl_b64 s[46:47], s[42:43], 2
	s_delay_alu instid0(SALU_CYCLE_1)
	s_add_u32 s46, s26, s46
	s_addc_u32 s47, s27, s47
	s_waitcnt lgkmcnt(0)
	global_store_b32 v8, v1, s[46:47]
.LBB61_10:                              ;   in Loop: Header=BB61_11 Depth=1
	s_or_b32 exec_lo, exec_lo, s10
	s_add_u32 s42, s42, 1
	s_addc_u32 s43, s43, 0
	s_delay_alu instid0(SALU_CYCLE_1) | instskip(NEXT) | instid1(VALU_DEP_1)
	v_cmp_ge_i64_e64 s10, s[42:43], s[22:23]
	s_and_b32 vcc_lo, exec_lo, s10
	s_cbranch_vccnz .LBB61_34
.LBB61_11:                              ; =>This Loop Header: Depth=1
                                        ;     Child Loop BB61_13 Depth 2
	s_lshl_b64 s[46:47], s[42:43], 3
	s_mov_b64 s[48:49], s[44:45]
	s_add_u32 s46, s11, s46
	s_addc_u32 s47, s33, s47
	v_add_co_u32 v1, vcc_lo, s48, v5
	s_load_b64 s[44:45], s[46:47], 0x0
	v_add_co_ci_u32_e32 v2, vcc_lo, s49, v6, vcc_lo
	v_mov_b32_e32 v9, 0
	s_mov_b32 s37, exec_lo
	s_waitcnt lgkmcnt(0)
	s_sub_u32 s46, s44, s38
	s_subb_u32 s47, s45, 0
	s_delay_alu instid0(SALU_CYCLE_1)
	v_cmpx_gt_i64_e64 s[46:47], v[1:2]
	s_cbranch_execz .LBB61_15
; %bb.12:                               ;   in Loop: Header=BB61_11 Depth=1
	v_lshlrev_b64 v[3:4], 3, v[1:2]
	v_mov_b32_e32 v9, 0
	s_mov_b32 s39, 0
	s_delay_alu instid0(VALU_DEP_2) | instskip(NEXT) | instid1(VALU_DEP_3)
	v_add_co_u32 v3, vcc_lo, s14, v3
	v_add_co_ci_u32_e32 v4, vcc_lo, s15, v4, vcc_lo
	.p2align	6
.LBB61_13:                              ;   Parent Loop BB61_11 Depth=1
                                        ; =>  This Inner Loop Header: Depth=2
	global_load_b64 v[10:11], v[3:4], off
	v_add_co_u32 v12, vcc_lo, s16, v1
	v_add_co_ci_u32_e32 v13, vcc_lo, s17, v2, vcc_lo
	v_add_co_u32 v3, s10, 0x800, v3
	s_delay_alu instid0(VALU_DEP_1) | instskip(SKIP_4) | instid1(VALU_DEP_2)
	v_add_co_ci_u32_e64 v4, s10, 0, v4, s10
	global_load_i8 v12, v[12:13], off
	s_waitcnt vmcnt(1)
	v_sub_co_u32 v10, vcc_lo, v10, s38
	v_subrev_co_ci_u32_e32 v11, vcc_lo, 0, v11, vcc_lo
	v_add_co_u32 v10, vcc_lo, s18, v10
	s_delay_alu instid0(VALU_DEP_2)
	v_add_co_ci_u32_e32 v11, vcc_lo, s19, v11, vcc_lo
	v_add_co_u32 v1, vcc_lo, 0x100, v1
	v_add_co_ci_u32_e32 v2, vcc_lo, 0, v2, vcc_lo
	global_load_i8 v10, v[10:11], off
	s_waitcnt vmcnt(1)
	v_cvt_f32_i32_e32 v11, v12
	v_cmp_le_i64_e32 vcc_lo, s[46:47], v[1:2]
	s_delay_alu instid0(VALU_DEP_2) | instskip(SKIP_3) | instid1(VALU_DEP_1)
	v_mul_f32_e32 v11, s36, v11
	s_or_b32 s39, vcc_lo, s39
	s_waitcnt vmcnt(0)
	v_cvt_f32_i32_e32 v10, v10
	v_fmac_f32_e32 v9, v11, v10
	s_and_not1_b32 exec_lo, exec_lo, s39
	s_cbranch_execnz .LBB61_13
; %bb.14:                               ;   in Loop: Header=BB61_11 Depth=1
	s_or_b32 exec_lo, exec_lo, s39
.LBB61_15:                              ;   in Loop: Header=BB61_11 Depth=1
	s_delay_alu instid0(SALU_CYCLE_1)
	s_or_b32 exec_lo, exec_lo, s37
	ds_store_b32 v7, v9
	s_waitcnt lgkmcnt(0)
	s_waitcnt_vscnt null, 0x0
	s_barrier
	buffer_gl0_inv
	s_and_saveexec_b32 s10, s2
	s_cbranch_execz .LBB61_17
; %bb.16:                               ;   in Loop: Header=BB61_11 Depth=1
	ds_load_2addr_stride64_b32 v[1:2], v7 offset1:2
	s_waitcnt lgkmcnt(0)
	v_add_f32_e32 v1, v1, v2
	ds_store_b32 v7, v1
.LBB61_17:                              ;   in Loop: Header=BB61_11 Depth=1
	s_or_b32 exec_lo, exec_lo, s10
	s_waitcnt lgkmcnt(0)
	s_barrier
	buffer_gl0_inv
	s_and_saveexec_b32 s10, s3
	s_cbranch_execz .LBB61_19
; %bb.18:                               ;   in Loop: Header=BB61_11 Depth=1
	ds_load_2addr_stride64_b32 v[1:2], v7 offset1:1
	s_waitcnt lgkmcnt(0)
	v_add_f32_e32 v1, v1, v2
	ds_store_b32 v7, v1
.LBB61_19:                              ;   in Loop: Header=BB61_11 Depth=1
	s_or_b32 exec_lo, exec_lo, s10
	s_waitcnt lgkmcnt(0)
	s_barrier
	buffer_gl0_inv
	s_and_saveexec_b32 s10, s4
	s_cbranch_execz .LBB61_21
; %bb.20:                               ;   in Loop: Header=BB61_11 Depth=1
	ds_load_2addr_b32 v[1:2], v7 offset1:32
	s_waitcnt lgkmcnt(0)
	v_add_f32_e32 v1, v1, v2
	ds_store_b32 v7, v1
.LBB61_21:                              ;   in Loop: Header=BB61_11 Depth=1
	s_or_b32 exec_lo, exec_lo, s10
	s_waitcnt lgkmcnt(0)
	s_barrier
	buffer_gl0_inv
	s_and_saveexec_b32 s10, s5
	s_cbranch_execz .LBB61_23
; %bb.22:                               ;   in Loop: Header=BB61_11 Depth=1
	ds_load_2addr_b32 v[1:2], v7 offset1:16
	s_waitcnt lgkmcnt(0)
	v_add_f32_e32 v1, v1, v2
	ds_store_b32 v7, v1
.LBB61_23:                              ;   in Loop: Header=BB61_11 Depth=1
	;; [unrolled: 12-line block ×5, first 2 shown]
	s_or_b32 exec_lo, exec_lo, s10
	s_waitcnt lgkmcnt(0)
	s_barrier
	buffer_gl0_inv
	s_and_saveexec_b32 s10, s9
	s_cbranch_execz .LBB61_31
; %bb.30:                               ;   in Loop: Header=BB61_11 Depth=1
	ds_load_b64 v[1:2], v8
	s_waitcnt lgkmcnt(0)
	v_add_f32_e32 v1, v1, v2
	ds_store_b32 v8, v1
.LBB61_31:                              ;   in Loop: Header=BB61_11 Depth=1
	s_or_b32 exec_lo, exec_lo, s10
	s_waitcnt lgkmcnt(0)
	s_barrier
	buffer_gl0_inv
	s_and_saveexec_b32 s10, s9
	s_cbranch_execz .LBB61_10
; %bb.32:                               ;   in Loop: Header=BB61_11 Depth=1
	ds_load_b32 v1, v8
	s_and_not1_b32 vcc_lo, exec_lo, s25
	s_cbranch_vccnz .LBB61_9
; %bb.33:                               ;   in Loop: Header=BB61_11 Depth=1
	s_lshl_b64 s[46:47], s[42:43], 2
	s_delay_alu instid0(SALU_CYCLE_1)
	s_add_u32 s46, s26, s46
	s_addc_u32 s47, s27, s47
	global_load_b32 v2, v8, s[46:47]
	s_waitcnt vmcnt(0) lgkmcnt(0)
	v_fmac_f32_e32 v1, s24, v2
	s_branch .LBB61_9
.LBB61_34:
	s_mov_b32 s2, 0
.LBB61_35:
	s_delay_alu instid0(SALU_CYCLE_1)
	s_and_not1_b32 vcc_lo, exec_lo, s2
	s_cbranch_vccnz .LBB61_71
; %bb.36:
	s_load_b64 s[6:7], s[0:1], 0x18
	s_sub_u32 s8, s40, s28
	s_subb_u32 s9, s41, s29
	s_lshl_b64 s[2:3], s[40:41], 2
	v_cmp_eq_u32_e32 vcc_lo, 0, v0
	v_mov_b32_e32 v5, 0
	s_waitcnt lgkmcnt(0)
	s_add_u32 s4, s6, s2
	s_addc_u32 s5, s7, s3
	s_cmp_eq_u64 s[28:29], 0
	s_load_b32 s25, s[4:5], 0x0
	s_cselect_b32 s2, -1, 0
	s_cmp_lg_u64 s[28:29], 0
	s_cselect_b32 s33, -1, 0
	s_and_b32 s2, vcc_lo, s2
	s_delay_alu instid0(SALU_CYCLE_1)
	s_and_saveexec_b32 s3, s2
	s_cbranch_execz .LBB61_40
; %bb.37:
	s_lshl_b64 s[40:41], s[20:21], 2
	s_mov_b32 s11, exec_lo
	s_add_u32 s40, s26, s40
	s_addc_u32 s41, s27, s41
	v_mbcnt_lo_u32_b32 v2, s11, 0
	s_load_b32 s10, s[40:41], 0x0
	v_add_f32_e64 v1, s24, -1.0
	s_mov_b32 s37, exec_lo
	s_waitcnt vmcnt(0) expcnt(0) lgkmcnt(0)
	s_waitcnt_vscnt null, 0x0
	v_cmpx_eq_u32_e32 0, v2
	s_cbranch_execz .LBB61_39
; %bb.38:
	s_lshl_b64 s[40:41], s[8:9], 2
	s_delay_alu instid0(SALU_CYCLE_1) | instskip(SKIP_2) | instid1(SALU_CYCLE_1)
	s_add_u32 s40, s6, s40
	s_addc_u32 s41, s7, s41
	s_bcnt1_i32_b32 s2, s11
	s_and_b32 s2, s2, 1
	s_delay_alu instid0(SALU_CYCLE_1)
	v_dual_mov_b32 v2, 0 :: v_dual_mov_b32 v3, s2
	global_atomic_xor_b32 v2, v3, s[40:41]
.LBB61_39:
	s_or_b32 exec_lo, exec_lo, s37
	v_mul_f32_e32 v5, s10, v1
.LBB61_40:
	s_or_b32 exec_lo, exec_lo, s3
	s_load_b64 s[10:11], s[34:35], 0x8
	s_mul_i32 s2, s29, 0xc00
	s_mul_hi_u32 s3, s28, 0xc00
	s_delay_alu instid0(SALU_CYCLE_1)
	s_add_i32 s3, s3, s2
	s_mul_i32 s2, s28, 0xc00
	s_sub_u32 s37, s30, s38
	s_subb_u32 s40, s31, 0
	s_add_u32 s39, s37, s2
	s_addc_u32 s3, s40, s3
	v_add_co_u32 v1, s2, s39, v0
	s_delay_alu instid0(VALU_DEP_1) | instskip(SKIP_4) | instid1(SALU_CYCLE_1)
	v_add_co_ci_u32_e64 v2, null, s3, 0, s2
	s_mov_b32 s37, exec_lo
	s_waitcnt lgkmcnt(0)
	s_sub_u32 s10, s10, s38
	s_subb_u32 s11, s11, 0
	v_cmpx_gt_i64_e64 s[10:11], v[1:2]
	s_cbranch_execz .LBB61_44
; %bb.41:
	v_lshlrev_b64 v[3:4], 3, v[1:2]
	s_add_u32 s40, s39, 0xc00
	s_addc_u32 s41, s3, 0
	s_mov_b32 s39, 0
	v_cmp_lt_i64_e64 s3, s[40:41], s[10:11]
	s_delay_alu instid0(VALU_DEP_2) | instskip(NEXT) | instid1(VALU_DEP_1)
	v_add_co_u32 v3, s2, s14, v3
	v_add_co_ci_u32_e64 v4, s2, s15, v4, s2
	s_delay_alu instid0(VALU_DEP_3)
	s_and_b32 s2, s3, exec_lo
	s_cselect_b32 s11, s41, s11
	s_cselect_b32 s10, s40, s10
	s_set_inst_prefetch_distance 0x1
	.p2align	6
.LBB61_42:                              ; =>This Inner Loop Header: Depth=1
	global_load_b64 v[6:7], v[3:4], off
	v_add_co_u32 v8, s2, s16, v1
	s_delay_alu instid0(VALU_DEP_1) | instskip(SKIP_1) | instid1(VALU_DEP_1)
	v_add_co_ci_u32_e64 v9, s2, s17, v2, s2
	v_add_co_u32 v3, s3, 0x800, v3
	v_add_co_ci_u32_e64 v4, s3, 0, v4, s3
	global_load_i8 v8, v[8:9], off
	s_waitcnt vmcnt(1)
	v_sub_co_u32 v6, s2, v6, s38
	s_delay_alu instid0(VALU_DEP_1) | instskip(NEXT) | instid1(VALU_DEP_2)
	v_subrev_co_ci_u32_e64 v7, s2, 0, v7, s2
	v_add_co_u32 v6, s2, s18, v6
	s_delay_alu instid0(VALU_DEP_1) | instskip(SKIP_1) | instid1(VALU_DEP_1)
	v_add_co_ci_u32_e64 v7, s2, s19, v7, s2
	v_add_co_u32 v1, s2, 0x100, v1
	v_add_co_ci_u32_e64 v2, s2, 0, v2, s2
	global_load_i8 v6, v[6:7], off
	s_waitcnt vmcnt(1)
	v_cvt_f32_i32_e32 v7, v8
	v_cmp_le_i64_e64 s2, s[10:11], v[1:2]
	s_delay_alu instid0(VALU_DEP_2) | instskip(NEXT) | instid1(VALU_DEP_2)
	v_mul_f32_e32 v7, s36, v7
	s_or_b32 s39, s2, s39
	s_waitcnt vmcnt(0)
	v_cvt_f32_i32_e32 v6, v6
	s_delay_alu instid0(VALU_DEP_1)
	v_fmac_f32_e32 v5, v7, v6
	s_and_not1_b32 exec_lo, exec_lo, s39
	s_cbranch_execnz .LBB61_42
; %bb.43:
	s_set_inst_prefetch_distance 0x2
	s_or_b32 exec_lo, exec_lo, s39
.LBB61_44:
	s_delay_alu instid0(SALU_CYCLE_1)
	s_or_b32 exec_lo, exec_lo, s37
	v_lshlrev_b32_e32 v1, 2, v0
	s_mov_b32 s3, exec_lo
	ds_store_b32 v1, v5
	s_waitcnt lgkmcnt(0)
	s_waitcnt_vscnt null, 0x0
	s_barrier
	buffer_gl0_inv
	v_cmpx_gt_u32_e32 0x80, v0
	s_cbranch_execz .LBB61_46
; %bb.45:
	ds_load_2addr_stride64_b32 v[2:3], v1 offset1:2
	s_waitcnt lgkmcnt(0)
	v_add_f32_e32 v2, v2, v3
	ds_store_b32 v1, v2
.LBB61_46:
	s_or_b32 exec_lo, exec_lo, s3
	s_delay_alu instid0(SALU_CYCLE_1)
	s_mov_b32 s3, exec_lo
	s_waitcnt lgkmcnt(0)
	s_barrier
	buffer_gl0_inv
	v_cmpx_gt_u32_e32 64, v0
	s_cbranch_execz .LBB61_48
; %bb.47:
	ds_load_2addr_stride64_b32 v[2:3], v1 offset1:1
	s_waitcnt lgkmcnt(0)
	v_add_f32_e32 v2, v2, v3
	ds_store_b32 v1, v2
.LBB61_48:
	s_or_b32 exec_lo, exec_lo, s3
	s_delay_alu instid0(SALU_CYCLE_1)
	s_mov_b32 s3, exec_lo
	s_waitcnt lgkmcnt(0)
	s_barrier
	buffer_gl0_inv
	v_cmpx_gt_u32_e32 32, v0
	s_cbranch_execz .LBB61_50
; %bb.49:
	ds_load_2addr_b32 v[2:3], v1 offset1:32
	s_waitcnt lgkmcnt(0)
	v_add_f32_e32 v2, v2, v3
	ds_store_b32 v1, v2
.LBB61_50:
	s_or_b32 exec_lo, exec_lo, s3
	s_delay_alu instid0(SALU_CYCLE_1)
	s_mov_b32 s3, exec_lo
	s_waitcnt lgkmcnt(0)
	s_barrier
	buffer_gl0_inv
	v_cmpx_gt_u32_e32 16, v0
	s_cbranch_execz .LBB61_52
; %bb.51:
	ds_load_2addr_b32 v[2:3], v1 offset1:16
	s_waitcnt lgkmcnt(0)
	v_add_f32_e32 v2, v2, v3
	ds_store_b32 v1, v2
.LBB61_52:
	s_or_b32 exec_lo, exec_lo, s3
	s_delay_alu instid0(SALU_CYCLE_1)
	s_mov_b32 s3, exec_lo
	s_waitcnt lgkmcnt(0)
	s_barrier
	buffer_gl0_inv
	v_cmpx_gt_u32_e32 8, v0
	s_cbranch_execz .LBB61_54
; %bb.53:
	ds_load_2addr_b32 v[2:3], v1 offset1:8
	s_waitcnt lgkmcnt(0)
	v_add_f32_e32 v2, v2, v3
	ds_store_b32 v1, v2
.LBB61_54:
	s_or_b32 exec_lo, exec_lo, s3
	s_delay_alu instid0(SALU_CYCLE_1)
	s_mov_b32 s3, exec_lo
	s_waitcnt lgkmcnt(0)
	s_barrier
	buffer_gl0_inv
	v_cmpx_gt_u32_e32 4, v0
	s_cbranch_execz .LBB61_56
; %bb.55:
	ds_load_2addr_b32 v[2:3], v1 offset1:4
	s_waitcnt lgkmcnt(0)
	v_add_f32_e32 v2, v2, v3
	ds_store_b32 v1, v2
.LBB61_56:
	s_or_b32 exec_lo, exec_lo, s3
	s_delay_alu instid0(SALU_CYCLE_1)
	s_mov_b32 s3, exec_lo
	s_waitcnt lgkmcnt(0)
	s_barrier
	buffer_gl0_inv
	v_cmpx_gt_u32_e32 2, v0
	s_cbranch_execz .LBB61_58
; %bb.57:
	ds_load_2addr_b32 v[2:3], v1 offset1:2
	s_waitcnt lgkmcnt(0)
	v_add_f32_e32 v2, v2, v3
	ds_store_b32 v1, v2
.LBB61_58:
	s_or_b32 exec_lo, exec_lo, s3
	s_waitcnt lgkmcnt(0)
	s_barrier
	buffer_gl0_inv
	s_and_saveexec_b32 s2, vcc_lo
	s_cbranch_execz .LBB61_60
; %bb.59:
	v_mov_b32_e32 v3, 0
	ds_load_b64 v[1:2], v3
	s_waitcnt lgkmcnt(0)
	v_add_f32_e32 v1, v1, v2
	ds_store_b32 v3, v1
.LBB61_60:
	s_or_b32 exec_lo, exec_lo, s2
	s_waitcnt lgkmcnt(0)
	s_barrier
	buffer_gl0_inv
	s_and_saveexec_b32 s10, vcc_lo
	s_cbranch_execz .LBB61_70
; %bb.61:
	s_and_not1_b32 vcc_lo, exec_lo, s33
	s_cbranch_vccnz .LBB61_67
; %bb.62:
	s_lshl_b64 s[2:3], s[8:9], 2
	v_mov_b32_e32 v1, 0
	s_add_u32 s2, s6, s2
	s_addc_u32 s3, s7, s3
	s_branch .LBB61_64
.LBB61_63:                              ;   in Loop: Header=BB61_64 Depth=1
	s_or_b32 exec_lo, exec_lo, s6
	s_waitcnt vmcnt(0)
	v_readfirstlane_b32 s6, v2
	s_delay_alu instid0(VALU_DEP_1)
	s_cmp_eq_u32 s6, s25
	s_cbranch_scc0 .LBB61_66
.LBB61_64:                              ; =>This Inner Loop Header: Depth=1
	v_mbcnt_lo_u32_b32 v2, exec_lo, 0
	s_delay_alu instid0(VALU_DEP_1)
	v_cmp_eq_u32_e32 vcc_lo, 0, v2
                                        ; implicit-def: $vgpr2
	s_and_saveexec_b32 s6, vcc_lo
	s_cbranch_execz .LBB61_63
; %bb.65:                               ;   in Loop: Header=BB61_64 Depth=1
	global_load_b32 v2, v1, s[2:3] glc
	s_branch .LBB61_63
.LBB61_66:
	v_mov_b32_e32 v1, 0
	global_load_b32 v2, v1, s[4:5]
	s_waitcnt vmcnt(0)
	v_xor_b32_e32 v2, 1, v2
	global_store_b32 v1, v2, s[4:5]
.LBB61_67:
	s_mov_b32 s5, exec_lo
	s_mov_b32 s4, 0
	v_mbcnt_lo_u32_b32 v1, s5, 0
	s_delay_alu instid0(VALU_DEP_1) | instskip(SKIP_1) | instid1(SALU_CYCLE_1)
	v_cmp_eq_u32_e32 vcc_lo, 0, v1
	s_and_b32 s2, exec_lo, vcc_lo
	s_mov_b32 exec_lo, s2
	s_cbranch_execz .LBB61_70
; %bb.68:
	s_lshl_b64 s[2:3], s[20:21], 2
	s_delay_alu instid0(SALU_CYCLE_1) | instskip(SKIP_2) | instid1(SALU_CYCLE_1)
	s_add_u32 s2, s26, s2
	s_addc_u32 s3, s27, s3
	s_bcnt1_i32_b32 s5, s5
	v_cvt_f32_ubyte0_e32 v4, s5
	v_mov_b32_e32 v3, 0
	global_load_b32 v2, v3, s[2:3]
	ds_load_b32 v1, v3
	s_waitcnt lgkmcnt(0)
	v_mul_f32_e32 v4, v1, v4
.LBB61_69:                              ; =>This Inner Loop Header: Depth=1
	s_waitcnt vmcnt(0)
	s_delay_alu instid0(VALU_DEP_1)
	v_add_f32_e32 v1, v2, v4
	global_atomic_cmpswap_b32 v1, v3, v[1:2], s[2:3] glc
	s_waitcnt vmcnt(0)
	v_cmp_eq_u32_e32 vcc_lo, v1, v2
	v_mov_b32_e32 v2, v1
	s_or_b32 s4, vcc_lo, s4
	s_delay_alu instid0(SALU_CYCLE_1)
	s_and_not1_b32 exec_lo, exec_lo, s4
	s_cbranch_execnz .LBB61_69
.LBB61_70:
	s_or_b32 exec_lo, exec_lo, s10
.LBB61_71:
	s_mov_b32 s4, 0
.LBB61_72:
	s_delay_alu instid0(SALU_CYCLE_1)
	s_and_not1_b32 vcc_lo, exec_lo, s4
	s_cbranch_vccnz .LBB61_116
; %bb.73:
	s_load_b64 s[0:1], s[0:1], 0x8
	v_sub_co_u32 v1, s2, v0, s38
	s_delay_alu instid0(VALU_DEP_1) | instskip(SKIP_1) | instid1(VALU_DEP_2)
	v_sub_co_ci_u32_e64 v2, null, 0, 0, s2
	s_waitcnt lgkmcnt(0)
	v_add_co_u32 v1, vcc_lo, s30, v1
	s_delay_alu instid0(VALU_DEP_2) | instskip(NEXT) | instid1(VALU_DEP_2)
	v_add_co_ci_u32_e32 v2, vcc_lo, s31, v2, vcc_lo
	v_add_co_u32 v3, vcc_lo, 0x300, v1
	s_delay_alu instid0(VALU_DEP_2) | instskip(NEXT) | instid1(VALU_DEP_1)
	v_add_co_ci_u32_e32 v4, vcc_lo, 0, v2, vcc_lo
	v_cmp_le_i64_e32 vcc_lo, s[0:1], v[3:4]
	s_and_saveexec_b32 s0, vcc_lo
	s_delay_alu instid0(SALU_CYCLE_1)
	s_xor_b32 s1, exec_lo, s0
	s_cbranch_execz .LBB61_78
; %bb.74:
	s_lshl_b64 s[2:3], s[22:23], 3
	s_mov_b32 s4, exec_lo
	s_add_u32 s2, s12, s2
	s_addc_u32 s3, s13, s3
	s_load_b64 s[2:3], s[2:3], 0x0
	s_waitcnt lgkmcnt(0)
	s_sub_u32 s2, s2, s38
	s_subb_u32 s3, s3, 0
	s_delay_alu instid0(SALU_CYCLE_1)
	v_cmpx_gt_i64_e64 s[2:3], v[1:2]
	s_cbranch_execz .LBB61_77
; %bb.75:
	v_lshlrev_b64 v[3:4], 3, v[1:2]
	v_lshlrev_b32_e32 v5, 2, v0
	s_mov_b32 s5, 0
	s_delay_alu instid0(VALU_DEP_2) | instskip(NEXT) | instid1(VALU_DEP_3)
	v_add_co_u32 v3, vcc_lo, s14, v3
	v_add_co_ci_u32_e32 v4, vcc_lo, s15, v4, vcc_lo
	s_set_inst_prefetch_distance 0x1
	.p2align	6
.LBB61_76:                              ; =>This Inner Loop Header: Depth=1
	global_load_b64 v[6:7], v[3:4], off
	v_add_co_u32 v8, vcc_lo, s16, v1
	v_add_co_ci_u32_e32 v9, vcc_lo, s17, v2, vcc_lo
	global_load_i8 v8, v[8:9], off
	s_waitcnt vmcnt(1)
	v_sub_co_u32 v6, vcc_lo, v6, s38
	v_subrev_co_ci_u32_e32 v7, vcc_lo, 0, v7, vcc_lo
	s_delay_alu instid0(VALU_DEP_2) | instskip(NEXT) | instid1(VALU_DEP_2)
	v_add_co_u32 v6, vcc_lo, s18, v6
	v_add_co_ci_u32_e32 v7, vcc_lo, s19, v7, vcc_lo
	v_add_co_u32 v1, vcc_lo, 0x100, v1
	v_add_co_ci_u32_e32 v2, vcc_lo, 0, v2, vcc_lo
	global_load_i8 v6, v[6:7], off
	s_waitcnt vmcnt(1)
	v_cvt_f32_i32_e32 v7, v8
	v_add_co_u32 v3, vcc_lo, 0x800, v3
	v_cmp_le_i64_e64 s0, s[2:3], v[1:2]
	v_add_co_ci_u32_e32 v4, vcc_lo, 0, v4, vcc_lo
	s_delay_alu instid0(VALU_DEP_4) | instskip(NEXT) | instid1(VALU_DEP_3)
	v_mul_f32_e32 v7, s36, v7
	s_or_b32 s5, s0, s5
	s_waitcnt vmcnt(0)
	v_cvt_f32_i32_e32 v6, v6
	s_delay_alu instid0(VALU_DEP_1)
	v_mul_f32_e32 v6, v7, v6
	ds_store_b32 v5, v6
	v_add_nc_u32_e32 v5, 0x400, v5
	s_and_not1_b32 exec_lo, exec_lo, s5
	s_cbranch_execnz .LBB61_76
.LBB61_77:
	s_set_inst_prefetch_distance 0x2
	s_or_b32 exec_lo, exec_lo, s4
                                        ; implicit-def: $vgpr1
.LBB61_78:
	s_or_saveexec_b32 s0, s1
	v_lshlrev_b32_e32 v9, 2, v0
	s_xor_b32 exec_lo, exec_lo, s0
	s_cbranch_execz .LBB61_80
; %bb.79:
	v_lshlrev_b64 v[3:4], 3, v[1:2]
	s_delay_alu instid0(VALU_DEP_1) | instskip(NEXT) | instid1(VALU_DEP_2)
	v_add_co_u32 v3, vcc_lo, s14, v3
	v_add_co_ci_u32_e32 v4, vcc_lo, s15, v4, vcc_lo
	s_clause 0x1
	global_load_b64 v[5:6], v[3:4], off
	global_load_b64 v[7:8], v[3:4], off offset:2048
	v_add_co_u32 v3, vcc_lo, 0x1000, v3
	v_add_co_ci_u32_e32 v4, vcc_lo, 0, v4, vcc_lo
	v_add_co_u32 v1, vcc_lo, s16, v1
	s_clause 0x1
	global_load_b64 v[10:11], v[3:4], off
	global_load_b64 v[3:4], v[3:4], off offset:2048
	v_add_co_ci_u32_e32 v2, vcc_lo, s17, v2, vcc_lo
	s_clause 0x3
	global_load_i8 v12, v[1:2], off
	global_load_i8 v13, v[1:2], off offset:256
	global_load_i8 v14, v[1:2], off offset:512
	;; [unrolled: 1-line block ×3, first 2 shown]
	s_waitcnt vmcnt(7)
	v_sub_co_u32 v1, vcc_lo, v5, s38
	v_subrev_co_ci_u32_e32 v2, vcc_lo, 0, v6, vcc_lo
	s_waitcnt vmcnt(6)
	v_sub_co_u32 v5, vcc_lo, v7, s38
	v_subrev_co_ci_u32_e32 v6, vcc_lo, 0, v8, vcc_lo
	v_add_co_u32 v1, vcc_lo, s18, v1
	v_add_co_ci_u32_e32 v2, vcc_lo, s19, v2, vcc_lo
	s_delay_alu instid0(VALU_DEP_4) | instskip(NEXT) | instid1(VALU_DEP_4)
	v_add_co_u32 v5, vcc_lo, s18, v5
	v_add_co_ci_u32_e32 v6, vcc_lo, s19, v6, vcc_lo
	s_waitcnt vmcnt(5)
	v_sub_co_u32 v7, vcc_lo, v10, s38
	v_subrev_co_ci_u32_e32 v8, vcc_lo, 0, v11, vcc_lo
	s_waitcnt vmcnt(4)
	v_sub_co_u32 v10, vcc_lo, v3, s38
	v_subrev_co_ci_u32_e32 v11, vcc_lo, 0, v4, vcc_lo
	v_add_co_u32 v3, vcc_lo, s18, v7
	v_add_co_ci_u32_e32 v4, vcc_lo, s19, v8, vcc_lo
	s_delay_alu instid0(VALU_DEP_4) | instskip(NEXT) | instid1(VALU_DEP_4)
	v_add_co_u32 v7, vcc_lo, s18, v10
	v_add_co_ci_u32_e32 v8, vcc_lo, s19, v11, vcc_lo
	s_clause 0x3
	global_load_i8 v1, v[1:2], off
	global_load_i8 v2, v[5:6], off
	;; [unrolled: 1-line block ×4, first 2 shown]
	s_waitcnt vmcnt(7)
	v_cvt_f32_i32_e32 v5, v12
	s_waitcnt vmcnt(6)
	v_cvt_f32_i32_e32 v6, v13
	;; [unrolled: 2-line block ×4, first 2 shown]
	v_dual_mul_f32 v5, s36, v5 :: v_dual_mul_f32 v6, s36, v6
	s_delay_alu instid0(VALU_DEP_2)
	v_dual_mul_f32 v7, s36, v7 :: v_dual_mul_f32 v8, s36, v8
	s_waitcnt vmcnt(3)
	v_cvt_f32_i32_e32 v1, v1
	s_waitcnt vmcnt(2)
	v_cvt_f32_i32_e32 v2, v2
	;; [unrolled: 2-line block ×4, first 2 shown]
	v_dual_mul_f32 v1, v5, v1 :: v_dual_mul_f32 v2, v6, v2
	s_delay_alu instid0(VALU_DEP_2)
	v_dual_mul_f32 v3, v7, v3 :: v_dual_mul_f32 v4, v8, v4
	ds_store_2addr_stride64_b32 v9, v1, v2 offset1:4
	ds_store_2addr_stride64_b32 v9, v3, v4 offset0:8 offset1:12
.LBB61_80:
	s_or_b32 exec_lo, exec_lo, s0
	v_cmp_lt_i64_e64 s0, s[28:29], 2
	s_waitcnt lgkmcnt(0)
	s_waitcnt_vscnt null, 0x0
	s_barrier
	buffer_gl0_inv
	s_and_b32 vcc_lo, exec_lo, s0
	s_mov_b32 s0, -1
	s_cbranch_vccz .LBB61_91
; %bb.81:
	v_add_co_u32 v5, s0, s20, v0
	s_delay_alu instid0(VALU_DEP_1) | instskip(SKIP_1) | instid1(VALU_DEP_1)
	v_add_co_ci_u32_e64 v6, null, s21, 0, s0
	s_mov_b32 s1, exec_lo
	v_cmpx_gt_i64_e64 s[22:23], v[5:6]
	s_cbranch_execz .LBB61_90
; %bb.82:
	v_cmp_neq_f32_e64 s2, s24, 0
	s_lshl_b32 s0, s30, 2
	s_mov_b32 s3, 0
	s_sub_i32 s4, 0, s0
	s_branch .LBB61_84
.LBB61_83:                              ;   in Loop: Header=BB61_84 Depth=1
	v_add_co_u32 v5, vcc_lo, 0x100, v5
	v_add_co_ci_u32_e32 v6, vcc_lo, 0, v6, vcc_lo
	s_delay_alu instid0(VALU_DEP_3) | instskip(NEXT) | instid1(VALU_DEP_1)
	v_add_co_u32 v1, s0, s26, v1
	v_add_co_ci_u32_e64 v2, s0, s27, v2, s0
	s_delay_alu instid0(VALU_DEP_3) | instskip(SKIP_2) | instid1(SALU_CYCLE_1)
	v_cmp_le_i64_e32 vcc_lo, s[22:23], v[5:6]
	global_store_b32 v[1:2], v10, off
	s_or_b32 s3, vcc_lo, s3
	s_and_not1_b32 exec_lo, exec_lo, s3
	s_cbranch_execz .LBB61_90
.LBB61_84:                              ; =>This Loop Header: Depth=1
                                        ;     Child Loop BB61_86 Depth 2
	v_lshlrev_b64 v[1:2], 3, v[5:6]
	v_mov_b32_e32 v10, 0
	s_mov_b32 s0, exec_lo
	s_delay_alu instid0(VALU_DEP_2) | instskip(NEXT) | instid1(VALU_DEP_3)
	v_add_co_u32 v1, vcc_lo, s12, v1
	v_add_co_ci_u32_e32 v2, vcc_lo, s13, v2, vcc_lo
	global_load_b128 v[1:4], v[1:2], off
	s_waitcnt vmcnt(0)
	v_cmpx_lt_i64_e64 v[1:2], v[3:4]
	s_cbranch_execz .LBB61_88
; %bb.85:                               ;   in Loop: Header=BB61_84 Depth=1
	v_sub_co_u32 v3, vcc_lo, v3, s30
	v_subrev_co_ci_u32_e32 v4, vcc_lo, s31, v4, vcc_lo
	v_sub_co_u32 v7, vcc_lo, v1, s30
	v_subrev_co_ci_u32_e32 v8, vcc_lo, s31, v2, vcc_lo
	v_lshl_add_u32 v1, v1, 2, s4
	v_mov_b32_e32 v10, 0
	s_mov_b32 s5, 0
.LBB61_86:                              ;   Parent Loop BB61_84 Depth=1
                                        ; =>  This Inner Loop Header: Depth=2
	ds_load_b32 v2, v1
	v_add_co_u32 v7, vcc_lo, v7, 1
	v_add_co_ci_u32_e32 v8, vcc_lo, 0, v8, vcc_lo
	v_add_nc_u32_e32 v1, 4, v1
	s_delay_alu instid0(VALU_DEP_2)
	v_cmp_ge_i64_e32 vcc_lo, v[7:8], v[3:4]
	s_or_b32 s5, vcc_lo, s5
	s_waitcnt lgkmcnt(0)
	v_add_f32_e32 v10, v10, v2
	s_and_not1_b32 exec_lo, exec_lo, s5
	s_cbranch_execnz .LBB61_86
; %bb.87:                               ;   in Loop: Header=BB61_84 Depth=1
	s_or_b32 exec_lo, exec_lo, s5
.LBB61_88:                              ;   in Loop: Header=BB61_84 Depth=1
	s_delay_alu instid0(SALU_CYCLE_1)
	s_or_b32 exec_lo, exec_lo, s0
	v_lshlrev_b64 v[1:2], 2, v[5:6]
	s_and_b32 vcc_lo, exec_lo, s2
	s_cbranch_vccz .LBB61_83
; %bb.89:                               ;   in Loop: Header=BB61_84 Depth=1
	s_delay_alu instid0(VALU_DEP_1) | instskip(NEXT) | instid1(VALU_DEP_2)
	v_add_co_u32 v3, vcc_lo, s26, v1
	v_add_co_ci_u32_e32 v4, vcc_lo, s27, v2, vcc_lo
	global_load_b32 v3, v[3:4], off
	s_waitcnt vmcnt(0)
	v_fmac_f32_e32 v10, s24, v3
	s_branch .LBB61_83
.LBB61_90:
	s_or_b32 exec_lo, exec_lo, s1
	s_mov_b32 s0, 0
.LBB61_91:
	s_delay_alu instid0(SALU_CYCLE_1)
	s_and_not1_b32 vcc_lo, exec_lo, s0
	s_cbranch_vccnz .LBB61_116
; %bb.92:
	s_clz_i32_u32 s0, s28
	s_add_i32 s1, s28, -1
	s_min_u32 s0, s0, 32
	v_dual_mov_b32 v10, 0 :: v_dual_and_b32 v3, s1, v0
	s_sub_i32 s0, 31, s0
	s_mov_b32 s1, exec_lo
	v_lshrrev_b32_e32 v5, s0, v0
	s_delay_alu instid0(VALU_DEP_1) | instskip(NEXT) | instid1(VALU_DEP_1)
	v_add_co_u32 v1, s0, s20, v5
	v_add_co_ci_u32_e64 v2, null, s21, 0, s0
	v_and_b32_e64 v4, s0, 0
	s_delay_alu instid0(VALU_DEP_2)
	v_cmp_le_i64_e64 s0, s[22:23], v[1:2]
	v_cmpx_gt_i64_e64 s[22:23], v[1:2]
	s_cbranch_execz .LBB61_98
; %bb.93:
	v_lshlrev_b32_e32 v0, 3, v5
	s_mov_b32 s2, exec_lo
	global_load_b128 v[10:13], v0, s[34:35]
	v_sub_co_u32 v0, vcc_lo, v3, s30
	v_subrev_co_ci_u32_e32 v8, vcc_lo, s31, v4, vcc_lo
	s_waitcnt vmcnt(0)
	v_sub_co_u32 v5, vcc_lo, v12, s30
	v_subrev_co_ci_u32_e32 v6, vcc_lo, s31, v13, vcc_lo
	v_add_co_u32 v7, vcc_lo, v10, v0
	v_add_co_ci_u32_e32 v8, vcc_lo, v11, v8, vcc_lo
	v_mov_b32_e32 v10, 0
	s_delay_alu instid0(VALU_DEP_2)
	v_cmpx_lt_i64_e64 v[7:8], v[5:6]
	s_cbranch_execz .LBB61_97
; %bb.94:
	v_lshlrev_b32_e32 v0, 2, v7
	v_mov_b32_e32 v10, 0
	s_lshl_b32 s4, s28, 2
	s_mov_b32 s3, 0
.LBB61_95:                              ; =>This Inner Loop Header: Depth=1
	ds_load_b32 v11, v0
	v_add_co_u32 v7, vcc_lo, v7, s28
	v_add_co_ci_u32_e32 v8, vcc_lo, s29, v8, vcc_lo
	v_add_nc_u32_e32 v0, s4, v0
	s_delay_alu instid0(VALU_DEP_2)
	v_cmp_ge_i64_e32 vcc_lo, v[7:8], v[5:6]
	s_or_b32 s3, vcc_lo, s3
	s_waitcnt lgkmcnt(0)
	v_add_f32_e32 v10, v10, v11
	s_and_not1_b32 exec_lo, exec_lo, s3
	s_cbranch_execnz .LBB61_95
; %bb.96:
	s_or_b32 exec_lo, exec_lo, s3
.LBB61_97:
	s_delay_alu instid0(SALU_CYCLE_1)
	s_or_b32 exec_lo, exec_lo, s2
.LBB61_98:
	s_delay_alu instid0(SALU_CYCLE_1)
	s_or_b32 exec_lo, exec_lo, s1
	v_cmp_gt_i64_e64 s1, 0x81, s[28:29]
	s_waitcnt_vscnt null, 0x0
	s_barrier
	buffer_gl0_inv
	ds_store_b32 v9, v10
	s_waitcnt lgkmcnt(0)
	s_and_b32 vcc_lo, exec_lo, s1
	s_barrier
	buffer_gl0_inv
	s_cbranch_vccnz .LBB61_100
; %bb.99:
	ds_load_b32 v0, v9 offset:512
	s_waitcnt lgkmcnt(0)
	s_barrier
	buffer_gl0_inv
	v_add_f32_e32 v10, v10, v0
	ds_store_b32 v9, v10
.LBB61_100:
	v_cmp_gt_i64_e64 s1, 0x41, s[28:29]
	s_waitcnt lgkmcnt(0)
	s_barrier
	buffer_gl0_inv
	s_and_b32 vcc_lo, exec_lo, s1
	s_cbranch_vccnz .LBB61_102
; %bb.101:
	ds_load_b32 v0, v9 offset:256
	s_waitcnt lgkmcnt(0)
	s_barrier
	buffer_gl0_inv
	v_add_f32_e32 v10, v10, v0
	ds_store_b32 v9, v10
.LBB61_102:
	v_cmp_lt_i64_e64 s1, s[28:29], 33
	s_waitcnt lgkmcnt(0)
	s_barrier
	buffer_gl0_inv
	s_and_b32 vcc_lo, exec_lo, s1
	s_cbranch_vccnz .LBB61_104
; %bb.103:
	ds_load_b32 v0, v9 offset:128
	s_waitcnt lgkmcnt(0)
	s_barrier
	buffer_gl0_inv
	v_add_f32_e32 v10, v10, v0
	ds_store_b32 v9, v10
.LBB61_104:
	v_cmp_lt_i64_e64 s1, s[28:29], 17
	;; [unrolled: 14-line block ×4, first 2 shown]
	s_waitcnt lgkmcnt(0)
	s_barrier
	buffer_gl0_inv
	s_and_b32 vcc_lo, exec_lo, s1
	s_cbranch_vccnz .LBB61_110
; %bb.109:
	ds_load_b32 v0, v9 offset:16
	s_waitcnt lgkmcnt(0)
	s_barrier
	buffer_gl0_inv
	v_add_f32_e32 v10, v10, v0
	ds_store_b32 v9, v10
.LBB61_110:
	s_cmp_eq_u64 s[28:29], 2
	s_waitcnt lgkmcnt(0)
	s_barrier
	buffer_gl0_inv
	s_cbranch_scc1 .LBB61_112
; %bb.111:
	ds_load_b32 v0, v9 offset:8
	s_waitcnt lgkmcnt(0)
	s_barrier
	buffer_gl0_inv
	v_add_f32_e32 v10, v10, v0
	ds_store_b32 v9, v10
.LBB61_112:
	s_waitcnt lgkmcnt(0)
	s_barrier
	buffer_gl0_inv
	ds_load_b32 v0, v9 offset:4
	v_cmp_eq_u64_e32 vcc_lo, 0, v[3:4]
	s_xor_b32 s0, s0, -1
	s_waitcnt lgkmcnt(0)
	s_barrier
	buffer_gl0_inv
	s_and_b32 s0, vcc_lo, s0
	v_add_f32_e32 v3, v10, v0
	ds_store_b32 v9, v3
	s_and_saveexec_b32 s1, s0
	s_cbranch_execz .LBB61_116
; %bb.113:
	v_cmp_eq_f32_e64 s0, s24, 0
	v_lshlrev_b64 v[0:1], 2, v[1:2]
	s_delay_alu instid0(VALU_DEP_2)
	s_and_b32 vcc_lo, exec_lo, s0
	s_cbranch_vccnz .LBB61_115
; %bb.114:
	s_delay_alu instid0(VALU_DEP_1) | instskip(NEXT) | instid1(VALU_DEP_2)
	v_add_co_u32 v4, vcc_lo, s26, v0
	v_add_co_ci_u32_e32 v5, vcc_lo, s27, v1, vcc_lo
	global_load_b32 v2, v[4:5], off
	s_waitcnt vmcnt(0)
	v_fmac_f32_e32 v3, s24, v2
.LBB61_115:
	s_delay_alu instid0(VALU_DEP_1) | instskip(NEXT) | instid1(VALU_DEP_2)
	v_add_co_u32 v0, vcc_lo, s26, v0
	v_add_co_ci_u32_e32 v1, vcc_lo, s27, v1, vcc_lo
	global_store_b32 v[0:1], v3, off
.LBB61_116:
	s_nop 0
	s_sendmsg sendmsg(MSG_DEALLOC_VGPRS)
	s_endpgm
	.section	.rodata,"a",@progbits
	.p2align	6, 0x0
	.amdhsa_kernel _ZN9rocsparseL22csrmvn_adaptive_kernelIllaaffEEvbT_PKS1_PjPKT0_NS_24const_host_device_scalarIT4_EES3_S7_PKT1_PKT2_SA_PT3_21rocsparse_index_base_b
		.amdhsa_group_segment_fixed_size 4096
		.amdhsa_private_segment_fixed_size 0
		.amdhsa_kernarg_size 104
		.amdhsa_user_sgpr_count 15
		.amdhsa_user_sgpr_dispatch_ptr 0
		.amdhsa_user_sgpr_queue_ptr 0
		.amdhsa_user_sgpr_kernarg_segment_ptr 1
		.amdhsa_user_sgpr_dispatch_id 0
		.amdhsa_user_sgpr_private_segment_size 0
		.amdhsa_wavefront_size32 1
		.amdhsa_uses_dynamic_stack 0
		.amdhsa_enable_private_segment 0
		.amdhsa_system_sgpr_workgroup_id_x 1
		.amdhsa_system_sgpr_workgroup_id_y 0
		.amdhsa_system_sgpr_workgroup_id_z 0
		.amdhsa_system_sgpr_workgroup_info 0
		.amdhsa_system_vgpr_workitem_id 0
		.amdhsa_next_free_vgpr 16
		.amdhsa_next_free_sgpr 50
		.amdhsa_reserve_vcc 1
		.amdhsa_float_round_mode_32 0
		.amdhsa_float_round_mode_16_64 0
		.amdhsa_float_denorm_mode_32 3
		.amdhsa_float_denorm_mode_16_64 3
		.amdhsa_dx10_clamp 1
		.amdhsa_ieee_mode 1
		.amdhsa_fp16_overflow 0
		.amdhsa_workgroup_processor_mode 1
		.amdhsa_memory_ordered 1
		.amdhsa_forward_progress 0
		.amdhsa_shared_vgpr_count 0
		.amdhsa_exception_fp_ieee_invalid_op 0
		.amdhsa_exception_fp_denorm_src 0
		.amdhsa_exception_fp_ieee_div_zero 0
		.amdhsa_exception_fp_ieee_overflow 0
		.amdhsa_exception_fp_ieee_underflow 0
		.amdhsa_exception_fp_ieee_inexact 0
		.amdhsa_exception_int_div_zero 0
	.end_amdhsa_kernel
	.section	.text._ZN9rocsparseL22csrmvn_adaptive_kernelIllaaffEEvbT_PKS1_PjPKT0_NS_24const_host_device_scalarIT4_EES3_S7_PKT1_PKT2_SA_PT3_21rocsparse_index_base_b,"axG",@progbits,_ZN9rocsparseL22csrmvn_adaptive_kernelIllaaffEEvbT_PKS1_PjPKT0_NS_24const_host_device_scalarIT4_EES3_S7_PKT1_PKT2_SA_PT3_21rocsparse_index_base_b,comdat
.Lfunc_end61:
	.size	_ZN9rocsparseL22csrmvn_adaptive_kernelIllaaffEEvbT_PKS1_PjPKT0_NS_24const_host_device_scalarIT4_EES3_S7_PKT1_PKT2_SA_PT3_21rocsparse_index_base_b, .Lfunc_end61-_ZN9rocsparseL22csrmvn_adaptive_kernelIllaaffEEvbT_PKS1_PjPKT0_NS_24const_host_device_scalarIT4_EES3_S7_PKT1_PKT2_SA_PT3_21rocsparse_index_base_b
                                        ; -- End function
	.section	.AMDGPU.csdata,"",@progbits
; Kernel info:
; codeLenInByte = 4736
; NumSgprs: 52
; NumVgprs: 16
; ScratchSize: 0
; MemoryBound: 0
; FloatMode: 240
; IeeeMode: 1
; LDSByteSize: 4096 bytes/workgroup (compile time only)
; SGPRBlocks: 6
; VGPRBlocks: 1
; NumSGPRsForWavesPerEU: 52
; NumVGPRsForWavesPerEU: 16
; Occupancy: 16
; WaveLimiterHint : 1
; COMPUTE_PGM_RSRC2:SCRATCH_EN: 0
; COMPUTE_PGM_RSRC2:USER_SGPR: 15
; COMPUTE_PGM_RSRC2:TRAP_HANDLER: 0
; COMPUTE_PGM_RSRC2:TGID_X_EN: 1
; COMPUTE_PGM_RSRC2:TGID_Y_EN: 0
; COMPUTE_PGM_RSRC2:TGID_Z_EN: 0
; COMPUTE_PGM_RSRC2:TIDIG_COMP_CNT: 0
	.section	.text._ZN9rocsparseL27csrmvn_symm_adaptive_kernelIllaaffEEvbT_S1_PKS1_NS_24const_host_device_scalarIT4_EES3_PKT0_PKT1_PKT2_S6_PT3_21rocsparse_index_base_b,"axG",@progbits,_ZN9rocsparseL27csrmvn_symm_adaptive_kernelIllaaffEEvbT_S1_PKS1_NS_24const_host_device_scalarIT4_EES3_PKT0_PKT1_PKT2_S6_PT3_21rocsparse_index_base_b,comdat
	.globl	_ZN9rocsparseL27csrmvn_symm_adaptive_kernelIllaaffEEvbT_S1_PKS1_NS_24const_host_device_scalarIT4_EES3_PKT0_PKT1_PKT2_S6_PT3_21rocsparse_index_base_b ; -- Begin function _ZN9rocsparseL27csrmvn_symm_adaptive_kernelIllaaffEEvbT_S1_PKS1_NS_24const_host_device_scalarIT4_EES3_PKT0_PKT1_PKT2_S6_PT3_21rocsparse_index_base_b
	.p2align	8
	.type	_ZN9rocsparseL27csrmvn_symm_adaptive_kernelIllaaffEEvbT_S1_PKS1_NS_24const_host_device_scalarIT4_EES3_PKT0_PKT1_PKT2_S6_PT3_21rocsparse_index_base_b,@function
_ZN9rocsparseL27csrmvn_symm_adaptive_kernelIllaaffEEvbT_S1_PKS1_NS_24const_host_device_scalarIT4_EES3_PKT0_PKT1_PKT2_S6_PT3_21rocsparse_index_base_b: ; @_ZN9rocsparseL27csrmvn_symm_adaptive_kernelIllaaffEEvbT_S1_PKS1_NS_24const_host_device_scalarIT4_EES3_PKT0_PKT1_PKT2_S6_PT3_21rocsparse_index_base_b
; %bb.0:
	s_clause 0x2
	s_load_b64 s[24:25], s[0:1], 0x58
	s_load_b64 s[30:31], s[0:1], 0x20
	;; [unrolled: 1-line block ×3, first 2 shown]
	s_mov_b32 s2, s15
	s_waitcnt lgkmcnt(0)
	s_bitcmp1_b32 s25, 0
	s_cselect_b32 s3, -1, 0
	s_delay_alu instid0(SALU_CYCLE_1)
	s_and_b32 vcc_lo, exec_lo, s3
	s_xor_b32 s3, s3, -1
	s_cbranch_vccnz .LBB62_2
; %bb.1:
	s_load_b32 s30, s[30:31], 0x0
.LBB62_2:
	s_and_not1_b32 vcc_lo, exec_lo, s3
	s_cbranch_vccnz .LBB62_4
; %bb.3:
	s_load_b32 s4, s[4:5], 0x0
.LBB62_4:
	s_waitcnt lgkmcnt(0)
	v_cmp_neq_f32_e64 s3, s30, 0
	v_cmp_neq_f32_e64 s4, s4, 1.0
	s_delay_alu instid0(VALU_DEP_1) | instskip(NEXT) | instid1(SALU_CYCLE_1)
	s_or_b32 s3, s3, s4
	s_and_not1_b32 vcc_lo, exec_lo, s3
	s_cbranch_vccnz .LBB62_167
; %bb.5:
	s_load_b64 s[4:5], s[0:1], 0x18
	s_ashr_i32 s3, s2, 31
	v_dual_mov_b32 v1, 0 :: v_dual_lshlrev_b32 v14, 2, v0
	s_lshl_b64 s[2:3], s[2:3], 3
	ds_store_2addr_stride64_b32 v14, v1, v1 offset1:4
	ds_store_2addr_stride64_b32 v14, v1, v1 offset0:8 offset1:12
	s_waitcnt lgkmcnt(0)
	s_barrier
	buffer_gl0_inv
	s_add_u32 s2, s4, s2
	s_addc_u32 s3, s5, s3
	s_load_b128 s[16:19], s[2:3], 0x0
	s_clause 0x1
	s_load_b256 s[8:15], s[0:1], 0x28
	s_load_b64 s[20:21], s[0:1], 0x50
	s_waitcnt lgkmcnt(0)
	s_sub_u32 s22, s18, s16
	s_subb_u32 s23, s19, s17
	s_delay_alu instid0(SALU_CYCLE_1) | instskip(NEXT) | instid1(VALU_DEP_1)
	v_cmp_gt_i64_e64 s2, s[22:23], 2
	s_and_b32 vcc_lo, exec_lo, s2
	s_mov_b32 s2, -1
	s_cbranch_vccnz .LBB62_40
; %bb.6:
	v_cmp_gt_i64_e64 s2, s[18:19], s[16:17]
	v_sub_co_u32 v5, s3, v0, s24
	s_delay_alu instid0(VALU_DEP_1) | instskip(NEXT) | instid1(VALU_DEP_3)
	v_sub_co_ci_u32_e64 v6, null, 0, 0, s3
	s_and_b32 vcc_lo, exec_lo, s2
	s_mov_b32 s2, 0
	s_cbranch_vccnz .LBB62_8
; %bb.7:
	s_lshl_b64 s[4:5], s[16:17], 3
	s_delay_alu instid0(SALU_CYCLE_1)
	s_add_u32 s4, s8, s4
	s_addc_u32 s5, s9, s5
	s_load_b64 s[26:27], s[4:5], 0x0
	s_and_not1_b32 vcc_lo, exec_lo, s2
	s_cbranch_vccz .LBB62_9
	s_branch .LBB62_29
.LBB62_8:
                                        ; implicit-def: $sgpr26_sgpr27
.LBB62_9:
	s_lshl_b64 s[2:3], s[16:17], 3
	v_cmp_gt_u32_e64 s4, 16, v0
	s_add_u32 s2, s8, s2
	s_addc_u32 s3, s9, s3
	v_cmp_gt_u32_e64 s5, 4, v0
	s_waitcnt lgkmcnt(0)
	s_load_b64 s[26:27], s[2:3], 0x0
	v_cmp_gt_u32_e64 s2, 0x100, v0
	v_cmp_gt_u32_e64 s3, 64, v0
	v_cmp_eq_u32_e64 s6, 0, v0
	v_mov_b32_e32 v7, 0
	s_add_u32 s25, s8, 8
	s_addc_u32 s31, s9, 0
	s_mov_b64 s[28:29], s[16:17]
	s_waitcnt lgkmcnt(0)
	s_mov_b64 s[34:35], s[26:27]
	s_branch .LBB62_11
.LBB62_10:                              ;   in Loop: Header=BB62_11 Depth=1
	s_or_b32 exec_lo, exec_lo, s7
	s_add_u32 s28, s28, 1
	s_addc_u32 s29, s29, 0
	s_delay_alu instid0(SALU_CYCLE_1) | instskip(NEXT) | instid1(VALU_DEP_1)
	v_cmp_ge_i64_e64 s7, s[28:29], s[18:19]
	s_and_b32 vcc_lo, exec_lo, s7
	s_cbranch_vccnz .LBB62_29
.LBB62_11:                              ; =>This Loop Header: Depth=1
                                        ;     Child Loop BB62_13 Depth 2
                                        ;     Child Loop BB62_28 Depth 2
	s_lshl_b64 s[36:37], s[28:29], 3
	s_mov_b64 s[38:39], s[34:35]
	s_add_u32 s36, s25, s36
	s_addc_u32 s37, s31, s37
	v_add_co_u32 v1, vcc_lo, s38, v5
	s_load_b64 s[34:35], s[36:37], 0x0
	v_add_co_ci_u32_e32 v2, vcc_lo, s39, v6, vcc_lo
	v_mov_b32_e32 v8, 0
	s_mov_b32 s33, exec_lo
	s_waitcnt lgkmcnt(0)
	s_sub_u32 s36, s34, s24
	s_subb_u32 s37, s35, 0
	s_delay_alu instid0(SALU_CYCLE_1)
	v_cmpx_gt_i64_e64 s[36:37], v[1:2]
	s_cbranch_execz .LBB62_15
; %bb.12:                               ;   in Loop: Header=BB62_11 Depth=1
	v_lshlrev_b64 v[3:4], 3, v[1:2]
	v_mov_b32_e32 v8, 0
	s_mov_b32 s38, 0
	s_delay_alu instid0(VALU_DEP_2) | instskip(NEXT) | instid1(VALU_DEP_3)
	v_add_co_u32 v3, vcc_lo, s10, v3
	v_add_co_ci_u32_e32 v4, vcc_lo, s11, v4, vcc_lo
	.p2align	6
.LBB62_13:                              ;   Parent Loop BB62_11 Depth=1
                                        ; =>  This Inner Loop Header: Depth=2
	global_load_b64 v[9:10], v[3:4], off
	v_add_co_u32 v11, vcc_lo, s12, v1
	v_add_co_ci_u32_e32 v12, vcc_lo, s13, v2, vcc_lo
	s_waitcnt vmcnt(0)
	v_sub_co_u32 v9, s7, v9, s24
	s_delay_alu instid0(VALU_DEP_1) | instskip(SKIP_1) | instid1(VALU_DEP_3)
	v_subrev_co_ci_u32_e64 v10, s7, 0, v10, s7
	v_add_co_u32 v3, s7, 0x800, v3
	v_add_co_u32 v9, vcc_lo, s14, v9
	s_delay_alu instid0(VALU_DEP_3)
	v_add_co_ci_u32_e32 v10, vcc_lo, s15, v10, vcc_lo
	v_add_co_u32 v1, vcc_lo, 0x100, v1
	global_load_i8 v11, v[11:12], off
	global_load_i8 v9, v[9:10], off
	v_add_co_ci_u32_e32 v2, vcc_lo, 0, v2, vcc_lo
	v_add_co_ci_u32_e64 v4, s7, 0, v4, s7
	s_delay_alu instid0(VALU_DEP_2)
	v_cmp_le_i64_e32 vcc_lo, s[36:37], v[1:2]
	s_or_b32 s38, vcc_lo, s38
	s_waitcnt vmcnt(1)
	v_cvt_f32_i32_e32 v10, v11
	s_waitcnt vmcnt(0)
	v_cvt_f32_i32_e32 v9, v9
	s_delay_alu instid0(VALU_DEP_1)
	v_fmac_f32_e32 v8, v10, v9
	s_and_not1_b32 exec_lo, exec_lo, s38
	s_cbranch_execnz .LBB62_13
; %bb.14:                               ;   in Loop: Header=BB62_11 Depth=1
	s_or_b32 exec_lo, exec_lo, s38
.LBB62_15:                              ;   in Loop: Header=BB62_11 Depth=1
	s_delay_alu instid0(SALU_CYCLE_1)
	s_or_b32 exec_lo, exec_lo, s33
	ds_store_b32 v14, v8
	s_waitcnt lgkmcnt(0)
	s_barrier
	buffer_gl0_inv
	s_and_saveexec_b32 s7, s2
	s_cbranch_execz .LBB62_17
; %bb.16:                               ;   in Loop: Header=BB62_11 Depth=1
	ds_load_2addr_stride64_b32 v[1:2], v14 offset1:4
	ds_load_2addr_stride64_b32 v[3:4], v14 offset0:8 offset1:12
	s_waitcnt lgkmcnt(0)
	v_add_f32_e32 v2, v2, v3
	s_delay_alu instid0(VALU_DEP_1) | instskip(NEXT) | instid1(VALU_DEP_1)
	v_add_f32_e32 v2, v2, v4
	v_add_f32_e32 v1, v1, v2
	ds_store_b32 v14, v1
.LBB62_17:                              ;   in Loop: Header=BB62_11 Depth=1
	s_or_b32 exec_lo, exec_lo, s7
	s_waitcnt lgkmcnt(0)
	s_barrier
	buffer_gl0_inv
	s_and_saveexec_b32 s7, s3
	s_cbranch_execz .LBB62_19
; %bb.18:                               ;   in Loop: Header=BB62_11 Depth=1
	ds_load_2addr_stride64_b32 v[1:2], v14 offset1:1
	ds_load_2addr_stride64_b32 v[3:4], v14 offset0:2 offset1:3
	s_waitcnt lgkmcnt(0)
	v_add_f32_e32 v2, v2, v3
	s_delay_alu instid0(VALU_DEP_1) | instskip(NEXT) | instid1(VALU_DEP_1)
	v_add_f32_e32 v2, v2, v4
	v_add_f32_e32 v1, v1, v2
	ds_store_b32 v14, v1
.LBB62_19:                              ;   in Loop: Header=BB62_11 Depth=1
	s_or_b32 exec_lo, exec_lo, s7
	s_waitcnt lgkmcnt(0)
	s_barrier
	buffer_gl0_inv
	s_and_saveexec_b32 s7, s4
	s_cbranch_execz .LBB62_21
; %bb.20:                               ;   in Loop: Header=BB62_11 Depth=1
	ds_load_2addr_b32 v[1:2], v14 offset1:16
	ds_load_2addr_b32 v[3:4], v14 offset0:32 offset1:48
	s_waitcnt lgkmcnt(0)
	v_add_f32_e32 v2, v2, v3
	s_delay_alu instid0(VALU_DEP_1) | instskip(NEXT) | instid1(VALU_DEP_1)
	v_add_f32_e32 v2, v2, v4
	v_add_f32_e32 v1, v1, v2
	ds_store_b32 v14, v1
.LBB62_21:                              ;   in Loop: Header=BB62_11 Depth=1
	s_or_b32 exec_lo, exec_lo, s7
	s_waitcnt lgkmcnt(0)
	s_barrier
	buffer_gl0_inv
	s_and_saveexec_b32 s7, s5
	s_cbranch_execz .LBB62_23
; %bb.22:                               ;   in Loop: Header=BB62_11 Depth=1
	ds_load_2addr_b32 v[1:2], v14 offset1:4
	ds_load_2addr_b32 v[3:4], v14 offset0:8 offset1:12
	s_waitcnt lgkmcnt(0)
	v_add_f32_e32 v2, v2, v3
	s_delay_alu instid0(VALU_DEP_1) | instskip(NEXT) | instid1(VALU_DEP_1)
	v_add_f32_e32 v2, v2, v4
	v_add_f32_e32 v1, v1, v2
	ds_store_b32 v14, v1
.LBB62_23:                              ;   in Loop: Header=BB62_11 Depth=1
	s_or_b32 exec_lo, exec_lo, s7
	s_waitcnt lgkmcnt(0)
	s_barrier
	buffer_gl0_inv
	s_and_saveexec_b32 s7, s6
	s_cbranch_execz .LBB62_25
; %bb.24:                               ;   in Loop: Header=BB62_11 Depth=1
	ds_load_2addr_b32 v[1:2], v7 offset0:1 offset1:2
	ds_load_b32 v3, v7 offset:12
	ds_load_b32 v4, v14
	s_waitcnt lgkmcnt(2)
	v_add_f32_e32 v1, v1, v2
	s_waitcnt lgkmcnt(1)
	s_delay_alu instid0(VALU_DEP_1) | instskip(SKIP_1) | instid1(VALU_DEP_1)
	v_add_f32_e32 v1, v1, v3
	s_waitcnt lgkmcnt(0)
	v_add_f32_e32 v1, v4, v1
	ds_store_b32 v14, v1
.LBB62_25:                              ;   in Loop: Header=BB62_11 Depth=1
	s_or_b32 exec_lo, exec_lo, s7
	s_waitcnt lgkmcnt(0)
	s_barrier
	buffer_gl0_inv
	s_and_saveexec_b32 s7, s6
	s_cbranch_execz .LBB62_10
; %bb.26:                               ;   in Loop: Header=BB62_11 Depth=1
	s_mov_b32 s33, exec_lo
	s_delay_alu instid0(SALU_CYCLE_1) | instskip(NEXT) | instid1(VALU_DEP_1)
	v_mbcnt_lo_u32_b32 v1, s33, 0
	v_cmp_eq_u32_e32 vcc_lo, 0, v1
	s_and_b32 s36, exec_lo, vcc_lo
	s_delay_alu instid0(SALU_CYCLE_1)
	s_mov_b32 exec_lo, s36
	s_cbranch_execz .LBB62_10
; %bb.27:                               ;   in Loop: Header=BB62_11 Depth=1
	s_lshl_b64 s[36:37], s[28:29], 2
	ds_load_b32 v1, v7
	s_add_u32 s36, s20, s36
	s_addc_u32 s37, s21, s37
	s_bcnt1_i32_b32 s33, s33
	global_load_b32 v2, v7, s[36:37]
	v_cvt_f32_ubyte0_e32 v3, s33
	s_mov_b32 s33, 0
	s_waitcnt lgkmcnt(0)
	v_mul_f32_e32 v1, s30, v1
	s_delay_alu instid0(VALU_DEP_1)
	v_mul_f32_e32 v3, v1, v3
.LBB62_28:                              ;   Parent Loop BB62_11 Depth=1
                                        ; =>  This Inner Loop Header: Depth=2
	s_waitcnt vmcnt(0)
	s_delay_alu instid0(VALU_DEP_1)
	v_add_f32_e32 v1, v2, v3
	global_atomic_cmpswap_b32 v1, v7, v[1:2], s[36:37] glc
	s_waitcnt vmcnt(0)
	v_cmp_eq_u32_e32 vcc_lo, v1, v2
	v_mov_b32_e32 v2, v1
	s_or_b32 s33, vcc_lo, s33
	s_delay_alu instid0(SALU_CYCLE_1)
	s_and_not1_b32 exec_lo, exec_lo, s33
	s_cbranch_execnz .LBB62_28
	s_branch .LBB62_10
.LBB62_29:
	s_lshl_b64 s[2:3], s[18:19], 3
	s_waitcnt lgkmcnt(0)
	v_add_co_u32 v1, vcc_lo, s26, v5
	s_add_u32 s2, s8, s2
	s_addc_u32 s3, s9, s3
	v_add_co_ci_u32_e32 v2, vcc_lo, s27, v6, vcc_lo
	s_load_b64 s[2:3], s[2:3], 0x0
	s_waitcnt lgkmcnt(0)
	s_sub_u32 s4, s2, s24
	s_subb_u32 s5, s3, 0
	s_mov_b32 s3, exec_lo
	v_cmpx_gt_i64_e64 s[4:5], v[1:2]
	s_cbranch_execz .LBB62_39
; %bb.30:
	s_add_u32 s6, s18, -1
	s_addc_u32 s7, s19, -1
	s_add_u32 s26, s18, -2
	v_cmp_gt_i64_e64 s2, s[6:7], s[16:17]
	s_addc_u32 s27, s19, -1
	s_delay_alu instid0(SALU_CYCLE_1)
	s_cmp_lg_u64 s[26:27], s[16:17]
	s_mov_b32 s26, 0
	s_cselect_b32 s25, -1, 0
	s_delay_alu instid0(VALU_DEP_1) | instid1(SALU_CYCLE_1)
	s_and_b32 s25, s2, s25
	s_branch .LBB62_32
.LBB62_31:                              ;   in Loop: Header=BB62_32 Depth=1
	s_or_b32 exec_lo, exec_lo, s2
	v_add_co_u32 v1, vcc_lo, 0x100, v1
	v_add_co_ci_u32_e32 v2, vcc_lo, 0, v2, vcc_lo
	s_delay_alu instid0(VALU_DEP_1) | instskip(SKIP_1) | instid1(SALU_CYCLE_1)
	v_cmp_le_i64_e32 vcc_lo, s[4:5], v[1:2]
	s_or_b32 s26, vcc_lo, s26
	s_and_not1_b32 exec_lo, exec_lo, s26
	s_cbranch_execz .LBB62_39
.LBB62_32:                              ; =>This Loop Header: Depth=1
                                        ;     Child Loop BB62_34 Depth 2
                                        ;     Child Loop BB62_38 Depth 2
	v_dual_mov_b32 v3, s16 :: v_dual_mov_b32 v4, s17
	v_dual_mov_b32 v5, s6 :: v_dual_mov_b32 v6, s7
	s_and_not1_b32 vcc_lo, exec_lo, s25
	s_cbranch_vccnz .LBB62_36
; %bb.33:                               ;   in Loop: Header=BB62_32 Depth=1
	v_dual_mov_b32 v3, s16 :: v_dual_mov_b32 v4, s17
	v_dual_mov_b32 v5, s6 :: v_dual_mov_b32 v6, s7
	s_mov_b32 s27, 0
	s_set_inst_prefetch_distance 0x1
	.p2align	6
.LBB62_34:                              ;   Parent Loop BB62_32 Depth=1
                                        ; =>  This Inner Loop Header: Depth=2
	s_delay_alu instid0(VALU_DEP_1) | instskip(NEXT) | instid1(VALU_DEP_2)
	v_add_co_u32 v7, vcc_lo, v5, v3
	v_add_co_ci_u32_e32 v8, vcc_lo, v6, v4, vcc_lo
	s_delay_alu instid0(VALU_DEP_1) | instskip(NEXT) | instid1(VALU_DEP_1)
	v_lshrrev_b32_e32 v9, 31, v8
	v_add_co_u32 v7, vcc_lo, v7, v9
	v_add_co_ci_u32_e32 v8, vcc_lo, 0, v8, vcc_lo
	s_delay_alu instid0(VALU_DEP_1) | instskip(NEXT) | instid1(VALU_DEP_1)
	v_ashrrev_i64 v[7:8], 1, v[7:8]
	v_lshlrev_b64 v[9:10], 3, v[7:8]
	s_delay_alu instid0(VALU_DEP_1) | instskip(NEXT) | instid1(VALU_DEP_2)
	v_add_co_u32 v9, vcc_lo, s8, v9
	v_add_co_ci_u32_e32 v10, vcc_lo, s9, v10, vcc_lo
	global_load_b64 v[9:10], v[9:10], off
	s_waitcnt vmcnt(0)
	v_sub_co_u32 v9, vcc_lo, v9, s24
	v_subrev_co_ci_u32_e32 v10, vcc_lo, 0, v10, vcc_lo
	s_delay_alu instid0(VALU_DEP_1) | instskip(SKIP_2) | instid1(VALU_DEP_2)
	v_cmp_gt_i64_e32 vcc_lo, v[9:10], v[1:2]
	v_dual_cndmask_b32 v6, v6, v8 :: v_dual_cndmask_b32 v5, v5, v7
	v_dual_cndmask_b32 v4, v8, v4 :: v_dual_cndmask_b32 v3, v7, v3
	v_add_co_u32 v7, vcc_lo, v5, -1
	s_delay_alu instid0(VALU_DEP_3) | instskip(NEXT) | instid1(VALU_DEP_3)
	v_add_co_ci_u32_e32 v8, vcc_lo, -1, v6, vcc_lo
	v_cmp_ge_i64_e32 vcc_lo, v[3:4], v[5:6]
	s_delay_alu instid0(VALU_DEP_2) | instskip(NEXT) | instid1(VALU_DEP_1)
	v_cmp_eq_u64_e64 s2, v[3:4], v[7:8]
	s_or_b32 s2, vcc_lo, s2
	s_delay_alu instid0(SALU_CYCLE_1) | instskip(NEXT) | instid1(SALU_CYCLE_1)
	s_and_b32 s2, exec_lo, s2
	s_or_b32 s27, s2, s27
	s_delay_alu instid0(SALU_CYCLE_1)
	s_and_not1_b32 exec_lo, exec_lo, s27
	s_cbranch_execnz .LBB62_34
; %bb.35:                               ;   in Loop: Header=BB62_32 Depth=1
	s_set_inst_prefetch_distance 0x2
	s_or_b32 exec_lo, exec_lo, s27
.LBB62_36:                              ;   in Loop: Header=BB62_32 Depth=1
	s_delay_alu instid0(VALU_DEP_1) | instskip(SKIP_2) | instid1(VALU_DEP_2)
	v_lshlrev_b64 v[7:8], 3, v[5:6]
	v_lshlrev_b64 v[9:10], 3, v[1:2]
	s_mov_b32 s2, exec_lo
	v_add_co_u32 v7, vcc_lo, s8, v7
	s_delay_alu instid0(VALU_DEP_3) | instskip(NEXT) | instid1(VALU_DEP_3)
	v_add_co_ci_u32_e32 v8, vcc_lo, s9, v8, vcc_lo
	v_add_co_u32 v9, vcc_lo, s10, v9
	s_delay_alu instid0(VALU_DEP_4)
	v_add_co_ci_u32_e32 v10, vcc_lo, s11, v10, vcc_lo
	global_load_b64 v[7:8], v[7:8], off
	global_load_b64 v[9:10], v[9:10], off
	s_waitcnt vmcnt(1)
	v_sub_co_u32 v7, vcc_lo, v7, s24
	v_subrev_co_ci_u32_e32 v8, vcc_lo, 0, v8, vcc_lo
	s_delay_alu instid0(VALU_DEP_1) | instskip(SKIP_4) | instid1(VALU_DEP_1)
	v_cmp_gt_i64_e32 vcc_lo, v[7:8], v[1:2]
	v_dual_cndmask_b32 v4, v6, v4 :: v_dual_cndmask_b32 v3, v5, v3
	s_waitcnt vmcnt(0)
	v_sub_co_u32 v5, vcc_lo, v9, s24
	v_subrev_co_ci_u32_e32 v6, vcc_lo, 0, v10, vcc_lo
	v_cmpx_ne_u64_e64 v[5:6], v[3:4]
	s_cbranch_execz .LBB62_31
; %bb.37:                               ;   in Loop: Header=BB62_32 Depth=1
	v_add_co_u32 v7, vcc_lo, s12, v1
	v_add_co_ci_u32_e32 v8, vcc_lo, s13, v2, vcc_lo
	v_add_co_u32 v3, vcc_lo, s14, v3
	v_add_co_ci_u32_e32 v4, vcc_lo, s15, v4, vcc_lo
	global_load_i8 v7, v[7:8], off
	v_lshlrev_b64 v[5:6], 2, v[5:6]
	s_mov_b32 s27, 0
	global_load_i8 v8, v[3:4], off
	v_add_co_u32 v3, vcc_lo, s20, v5
	v_add_co_ci_u32_e32 v4, vcc_lo, s21, v6, vcc_lo
	global_load_b32 v6, v[3:4], off
	s_waitcnt vmcnt(2)
	v_cvt_f32_i32_e32 v5, v7
	s_waitcnt vmcnt(1)
	v_cvt_f32_i32_e32 v7, v8
	s_delay_alu instid0(VALU_DEP_2) | instskip(NEXT) | instid1(VALU_DEP_1)
	v_mul_f32_e32 v5, s30, v5
	v_mul_f32_e32 v7, v5, v7
.LBB62_38:                              ;   Parent Loop BB62_32 Depth=1
                                        ; =>  This Inner Loop Header: Depth=2
	s_waitcnt vmcnt(0)
	s_delay_alu instid0(VALU_DEP_1)
	v_add_f32_e32 v5, v6, v7
	global_atomic_cmpswap_b32 v5, v[3:4], v[5:6], off glc
	s_waitcnt vmcnt(0)
	v_cmp_eq_u32_e32 vcc_lo, v5, v6
	v_mov_b32_e32 v6, v5
	s_or_b32 s27, vcc_lo, s27
	s_delay_alu instid0(SALU_CYCLE_1)
	s_and_not1_b32 exec_lo, exec_lo, s27
	s_cbranch_execnz .LBB62_38
	s_branch .LBB62_31
.LBB62_39:
	s_or_b32 exec_lo, exec_lo, s3
	s_mov_b32 s2, 0
.LBB62_40:
	s_delay_alu instid0(SALU_CYCLE_1)
	s_and_b32 vcc_lo, exec_lo, s2
	s_cbranch_vccz .LBB62_167
; %bb.41:
	s_load_b32 s2, s[0:1], 0x6c
	s_mov_b32 s7, 0
	s_mov_b64 s[28:29], 0
	s_waitcnt lgkmcnt(0)
	s_and_b32 s6, s2, 0xffff
	s_delay_alu instid0(SALU_CYCLE_1) | instskip(NEXT) | instid1(VALU_DEP_1)
	v_cmp_lt_u64_e64 s2, s[6:7], s[22:23]
	s_and_b32 vcc_lo, exec_lo, s2
	s_cbranch_vccnz .LBB62_43
; %bb.42:
	v_cvt_f32_u32_e32 v1, s22
	s_sub_i32 s3, 0, s22
	s_delay_alu instid0(VALU_DEP_1) | instskip(SKIP_2) | instid1(VALU_DEP_1)
	v_rcp_iflag_f32_e32 v1, v1
	s_waitcnt_depctr 0xfff
	v_mul_f32_e32 v1, 0x4f7ffffe, v1
	v_cvt_u32_f32_e32 v1, v1
	s_delay_alu instid0(VALU_DEP_1) | instskip(NEXT) | instid1(VALU_DEP_1)
	v_readfirstlane_b32 s2, v1
	s_mul_i32 s3, s3, s2
	s_delay_alu instid0(SALU_CYCLE_1) | instskip(NEXT) | instid1(SALU_CYCLE_1)
	s_mul_hi_u32 s3, s2, s3
	s_add_i32 s2, s2, s3
	s_delay_alu instid0(SALU_CYCLE_1) | instskip(NEXT) | instid1(SALU_CYCLE_1)
	s_mul_hi_u32 s2, s6, s2
	s_mul_i32 s3, s2, s22
	s_add_i32 s4, s2, 1
	s_sub_i32 s3, s6, s3
	s_delay_alu instid0(SALU_CYCLE_1)
	s_sub_i32 s5, s3, s22
	s_cmp_ge_u32 s3, s22
	s_cselect_b32 s2, s4, s2
	s_cselect_b32 s3, s5, s3
	s_add_i32 s4, s2, 1
	s_cmp_ge_u32 s3, s22
	s_cselect_b32 s28, s4, s2
.LBB62_43:
	s_lshl_b64 s[2:3], s[16:17], 3
	v_sub_co_u32 v1, s7, v0, s24
	s_add_u32 s26, s8, s2
	s_addc_u32 s27, s9, s3
	s_load_b64 s[4:5], s[26:27], 0x0
	s_load_b128 s[0:3], s[0:1], 0x8
	v_sub_co_ci_u32_e64 v3, null, 0, 0, s7
	s_waitcnt lgkmcnt(0)
	v_add_co_u32 v2, vcc_lo, s4, v1
	s_delay_alu instid0(VALU_DEP_2) | instskip(SKIP_1) | instid1(VALU_DEP_3)
	v_add_co_ci_u32_e32 v3, vcc_lo, s5, v3, vcc_lo
	v_mov_b32_e32 v1, 0
	v_add_co_u32 v4, vcc_lo, 0x300, v2
	s_delay_alu instid0(VALU_DEP_3) | instskip(NEXT) | instid1(VALU_DEP_1)
	v_add_co_ci_u32_e32 v5, vcc_lo, 0, v3, vcc_lo
	v_cmp_le_i64_e32 vcc_lo, s[0:1], v[4:5]
	s_and_saveexec_b32 s0, vcc_lo
	s_delay_alu instid0(SALU_CYCLE_1)
	s_xor_b32 s1, exec_lo, s0
	s_cbranch_execnz .LBB62_46
; %bb.44:
	s_and_not1_saveexec_b32 s1, s1
	s_cbranch_execnz .LBB62_50
.LBB62_45:
	s_or_b32 exec_lo, exec_lo, s1
	s_delay_alu instid0(SALU_CYCLE_1)
	s_mov_b32 s1, exec_lo
	v_cmpx_gt_i64_e64 s[2:3], v[0:1]
	s_cbranch_execnz .LBB62_51
	s_branch .LBB62_53
.LBB62_46:
	s_lshl_b64 s[34:35], s[18:19], 3
	s_mov_b32 s7, exec_lo
	s_add_u32 s34, s8, s34
	s_addc_u32 s35, s9, s35
	s_load_b64 s[34:35], s[34:35], 0x0
	s_waitcnt lgkmcnt(0)
	s_sub_u32 s34, s34, s4
	s_subb_u32 s35, s35, s5
	s_delay_alu instid0(SALU_CYCLE_1)
	v_cmpx_gt_i64_e64 s[34:35], v[0:1]
	s_cbranch_execz .LBB62_49
; %bb.47:
	v_dual_mov_b32 v8, v14 :: v_dual_mov_b32 v7, v1
	s_sub_u32 s0, s4, s24
	v_mov_b32_e32 v6, v0
	s_subb_u32 s29, s5, 0
	s_add_u32 s25, s12, s0
	s_addc_u32 s29, s13, s29
	s_mov_b32 s31, 0
	.p2align	6
.LBB62_48:                              ; =>This Inner Loop Header: Depth=1
	v_add_co_u32 v9, s0, s25, v6
	s_delay_alu instid0(VALU_DEP_1) | instskip(SKIP_1) | instid1(VALU_DEP_1)
	v_add_co_ci_u32_e64 v10, s0, s29, v7, s0
	v_add_co_u32 v6, s0, 0x100, v6
	v_add_co_ci_u32_e64 v7, s0, 0, v7, s0
	global_load_i8 v9, v[9:10], off
	v_cmp_le_i64_e64 s0, s[34:35], v[6:7]
	s_delay_alu instid0(VALU_DEP_1) | instskip(SKIP_2) | instid1(VALU_DEP_1)
	s_or_b32 s31, s0, s31
	s_waitcnt vmcnt(0)
	v_cvt_f32_i32_e32 v9, v9
	v_mul_f32_e32 v9, s30, v9
	ds_store_b32 v8, v9
	v_add_nc_u32_e32 v8, 0x400, v8
	s_and_not1_b32 exec_lo, exec_lo, s31
	s_cbranch_execnz .LBB62_48
.LBB62_49:
	s_or_b32 exec_lo, exec_lo, s7
	s_and_not1_saveexec_b32 s1, s1
	s_cbranch_execz .LBB62_45
.LBB62_50:
	v_add_co_u32 v6, s0, s12, v2
	s_delay_alu instid0(VALU_DEP_1)
	v_add_co_ci_u32_e64 v7, s0, s13, v3, s0
	s_clause 0x3
	global_load_i8 v8, v[6:7], off
	global_load_i8 v9, v[6:7], off offset:256
	global_load_i8 v10, v[6:7], off offset:512
	;; [unrolled: 1-line block ×3, first 2 shown]
	s_waitcnt vmcnt(3)
	v_cvt_f32_i32_e32 v7, v8
	s_waitcnt vmcnt(2)
	v_cvt_f32_i32_e32 v8, v9
	;; [unrolled: 2-line block ×4, first 2 shown]
	v_dual_mul_f32 v7, s30, v7 :: v_dual_mul_f32 v8, s30, v8
	s_delay_alu instid0(VALU_DEP_2) | instskip(SKIP_3) | instid1(SALU_CYCLE_1)
	v_dual_mul_f32 v9, s30, v9 :: v_dual_mul_f32 v6, s30, v6
	ds_store_2addr_stride64_b32 v14, v7, v8 offset1:4
	ds_store_2addr_stride64_b32 v14, v9, v6 offset0:8 offset1:12
	s_or_b32 exec_lo, exec_lo, s1
	s_mov_b32 s1, exec_lo
	v_cmpx_gt_i64_e64 s[2:3], v[0:1]
	s_cbranch_execz .LBB62_53
.LBB62_51:
	v_mov_b32_e32 v7, v1
	v_lshl_add_u32 v8, v0, 2, 0x1000
	v_dual_mov_b32 v9, 0 :: v_dual_mov_b32 v6, v0
	s_mov_b32 s7, 0
.LBB62_52:                              ; =>This Inner Loop Header: Depth=1
	s_delay_alu instid0(VALU_DEP_1) | instskip(NEXT) | instid1(VALU_DEP_1)
	v_add_co_u32 v6, s0, 0x100, v6
	v_add_co_ci_u32_e64 v7, s0, 0, v7, s0
	ds_store_b32 v8, v9
	v_add_nc_u32_e32 v8, 0x400, v8
	v_cmp_le_i64_e64 s0, s[2:3], v[6:7]
	s_delay_alu instid0(VALU_DEP_1) | instskip(NEXT) | instid1(SALU_CYCLE_1)
	s_or_b32 s7, s0, s7
	s_and_not1_b32 exec_lo, exec_lo, s7
	s_cbranch_execnz .LBB62_52
.LBB62_53:
	s_or_b32 exec_lo, exec_lo, s1
	v_cmp_ge_i64_e64 s0, s[18:19], s[2:3]
	s_sub_u32 s1, s18, s2
	s_subb_u32 s7, s19, s3
	s_waitcnt lgkmcnt(0)
	s_barrier
	buffer_gl0_inv
	s_and_b32 s0, s0, exec_lo
	s_cselect_b32 s13, s7, 0
	s_cselect_b32 s12, s1, 0
	s_and_saveexec_b32 s0, vcc_lo
	s_delay_alu instid0(SALU_CYCLE_1)
	s_xor_b32 s7, exec_lo, s0
	s_cbranch_execz .LBB62_72
; %bb.54:
	s_lshl_b64 s[0:1], s[18:19], 3
	s_mov_b32 s25, exec_lo
	s_add_u32 s0, s8, s0
	s_addc_u32 s1, s9, s1
	s_load_b64 s[0:1], s[0:1], 0x0
	s_waitcnt lgkmcnt(0)
	s_sub_u32 s30, s0, s4
	s_subb_u32 s31, s1, s5
	s_delay_alu instid0(SALU_CYCLE_1)
	v_cmpx_gt_i64_e64 s[30:31], v[0:1]
	s_cbranch_execz .LBB62_71
; %bb.55:
	s_add_u32 s34, s18, -1
	s_addc_u32 s35, s19, -1
	s_add_u32 s36, s18, -2
	v_cmp_gt_i64_e64 s29, s[34:35], s[16:17]
	s_addc_u32 s37, s19, -1
	s_mov_b64 s[38:39], 0
	s_cmp_lg_u64 s[36:37], s[16:17]
	s_cselect_b32 s33, -1, 0
	s_delay_alu instid0(VALU_DEP_1) | instid1(SALU_CYCLE_1)
	s_and_b32 s29, s29, s33
	s_sub_u32 s36, s0, s24
	s_subb_u32 s37, s1, 0
	s_mov_b32 s1, 0
	s_branch .LBB62_58
.LBB62_56:                              ;   in Loop: Header=BB62_58 Depth=1
	s_or_b32 exec_lo, exec_lo, s0
.LBB62_57:                              ;   in Loop: Header=BB62_58 Depth=1
	s_delay_alu instid0(SALU_CYCLE_1)
	s_or_b32 exec_lo, exec_lo, s33
	v_add_co_u32 v4, vcc_lo, s14, v4
	v_add_co_ci_u32_e32 v5, vcc_lo, s15, v5, vcc_lo
	s_add_u32 s38, s38, 0x100
	s_addc_u32 s39, s39, 0
	global_load_i8 v6, v[4:5], off
	v_add_co_u32 v4, s0, s38, v0
	s_delay_alu instid0(VALU_DEP_1) | instskip(NEXT) | instid1(VALU_DEP_1)
	v_add_co_ci_u32_e64 v5, null, s39, 0, s0
	v_cmp_le_i64_e32 vcc_lo, s[30:31], v[4:5]
	v_lshlrev_b32_e32 v4, 2, v10
	s_or_b32 s1, vcc_lo, s1
	s_waitcnt vmcnt(0)
	v_cvt_f32_i32_e32 v6, v6
	s_waitcnt lgkmcnt(0)
	s_delay_alu instid0(VALU_DEP_1)
	v_mul_f32_e32 v5, v11, v6
	ds_store_b32 v4, v5
	s_and_not1_b32 exec_lo, exec_lo, s1
	s_cbranch_execz .LBB62_71
.LBB62_58:                              ; =>This Loop Header: Depth=1
                                        ;     Child Loop BB62_60 Depth 2
                                        ;     Child Loop BB62_67 Depth 2
	v_add_co_u32 v6, vcc_lo, s38, v2
	v_add_co_ci_u32_e32 v7, vcc_lo, s39, v3, vcc_lo
	v_dual_mov_b32 v8, s16 :: v_dual_mov_b32 v9, s17
	v_dual_mov_b32 v10, s34 :: v_dual_mov_b32 v11, s35
	s_and_not1_b32 vcc_lo, exec_lo, s29
	s_cbranch_vccnz .LBB62_62
; %bb.59:                               ;   in Loop: Header=BB62_58 Depth=1
	v_dual_mov_b32 v8, s16 :: v_dual_mov_b32 v9, s17
	v_dual_mov_b32 v10, s34 :: v_dual_mov_b32 v11, s35
	s_mov_b32 s33, 0
	s_set_inst_prefetch_distance 0x1
	.p2align	6
.LBB62_60:                              ;   Parent Loop BB62_58 Depth=1
                                        ; =>  This Inner Loop Header: Depth=2
	s_delay_alu instid0(VALU_DEP_1) | instskip(NEXT) | instid1(VALU_DEP_2)
	v_add_co_u32 v4, vcc_lo, v10, v8
	v_add_co_ci_u32_e32 v5, vcc_lo, v11, v9, vcc_lo
	s_delay_alu instid0(VALU_DEP_1) | instskip(NEXT) | instid1(VALU_DEP_1)
	v_lshrrev_b32_e32 v12, 31, v5
	v_add_co_u32 v4, vcc_lo, v4, v12
	v_add_co_ci_u32_e32 v5, vcc_lo, 0, v5, vcc_lo
	s_delay_alu instid0(VALU_DEP_1) | instskip(NEXT) | instid1(VALU_DEP_1)
	v_ashrrev_i64 v[4:5], 1, v[4:5]
	v_lshlrev_b64 v[12:13], 3, v[4:5]
	s_delay_alu instid0(VALU_DEP_1) | instskip(NEXT) | instid1(VALU_DEP_2)
	v_add_co_u32 v12, vcc_lo, s8, v12
	v_add_co_ci_u32_e32 v13, vcc_lo, s9, v13, vcc_lo
	global_load_b64 v[12:13], v[12:13], off
	s_waitcnt vmcnt(0)
	v_sub_co_u32 v12, vcc_lo, v12, s24
	v_subrev_co_ci_u32_e32 v13, vcc_lo, 0, v13, vcc_lo
	s_delay_alu instid0(VALU_DEP_1) | instskip(SKIP_2) | instid1(VALU_DEP_2)
	v_cmp_gt_i64_e32 vcc_lo, v[12:13], v[6:7]
	v_dual_cndmask_b32 v11, v11, v5 :: v_dual_cndmask_b32 v10, v10, v4
	v_dual_cndmask_b32 v9, v5, v9 :: v_dual_cndmask_b32 v8, v4, v8
	v_add_co_u32 v4, vcc_lo, v10, -1
	s_delay_alu instid0(VALU_DEP_3) | instskip(NEXT) | instid1(VALU_DEP_3)
	v_add_co_ci_u32_e32 v5, vcc_lo, -1, v11, vcc_lo
	v_cmp_ge_i64_e32 vcc_lo, v[8:9], v[10:11]
	s_delay_alu instid0(VALU_DEP_2) | instskip(NEXT) | instid1(VALU_DEP_1)
	v_cmp_eq_u64_e64 s0, v[8:9], v[4:5]
	s_or_b32 s0, vcc_lo, s0
	s_delay_alu instid0(SALU_CYCLE_1) | instskip(NEXT) | instid1(SALU_CYCLE_1)
	s_and_b32 s0, exec_lo, s0
	s_or_b32 s33, s0, s33
	s_delay_alu instid0(SALU_CYCLE_1)
	s_and_not1_b32 exec_lo, exec_lo, s33
	s_cbranch_execnz .LBB62_60
; %bb.61:                               ;   in Loop: Header=BB62_58 Depth=1
	s_set_inst_prefetch_distance 0x2
	s_or_b32 exec_lo, exec_lo, s33
.LBB62_62:                              ;   in Loop: Header=BB62_58 Depth=1
	s_delay_alu instid0(VALU_DEP_1) | instskip(SKIP_1) | instid1(VALU_DEP_2)
	v_lshlrev_b64 v[4:5], 3, v[10:11]
	v_lshlrev_b64 v[12:13], 3, v[6:7]
	v_add_co_u32 v4, vcc_lo, s8, v4
	s_delay_alu instid0(VALU_DEP_3) | instskip(NEXT) | instid1(VALU_DEP_3)
	v_add_co_ci_u32_e32 v5, vcc_lo, s9, v5, vcc_lo
	v_add_co_u32 v12, vcc_lo, s10, v12
	s_delay_alu instid0(VALU_DEP_4)
	v_add_co_ci_u32_e32 v13, vcc_lo, s11, v13, vcc_lo
	global_load_b64 v[4:5], v[4:5], off
	global_load_b64 v[12:13], v[12:13], off
	s_waitcnt vmcnt(1)
	v_sub_co_u32 v4, vcc_lo, v4, s24
	v_subrev_co_ci_u32_e32 v5, vcc_lo, 0, v5, vcc_lo
	s_delay_alu instid0(VALU_DEP_1) | instskip(SKIP_2) | instid1(VALU_DEP_1)
	v_cmp_gt_i64_e32 vcc_lo, v[4:5], v[6:7]
	s_waitcnt vmcnt(0)
	v_sub_co_u32 v4, s0, v12, s24
	v_subrev_co_ci_u32_e64 v5, s0, 0, v13, s0
	v_cmp_le_i64_e64 s0, s[36:37], v[6:7]
	v_dual_cndmask_b32 v9, v11, v9 :: v_dual_cndmask_b32 v8, v10, v8
	v_add_co_u32 v10, null, s38, v0
                                        ; implicit-def: $vgpr11
	s_delay_alu instid0(VALU_DEP_2) | instskip(NEXT) | instid1(VALU_DEP_2)
	v_cmp_eq_u64_e32 vcc_lo, v[4:5], v[8:9]
	v_lshlrev_b32_e32 v12, 2, v10
	s_or_b32 s0, vcc_lo, s0
	s_delay_alu instid0(SALU_CYCLE_1) | instskip(NEXT) | instid1(SALU_CYCLE_1)
	s_and_saveexec_b32 s33, s0
	s_xor_b32 s0, exec_lo, s33
	s_cbranch_execz .LBB62_64
; %bb.63:                               ;   in Loop: Header=BB62_58 Depth=1
	ds_load_b32 v11, v12
                                        ; implicit-def: $vgpr12
                                        ; implicit-def: $vgpr8_vgpr9
.LBB62_64:                              ;   in Loop: Header=BB62_58 Depth=1
	s_and_not1_saveexec_b32 s33, s0
	s_cbranch_execz .LBB62_57
; %bb.65:                               ;   in Loop: Header=BB62_58 Depth=1
	v_cmp_gt_i64_e32 vcc_lo, s[12:13], v[4:5]
	v_cmp_le_i64_e64 s0, s[18:19], v[4:5]
                                        ; implicit-def: $vgpr11
	s_delay_alu instid0(VALU_DEP_1) | instskip(NEXT) | instid1(SALU_CYCLE_1)
	s_or_b32 s0, vcc_lo, s0
	s_and_saveexec_b32 s40, s0
	s_delay_alu instid0(SALU_CYCLE_1)
	s_xor_b32 s0, exec_lo, s40
	s_cbranch_execz .LBB62_69
; %bb.66:                               ;   in Loop: Header=BB62_58 Depth=1
	v_add_co_u32 v6, vcc_lo, s14, v8
	v_add_co_ci_u32_e32 v7, vcc_lo, s15, v9, vcc_lo
	v_lshlrev_b64 v[8:9], 2, v[4:5]
	s_waitcnt lgkmcnt(0)
	ds_load_b32 v11, v12
	s_mov_b32 s40, 0
	global_load_i8 v13, v[6:7], off
	v_add_co_u32 v6, vcc_lo, s20, v8
	v_add_co_ci_u32_e32 v7, vcc_lo, s21, v9, vcc_lo
	global_load_b32 v9, v[6:7], off
	s_waitcnt vmcnt(1)
	v_cvt_f32_i32_e32 v8, v13
	s_waitcnt lgkmcnt(0)
	s_delay_alu instid0(VALU_DEP_1)
	v_mul_f32_e32 v12, v11, v8
.LBB62_67:                              ;   Parent Loop BB62_58 Depth=1
                                        ; =>  This Inner Loop Header: Depth=2
	s_waitcnt vmcnt(0)
	s_delay_alu instid0(VALU_DEP_1)
	v_add_f32_e32 v8, v9, v12
	global_atomic_cmpswap_b32 v8, v[6:7], v[8:9], off glc
	s_waitcnt vmcnt(0)
	v_cmp_eq_u32_e32 vcc_lo, v8, v9
	v_mov_b32_e32 v9, v8
	s_or_b32 s40, vcc_lo, s40
	s_delay_alu instid0(SALU_CYCLE_1)
	s_and_not1_b32 exec_lo, exec_lo, s40
	s_cbranch_execnz .LBB62_67
; %bb.68:                               ;   in Loop: Header=BB62_58 Depth=1
	s_or_b32 exec_lo, exec_lo, s40
                                        ; implicit-def: $vgpr12
                                        ; implicit-def: $vgpr8_vgpr9
.LBB62_69:                              ;   in Loop: Header=BB62_58 Depth=1
	s_and_not1_saveexec_b32 s0, s0
	s_cbranch_execz .LBB62_56
; %bb.70:                               ;   in Loop: Header=BB62_58 Depth=1
	v_add_co_u32 v6, vcc_lo, s14, v8
	v_add_co_ci_u32_e32 v7, vcc_lo, s15, v9, vcc_lo
	s_waitcnt lgkmcnt(0)
	ds_load_b32 v11, v12
	global_load_i8 v6, v[6:7], off
	v_subrev_nc_u32_e32 v7, s12, v4
	s_delay_alu instid0(VALU_DEP_1) | instskip(SKIP_3) | instid1(VALU_DEP_1)
	v_lshl_add_u32 v7, v7, 2, 0x1000
	s_waitcnt vmcnt(0)
	v_cvt_f32_i32_e32 v6, v6
	s_waitcnt lgkmcnt(0)
	v_mul_f32_e32 v6, v11, v6
	ds_add_f32 v7, v6
	s_branch .LBB62_56
.LBB62_71:
	s_or_b32 exec_lo, exec_lo, s25
                                        ; implicit-def: $vgpr4_vgpr5
                                        ; implicit-def: $vgpr2
.LBB62_72:
	s_and_not1_saveexec_b32 s1, s7
	s_cbranch_execz .LBB62_122
; %bb.73:
	s_add_u32 s30, s18, -1
	s_addc_u32 s31, s19, -1
	s_add_u32 s34, s18, -2
	v_cmp_le_i64_e64 s0, s[30:31], s[16:17]
	s_addc_u32 s35, s19, -1
	v_dual_mov_b32 v8, s16 :: v_dual_mov_b32 v9, s17
	s_cmp_eq_u64 s[34:35], s[16:17]
	v_dual_mov_b32 v10, s30 :: v_dual_mov_b32 v11, s31
	s_cselect_b32 s7, -1, 0
	s_delay_alu instid0(SALU_CYCLE_1) | instskip(NEXT) | instid1(SALU_CYCLE_1)
	s_or_b32 s7, s0, s7
	s_and_b32 vcc_lo, exec_lo, s7
	s_cbranch_vccnz .LBB62_77
; %bb.74:
	v_dual_mov_b32 v8, s16 :: v_dual_mov_b32 v9, s17
	v_dual_mov_b32 v10, s30 :: v_dual_mov_b32 v11, s31
	s_mov_b32 s25, 0
	s_set_inst_prefetch_distance 0x1
	.p2align	6
.LBB62_75:                              ; =>This Inner Loop Header: Depth=1
	s_delay_alu instid0(VALU_DEP_1) | instskip(NEXT) | instid1(VALU_DEP_2)
	v_add_co_u32 v6, vcc_lo, v10, v8
	v_add_co_ci_u32_e32 v7, vcc_lo, v11, v9, vcc_lo
	s_delay_alu instid0(VALU_DEP_1) | instskip(NEXT) | instid1(VALU_DEP_1)
	v_lshrrev_b32_e32 v12, 31, v7
	v_add_co_u32 v6, vcc_lo, v6, v12
	v_add_co_ci_u32_e32 v7, vcc_lo, 0, v7, vcc_lo
	s_delay_alu instid0(VALU_DEP_1) | instskip(NEXT) | instid1(VALU_DEP_1)
	v_ashrrev_i64 v[6:7], 1, v[6:7]
	v_lshlrev_b64 v[12:13], 3, v[6:7]
	s_delay_alu instid0(VALU_DEP_1) | instskip(NEXT) | instid1(VALU_DEP_2)
	v_add_co_u32 v12, vcc_lo, s8, v12
	v_add_co_ci_u32_e32 v13, vcc_lo, s9, v13, vcc_lo
	global_load_b64 v[12:13], v[12:13], off
	s_waitcnt vmcnt(0)
	v_sub_co_u32 v12, vcc_lo, v12, s24
	v_subrev_co_ci_u32_e32 v13, vcc_lo, 0, v13, vcc_lo
	s_delay_alu instid0(VALU_DEP_1) | instskip(SKIP_2) | instid1(VALU_DEP_2)
	v_cmp_gt_i64_e32 vcc_lo, v[12:13], v[2:3]
	v_dual_cndmask_b32 v11, v11, v7 :: v_dual_cndmask_b32 v10, v10, v6
	v_dual_cndmask_b32 v9, v7, v9 :: v_dual_cndmask_b32 v8, v6, v8
	v_add_co_u32 v6, vcc_lo, v10, -1
	s_delay_alu instid0(VALU_DEP_3) | instskip(NEXT) | instid1(VALU_DEP_3)
	v_add_co_ci_u32_e32 v7, vcc_lo, -1, v11, vcc_lo
	v_cmp_ge_i64_e32 vcc_lo, v[8:9], v[10:11]
	s_delay_alu instid0(VALU_DEP_2) | instskip(NEXT) | instid1(VALU_DEP_1)
	v_cmp_eq_u64_e64 s0, v[8:9], v[6:7]
	s_or_b32 s0, vcc_lo, s0
	s_delay_alu instid0(SALU_CYCLE_1) | instskip(NEXT) | instid1(SALU_CYCLE_1)
	s_and_b32 s0, exec_lo, s0
	s_or_b32 s25, s0, s25
	s_delay_alu instid0(SALU_CYCLE_1)
	s_and_not1_b32 exec_lo, exec_lo, s25
	s_cbranch_execnz .LBB62_75
; %bb.76:
	s_set_inst_prefetch_distance 0x2
	s_or_b32 exec_lo, exec_lo, s25
.LBB62_77:
	v_lshlrev_b64 v[6:7], 3, v[10:11]
	s_xor_b32 s7, s7, -1
	s_mov_b32 s25, exec_lo
	s_delay_alu instid0(VALU_DEP_1) | instskip(NEXT) | instid1(VALU_DEP_2)
	v_add_co_u32 v6, vcc_lo, s8, v6
	v_add_co_ci_u32_e32 v7, vcc_lo, s9, v7, vcc_lo
	global_load_b64 v[12:13], v[6:7], off
	v_lshlrev_b64 v[6:7], 3, v[2:3]
	s_delay_alu instid0(VALU_DEP_1) | instskip(NEXT) | instid1(VALU_DEP_2)
	v_add_co_u32 v6, vcc_lo, s10, v6
	v_add_co_ci_u32_e32 v7, vcc_lo, s11, v7, vcc_lo
	s_lshl_b64 s[10:11], s[18:19], 3
	s_delay_alu instid0(SALU_CYCLE_1)
	s_add_u32 s10, s8, s10
	global_load_b64 v[15:16], v[6:7], off
	s_addc_u32 s11, s9, s11
	s_waitcnt vmcnt(1)
	v_sub_co_u32 v12, vcc_lo, v12, s24
	v_subrev_co_ci_u32_e32 v13, vcc_lo, 0, v13, vcc_lo
	s_delay_alu instid0(VALU_DEP_1) | instskip(SKIP_4) | instid1(VALU_DEP_1)
	v_cmp_gt_i64_e32 vcc_lo, v[12:13], v[2:3]
	v_dual_cndmask_b32 v11, v11, v9 :: v_dual_cndmask_b32 v10, v10, v8
	s_waitcnt vmcnt(0)
	v_sub_co_u32 v8, vcc_lo, v15, s24
	v_subrev_co_ci_u32_e32 v9, vcc_lo, 0, v16, vcc_lo
	v_cmpx_ne_u64_e64 v[8:9], v[10:11]
	s_cbranch_execz .LBB62_85
; %bb.78:
	s_load_b64 s[34:35], s[10:11], 0x0
	s_waitcnt lgkmcnt(0)
	s_sub_u32 s34, s34, s24
	s_subb_u32 s35, s35, 0
	s_delay_alu instid0(SALU_CYCLE_1)
	v_cmp_gt_i64_e32 vcc_lo, s[34:35], v[2:3]
	s_and_b32 exec_lo, exec_lo, vcc_lo
	s_cbranch_execz .LBB62_85
; %bb.79:
	v_cmp_gt_i64_e32 vcc_lo, s[12:13], v[8:9]
	v_cmp_le_i64_e64 s0, s[18:19], v[8:9]
	s_delay_alu instid0(VALU_DEP_1) | instskip(NEXT) | instid1(SALU_CYCLE_1)
	s_or_b32 s0, vcc_lo, s0
	s_and_saveexec_b32 s29, s0
	s_delay_alu instid0(SALU_CYCLE_1)
	s_xor_b32 s0, exec_lo, s29
	s_cbranch_execz .LBB62_83
; %bb.80:
	v_add_co_u32 v10, vcc_lo, s14, v10
	v_add_co_ci_u32_e32 v11, vcc_lo, s15, v11, vcc_lo
	v_lshlrev_b64 v[12:13], 2, v[8:9]
	s_mov_b32 s29, 0
	global_load_i8 v15, v[10:11], off
	v_add_co_u32 v10, vcc_lo, s20, v12
	v_add_co_ci_u32_e32 v11, vcc_lo, s21, v13, vcc_lo
	ds_load_b32 v12, v14
	global_load_b32 v13, v[10:11], off
	s_waitcnt vmcnt(1)
	v_cvt_f32_i32_e32 v15, v15
	s_waitcnt lgkmcnt(0)
	s_delay_alu instid0(VALU_DEP_1)
	v_mul_f32_e32 v15, v12, v15
.LBB62_81:                              ; =>This Inner Loop Header: Depth=1
	s_waitcnt vmcnt(0)
	s_delay_alu instid0(VALU_DEP_1)
	v_add_f32_e32 v12, v13, v15
	global_atomic_cmpswap_b32 v12, v[10:11], v[12:13], off glc
	s_waitcnt vmcnt(0)
	v_cmp_eq_u32_e32 vcc_lo, v12, v13
	v_mov_b32_e32 v13, v12
	s_or_b32 s29, vcc_lo, s29
	s_delay_alu instid0(SALU_CYCLE_1)
	s_and_not1_b32 exec_lo, exec_lo, s29
	s_cbranch_execnz .LBB62_81
; %bb.82:
	s_or_b32 exec_lo, exec_lo, s29
                                        ; implicit-def: $vgpr10_vgpr11
.LBB62_83:
	s_and_not1_saveexec_b32 s0, s0
	s_cbranch_execz .LBB62_85
; %bb.84:
	v_add_co_u32 v10, vcc_lo, s14, v10
	v_add_co_ci_u32_e32 v11, vcc_lo, s15, v11, vcc_lo
	v_subrev_nc_u32_e32 v12, s12, v8
	global_load_i8 v10, v[10:11], off
	ds_load_b32 v11, v14
	v_lshl_add_u32 v12, v12, 2, 0x1000
	s_waitcnt vmcnt(0)
	v_cvt_f32_i32_e32 v10, v10
	s_waitcnt lgkmcnt(0)
	s_delay_alu instid0(VALU_DEP_1)
	v_mul_f32_e32 v10, v11, v10
	ds_add_f32 v12, v10
.LBB62_85:
	s_or_b32 exec_lo, exec_lo, s25
	v_add_co_u32 v8, vcc_lo, s14, v8
	v_add_co_ci_u32_e32 v9, vcc_lo, s15, v9, vcc_lo
	ds_load_b32 v10, v14
	v_mov_b32_e32 v12, s30
	v_cndmask_b32_e64 v15, 0, 1, s7
	global_load_i8 v8, v[8:9], off
	v_mov_b32_e32 v13, s31
	s_waitcnt vmcnt(0)
	v_cvt_f32_i32_e32 v11, v8
	v_add_co_u32 v8, vcc_lo, 0x100, v2
	v_add_co_ci_u32_e32 v9, vcc_lo, 0, v3, vcc_lo
	s_waitcnt lgkmcnt(0)
	s_delay_alu instid0(VALU_DEP_3)
	v_mul_f32_e32 v16, v10, v11
	v_dual_mov_b32 v10, s16 :: v_dual_mov_b32 v11, s17
	s_and_not1_b32 vcc_lo, exec_lo, s7
	ds_store_b32 v14, v16
	s_cbranch_vccnz .LBB62_89
; %bb.86:
	v_dual_mov_b32 v10, s16 :: v_dual_mov_b32 v11, s17
	v_dual_mov_b32 v12, s30 :: v_dual_mov_b32 v13, s31
	s_mov_b32 s7, 0
	s_set_inst_prefetch_distance 0x1
	.p2align	6
.LBB62_87:                              ; =>This Inner Loop Header: Depth=1
	s_delay_alu instid0(VALU_DEP_1) | instskip(NEXT) | instid1(VALU_DEP_2)
	v_add_co_u32 v16, vcc_lo, v12, v10
	v_add_co_ci_u32_e32 v17, vcc_lo, v13, v11, vcc_lo
	s_delay_alu instid0(VALU_DEP_1) | instskip(NEXT) | instid1(VALU_DEP_1)
	v_lshrrev_b32_e32 v18, 31, v17
	v_add_co_u32 v16, vcc_lo, v16, v18
	v_add_co_ci_u32_e32 v17, vcc_lo, 0, v17, vcc_lo
	s_delay_alu instid0(VALU_DEP_1) | instskip(NEXT) | instid1(VALU_DEP_1)
	v_ashrrev_i64 v[16:17], 1, v[16:17]
	v_lshlrev_b64 v[18:19], 3, v[16:17]
	s_delay_alu instid0(VALU_DEP_1) | instskip(NEXT) | instid1(VALU_DEP_2)
	v_add_co_u32 v18, vcc_lo, s8, v18
	v_add_co_ci_u32_e32 v19, vcc_lo, s9, v19, vcc_lo
	global_load_b64 v[18:19], v[18:19], off
	s_waitcnt vmcnt(0)
	v_sub_co_u32 v18, vcc_lo, v18, s24
	v_subrev_co_ci_u32_e32 v19, vcc_lo, 0, v19, vcc_lo
	s_delay_alu instid0(VALU_DEP_1) | instskip(SKIP_2) | instid1(VALU_DEP_2)
	v_cmp_gt_i64_e32 vcc_lo, v[18:19], v[8:9]
	v_dual_cndmask_b32 v13, v13, v17 :: v_dual_cndmask_b32 v12, v12, v16
	v_dual_cndmask_b32 v11, v17, v11 :: v_dual_cndmask_b32 v10, v16, v10
	v_add_co_u32 v16, vcc_lo, v12, -1
	s_delay_alu instid0(VALU_DEP_3) | instskip(NEXT) | instid1(VALU_DEP_3)
	v_add_co_ci_u32_e32 v17, vcc_lo, -1, v13, vcc_lo
	v_cmp_ge_i64_e32 vcc_lo, v[10:11], v[12:13]
	s_delay_alu instid0(VALU_DEP_2) | instskip(NEXT) | instid1(VALU_DEP_1)
	v_cmp_eq_u64_e64 s0, v[10:11], v[16:17]
	s_or_b32 s0, vcc_lo, s0
	s_delay_alu instid0(SALU_CYCLE_1) | instskip(NEXT) | instid1(SALU_CYCLE_1)
	s_and_b32 s0, exec_lo, s0
	s_or_b32 s7, s0, s7
	s_delay_alu instid0(SALU_CYCLE_1)
	s_and_not1_b32 exec_lo, exec_lo, s7
	s_cbranch_execnz .LBB62_87
; %bb.88:
	s_set_inst_prefetch_distance 0x2
	s_or_b32 exec_lo, exec_lo, s7
.LBB62_89:
	v_lshlrev_b64 v[16:17], 3, v[12:13]
	s_mov_b32 s7, exec_lo
	s_delay_alu instid0(VALU_DEP_1) | instskip(NEXT) | instid1(VALU_DEP_2)
	v_add_co_u32 v16, vcc_lo, s8, v16
	v_add_co_ci_u32_e32 v17, vcc_lo, s9, v17, vcc_lo
	global_load_b64 v[16:17], v[16:17], off
	global_load_b64 v[18:19], v[6:7], off offset:2048
	s_waitcnt vmcnt(1)
	v_sub_co_u32 v16, vcc_lo, v16, s24
	v_subrev_co_ci_u32_e32 v17, vcc_lo, 0, v17, vcc_lo
	s_delay_alu instid0(VALU_DEP_1) | instskip(SKIP_4) | instid1(VALU_DEP_1)
	v_cmp_gt_i64_e32 vcc_lo, v[16:17], v[8:9]
	v_dual_cndmask_b32 v13, v13, v11 :: v_dual_cndmask_b32 v12, v12, v10
	s_waitcnt vmcnt(0)
	v_sub_co_u32 v10, vcc_lo, v18, s24
	v_subrev_co_ci_u32_e32 v11, vcc_lo, 0, v19, vcc_lo
	v_cmpx_ne_u64_e64 v[10:11], v[12:13]
	s_cbranch_execz .LBB62_97
; %bb.90:
	s_load_b64 s[34:35], s[10:11], 0x0
	s_waitcnt lgkmcnt(0)
	s_sub_u32 s34, s34, s24
	s_subb_u32 s35, s35, 0
	s_delay_alu instid0(SALU_CYCLE_1)
	v_cmp_gt_i64_e32 vcc_lo, s[34:35], v[8:9]
	s_and_b32 exec_lo, exec_lo, vcc_lo
	s_cbranch_execz .LBB62_97
; %bb.91:
	v_cmp_gt_i64_e32 vcc_lo, s[12:13], v[10:11]
	v_cmp_le_i64_e64 s0, s[18:19], v[10:11]
	s_delay_alu instid0(VALU_DEP_1) | instskip(NEXT) | instid1(SALU_CYCLE_1)
	s_or_b32 s0, vcc_lo, s0
	s_and_saveexec_b32 s25, s0
	s_delay_alu instid0(SALU_CYCLE_1)
	s_xor_b32 s0, exec_lo, s25
	s_cbranch_execz .LBB62_95
; %bb.92:
	v_add_co_u32 v8, vcc_lo, s14, v12
	v_add_co_ci_u32_e32 v9, vcc_lo, s15, v13, vcc_lo
	v_lshlrev_b64 v[12:13], 2, v[10:11]
	s_mov_b32 s25, 0
	global_load_i8 v16, v[8:9], off
	v_add_co_u32 v8, vcc_lo, s20, v12
	v_add_co_ci_u32_e32 v9, vcc_lo, s21, v13, vcc_lo
	ds_load_b32 v12, v14 offset:1024
	global_load_b32 v13, v[8:9], off
	s_waitcnt vmcnt(1)
	v_cvt_f32_i32_e32 v16, v16
	s_waitcnt lgkmcnt(0)
	s_delay_alu instid0(VALU_DEP_1)
	v_mul_f32_e32 v16, v12, v16
.LBB62_93:                              ; =>This Inner Loop Header: Depth=1
	s_waitcnt vmcnt(0)
	s_delay_alu instid0(VALU_DEP_1)
	v_add_f32_e32 v12, v13, v16
	global_atomic_cmpswap_b32 v12, v[8:9], v[12:13], off glc
	s_waitcnt vmcnt(0)
	v_cmp_eq_u32_e32 vcc_lo, v12, v13
	v_mov_b32_e32 v13, v12
	s_or_b32 s25, vcc_lo, s25
	s_delay_alu instid0(SALU_CYCLE_1)
	s_and_not1_b32 exec_lo, exec_lo, s25
	s_cbranch_execnz .LBB62_93
; %bb.94:
	s_or_b32 exec_lo, exec_lo, s25
                                        ; implicit-def: $vgpr12_vgpr13
.LBB62_95:
	s_and_not1_saveexec_b32 s0, s0
	s_cbranch_execz .LBB62_97
; %bb.96:
	v_add_co_u32 v8, vcc_lo, s14, v12
	v_add_co_ci_u32_e32 v9, vcc_lo, s15, v13, vcc_lo
	v_subrev_nc_u32_e32 v12, s12, v10
	global_load_i8 v8, v[8:9], off
	ds_load_b32 v9, v14 offset:1024
	v_lshl_add_u32 v12, v12, 2, 0x1000
	s_waitcnt vmcnt(0)
	v_cvt_f32_i32_e32 v8, v8
	s_waitcnt lgkmcnt(0)
	s_delay_alu instid0(VALU_DEP_1)
	v_mul_f32_e32 v8, v9, v8
	ds_add_f32 v12, v8
.LBB62_97:
	s_or_b32 exec_lo, exec_lo, s7
	v_add_co_u32 v8, vcc_lo, s14, v10
	v_add_co_ci_u32_e32 v9, vcc_lo, s15, v11, vcc_lo
	ds_load_b32 v10, v14 offset:1024
	v_dual_mov_b32 v12, s30 :: v_dual_mov_b32 v13, s31
	global_load_i8 v8, v[8:9], off
	s_waitcnt vmcnt(0)
	v_cvt_f32_i32_e32 v11, v8
	v_add_co_u32 v8, vcc_lo, 0x200, v2
	v_add_co_ci_u32_e32 v9, vcc_lo, 0, v3, vcc_lo
	v_cmp_ne_u32_e32 vcc_lo, 1, v15
	s_waitcnt lgkmcnt(0)
	v_mul_f32_e32 v2, v10, v11
	v_dual_mov_b32 v10, s16 :: v_dual_mov_b32 v11, s17
	ds_store_b32 v14, v2 offset:1024
	s_cbranch_vccnz .LBB62_101
; %bb.98:
	v_dual_mov_b32 v10, s16 :: v_dual_mov_b32 v11, s17
	v_dual_mov_b32 v12, s30 :: v_dual_mov_b32 v13, s31
	s_mov_b32 s7, 0
	s_set_inst_prefetch_distance 0x1
	.p2align	6
.LBB62_99:                              ; =>This Inner Loop Header: Depth=1
	s_delay_alu instid0(VALU_DEP_1) | instskip(NEXT) | instid1(VALU_DEP_2)
	v_add_co_u32 v2, vcc_lo, v12, v10
	v_add_co_ci_u32_e32 v3, vcc_lo, v13, v11, vcc_lo
	s_delay_alu instid0(VALU_DEP_1) | instskip(NEXT) | instid1(VALU_DEP_1)
	v_lshrrev_b32_e32 v16, 31, v3
	v_add_co_u32 v2, vcc_lo, v2, v16
	v_add_co_ci_u32_e32 v3, vcc_lo, 0, v3, vcc_lo
	s_delay_alu instid0(VALU_DEP_1) | instskip(NEXT) | instid1(VALU_DEP_1)
	v_ashrrev_i64 v[2:3], 1, v[2:3]
	v_lshlrev_b64 v[16:17], 3, v[2:3]
	s_delay_alu instid0(VALU_DEP_1) | instskip(NEXT) | instid1(VALU_DEP_2)
	v_add_co_u32 v16, vcc_lo, s8, v16
	v_add_co_ci_u32_e32 v17, vcc_lo, s9, v17, vcc_lo
	global_load_b64 v[16:17], v[16:17], off
	s_waitcnt vmcnt(0)
	v_sub_co_u32 v16, vcc_lo, v16, s24
	v_subrev_co_ci_u32_e32 v17, vcc_lo, 0, v17, vcc_lo
	s_delay_alu instid0(VALU_DEP_1) | instskip(SKIP_2) | instid1(VALU_DEP_2)
	v_cmp_gt_i64_e32 vcc_lo, v[16:17], v[8:9]
	v_dual_cndmask_b32 v13, v13, v3 :: v_dual_cndmask_b32 v12, v12, v2
	v_dual_cndmask_b32 v11, v3, v11 :: v_dual_cndmask_b32 v10, v2, v10
	v_add_co_u32 v2, vcc_lo, v12, -1
	s_delay_alu instid0(VALU_DEP_3) | instskip(NEXT) | instid1(VALU_DEP_3)
	v_add_co_ci_u32_e32 v3, vcc_lo, -1, v13, vcc_lo
	v_cmp_ge_i64_e32 vcc_lo, v[10:11], v[12:13]
	s_delay_alu instid0(VALU_DEP_2) | instskip(NEXT) | instid1(VALU_DEP_1)
	v_cmp_eq_u64_e64 s0, v[10:11], v[2:3]
	s_or_b32 s0, vcc_lo, s0
	s_delay_alu instid0(SALU_CYCLE_1) | instskip(NEXT) | instid1(SALU_CYCLE_1)
	s_and_b32 s0, exec_lo, s0
	s_or_b32 s7, s0, s7
	s_delay_alu instid0(SALU_CYCLE_1)
	s_and_not1_b32 exec_lo, exec_lo, s7
	s_cbranch_execnz .LBB62_99
; %bb.100:
	s_set_inst_prefetch_distance 0x2
	s_or_b32 exec_lo, exec_lo, s7
.LBB62_101:
	v_lshlrev_b64 v[2:3], 3, v[12:13]
	s_mov_b32 s7, exec_lo
	s_delay_alu instid0(VALU_DEP_1) | instskip(NEXT) | instid1(VALU_DEP_2)
	v_add_co_u32 v2, vcc_lo, s8, v2
	v_add_co_ci_u32_e32 v3, vcc_lo, s9, v3, vcc_lo
	global_load_b64 v[16:17], v[2:3], off
	v_add_co_u32 v2, vcc_lo, 0x1000, v6
	v_add_co_ci_u32_e32 v3, vcc_lo, 0, v7, vcc_lo
	global_load_b64 v[6:7], v[2:3], off
	s_waitcnt vmcnt(1)
	v_sub_co_u32 v16, vcc_lo, v16, s24
	v_subrev_co_ci_u32_e32 v17, vcc_lo, 0, v17, vcc_lo
	s_delay_alu instid0(VALU_DEP_1) | instskip(SKIP_4) | instid1(VALU_DEP_1)
	v_cmp_gt_i64_e32 vcc_lo, v[16:17], v[8:9]
	v_dual_cndmask_b32 v11, v13, v11 :: v_dual_cndmask_b32 v10, v12, v10
	s_waitcnt vmcnt(0)
	v_sub_co_u32 v6, vcc_lo, v6, s24
	v_subrev_co_ci_u32_e32 v7, vcc_lo, 0, v7, vcc_lo
	v_cmpx_ne_u64_e64 v[6:7], v[10:11]
	s_cbranch_execz .LBB62_109
; %bb.102:
	s_load_b64 s[34:35], s[10:11], 0x0
	s_waitcnt lgkmcnt(0)
	s_sub_u32 s34, s34, s24
	s_subb_u32 s35, s35, 0
	s_delay_alu instid0(SALU_CYCLE_1)
	v_cmp_gt_i64_e32 vcc_lo, s[34:35], v[8:9]
	s_and_b32 exec_lo, exec_lo, vcc_lo
	s_cbranch_execz .LBB62_109
; %bb.103:
	v_cmp_gt_i64_e32 vcc_lo, s[12:13], v[6:7]
	v_cmp_le_i64_e64 s0, s[18:19], v[6:7]
	s_delay_alu instid0(VALU_DEP_1) | instskip(NEXT) | instid1(SALU_CYCLE_1)
	s_or_b32 s0, vcc_lo, s0
	s_and_saveexec_b32 s25, s0
	s_delay_alu instid0(SALU_CYCLE_1)
	s_xor_b32 s0, exec_lo, s25
	s_cbranch_execz .LBB62_107
; %bb.104:
	v_add_co_u32 v8, vcc_lo, s14, v10
	v_add_co_ci_u32_e32 v9, vcc_lo, s15, v11, vcc_lo
	v_lshlrev_b64 v[10:11], 2, v[6:7]
	s_mov_b32 s25, 0
	global_load_i8 v12, v[8:9], off
	v_add_co_u32 v8, vcc_lo, s20, v10
	v_add_co_ci_u32_e32 v9, vcc_lo, s21, v11, vcc_lo
	ds_load_b32 v10, v14 offset:2048
	global_load_b32 v11, v[8:9], off
	s_waitcnt vmcnt(1)
	v_cvt_f32_i32_e32 v12, v12
	s_waitcnt lgkmcnt(0)
	s_delay_alu instid0(VALU_DEP_1)
	v_mul_f32_e32 v12, v10, v12
.LBB62_105:                             ; =>This Inner Loop Header: Depth=1
	s_waitcnt vmcnt(0)
	s_delay_alu instid0(VALU_DEP_1)
	v_add_f32_e32 v10, v11, v12
	global_atomic_cmpswap_b32 v10, v[8:9], v[10:11], off glc
	s_waitcnt vmcnt(0)
	v_cmp_eq_u32_e32 vcc_lo, v10, v11
	v_mov_b32_e32 v11, v10
	s_or_b32 s25, vcc_lo, s25
	s_delay_alu instid0(SALU_CYCLE_1)
	s_and_not1_b32 exec_lo, exec_lo, s25
	s_cbranch_execnz .LBB62_105
; %bb.106:
	s_or_b32 exec_lo, exec_lo, s25
                                        ; implicit-def: $vgpr10_vgpr11
.LBB62_107:
	s_and_not1_saveexec_b32 s0, s0
	s_cbranch_execz .LBB62_109
; %bb.108:
	v_add_co_u32 v8, vcc_lo, s14, v10
	v_add_co_ci_u32_e32 v9, vcc_lo, s15, v11, vcc_lo
	v_subrev_nc_u32_e32 v10, s12, v6
	global_load_i8 v8, v[8:9], off
	ds_load_b32 v9, v14 offset:2048
	v_lshl_add_u32 v10, v10, 2, 0x1000
	s_waitcnt vmcnt(0)
	v_cvt_f32_i32_e32 v8, v8
	s_waitcnt lgkmcnt(0)
	s_delay_alu instid0(VALU_DEP_1)
	v_mul_f32_e32 v8, v9, v8
	ds_add_f32 v10, v8
.LBB62_109:
	s_or_b32 exec_lo, exec_lo, s7
	v_add_co_u32 v6, vcc_lo, s14, v6
	v_add_co_ci_u32_e32 v7, vcc_lo, s15, v7, vcc_lo
	v_cmp_ne_u32_e32 vcc_lo, 1, v15
	v_dual_mov_b32 v8, s30 :: v_dual_mov_b32 v9, s31
	global_load_i8 v6, v[6:7], off
	ds_load_b32 v7, v14 offset:2048
	s_and_b32 vcc_lo, exec_lo, vcc_lo
	s_waitcnt vmcnt(0)
	v_cvt_f32_i32_e32 v6, v6
	s_waitcnt lgkmcnt(0)
	s_delay_alu instid0(VALU_DEP_1)
	v_mul_f32_e32 v10, v7, v6
	v_dual_mov_b32 v6, s16 :: v_dual_mov_b32 v7, s17
	ds_store_b32 v14, v10 offset:2048
	s_cbranch_vccnz .LBB62_113
; %bb.110:
	v_dual_mov_b32 v6, s16 :: v_dual_mov_b32 v7, s17
	v_dual_mov_b32 v8, s30 :: v_dual_mov_b32 v9, s31
	s_mov_b32 s7, 0
	s_set_inst_prefetch_distance 0x1
	.p2align	6
.LBB62_111:                             ; =>This Inner Loop Header: Depth=1
	s_delay_alu instid0(VALU_DEP_1) | instskip(NEXT) | instid1(VALU_DEP_2)
	v_add_co_u32 v10, vcc_lo, v8, v6
	v_add_co_ci_u32_e32 v11, vcc_lo, v9, v7, vcc_lo
	s_delay_alu instid0(VALU_DEP_1) | instskip(NEXT) | instid1(VALU_DEP_1)
	v_lshrrev_b32_e32 v12, 31, v11
	v_add_co_u32 v10, vcc_lo, v10, v12
	v_add_co_ci_u32_e32 v11, vcc_lo, 0, v11, vcc_lo
	s_delay_alu instid0(VALU_DEP_1) | instskip(NEXT) | instid1(VALU_DEP_1)
	v_ashrrev_i64 v[10:11], 1, v[10:11]
	v_lshlrev_b64 v[12:13], 3, v[10:11]
	s_delay_alu instid0(VALU_DEP_1) | instskip(NEXT) | instid1(VALU_DEP_2)
	v_add_co_u32 v12, vcc_lo, s8, v12
	v_add_co_ci_u32_e32 v13, vcc_lo, s9, v13, vcc_lo
	global_load_b64 v[12:13], v[12:13], off
	s_waitcnt vmcnt(0)
	v_sub_co_u32 v12, vcc_lo, v12, s24
	v_subrev_co_ci_u32_e32 v13, vcc_lo, 0, v13, vcc_lo
	s_delay_alu instid0(VALU_DEP_1) | instskip(SKIP_2) | instid1(VALU_DEP_2)
	v_cmp_gt_i64_e32 vcc_lo, v[12:13], v[4:5]
	v_dual_cndmask_b32 v9, v9, v11 :: v_dual_cndmask_b32 v8, v8, v10
	v_dual_cndmask_b32 v7, v11, v7 :: v_dual_cndmask_b32 v6, v10, v6
	v_add_co_u32 v10, vcc_lo, v8, -1
	s_delay_alu instid0(VALU_DEP_3) | instskip(NEXT) | instid1(VALU_DEP_3)
	v_add_co_ci_u32_e32 v11, vcc_lo, -1, v9, vcc_lo
	v_cmp_ge_i64_e32 vcc_lo, v[6:7], v[8:9]
	s_delay_alu instid0(VALU_DEP_2) | instskip(NEXT) | instid1(VALU_DEP_1)
	v_cmp_eq_u64_e64 s0, v[6:7], v[10:11]
	s_or_b32 s0, vcc_lo, s0
	s_delay_alu instid0(SALU_CYCLE_1) | instskip(NEXT) | instid1(SALU_CYCLE_1)
	s_and_b32 s0, exec_lo, s0
	s_or_b32 s7, s0, s7
	s_delay_alu instid0(SALU_CYCLE_1)
	s_and_not1_b32 exec_lo, exec_lo, s7
	s_cbranch_execnz .LBB62_111
; %bb.112:
	s_set_inst_prefetch_distance 0x2
	s_or_b32 exec_lo, exec_lo, s7
.LBB62_113:
	v_lshlrev_b64 v[10:11], 3, v[8:9]
	s_mov_b32 s7, exec_lo
	s_delay_alu instid0(VALU_DEP_1) | instskip(NEXT) | instid1(VALU_DEP_2)
	v_add_co_u32 v10, vcc_lo, s8, v10
	v_add_co_ci_u32_e32 v11, vcc_lo, s9, v11, vcc_lo
	global_load_b64 v[10:11], v[10:11], off
	global_load_b64 v[2:3], v[2:3], off offset:2048
	s_waitcnt vmcnt(1)
	v_sub_co_u32 v10, vcc_lo, v10, s24
	v_subrev_co_ci_u32_e32 v11, vcc_lo, 0, v11, vcc_lo
	s_delay_alu instid0(VALU_DEP_1) | instskip(SKIP_4) | instid1(VALU_DEP_1)
	v_cmp_gt_i64_e32 vcc_lo, v[10:11], v[4:5]
	v_dual_cndmask_b32 v7, v9, v7 :: v_dual_cndmask_b32 v6, v8, v6
	s_waitcnt vmcnt(0)
	v_sub_co_u32 v2, vcc_lo, v2, s24
	v_subrev_co_ci_u32_e32 v3, vcc_lo, 0, v3, vcc_lo
	v_cmpx_ne_u64_e64 v[2:3], v[6:7]
	s_cbranch_execz .LBB62_121
; %bb.114:
	s_load_b64 s[10:11], s[10:11], 0x0
	s_waitcnt lgkmcnt(0)
	s_sub_u32 s10, s10, s24
	s_subb_u32 s11, s11, 0
	s_delay_alu instid0(SALU_CYCLE_1)
	v_cmp_gt_i64_e32 vcc_lo, s[10:11], v[4:5]
	s_and_b32 exec_lo, exec_lo, vcc_lo
	s_cbranch_execz .LBB62_121
; %bb.115:
	v_cmp_gt_i64_e32 vcc_lo, s[12:13], v[2:3]
	v_cmp_le_i64_e64 s0, s[18:19], v[2:3]
	s_delay_alu instid0(VALU_DEP_1) | instskip(NEXT) | instid1(SALU_CYCLE_1)
	s_or_b32 s0, vcc_lo, s0
	s_and_saveexec_b32 s10, s0
	s_delay_alu instid0(SALU_CYCLE_1)
	s_xor_b32 s0, exec_lo, s10
	s_cbranch_execz .LBB62_119
; %bb.116:
	v_add_co_u32 v4, vcc_lo, s14, v6
	v_add_co_ci_u32_e32 v5, vcc_lo, s15, v7, vcc_lo
	v_lshlrev_b64 v[6:7], 2, v[2:3]
	s_mov_b32 s10, 0
	global_load_i8 v8, v[4:5], off
	v_add_co_u32 v4, vcc_lo, s20, v6
	v_add_co_ci_u32_e32 v5, vcc_lo, s21, v7, vcc_lo
	ds_load_b32 v6, v14 offset:3072
	global_load_b32 v7, v[4:5], off
	s_waitcnt vmcnt(1)
	v_cvt_f32_i32_e32 v8, v8
	s_waitcnt lgkmcnt(0)
	s_delay_alu instid0(VALU_DEP_1)
	v_mul_f32_e32 v8, v6, v8
.LBB62_117:                             ; =>This Inner Loop Header: Depth=1
	s_waitcnt vmcnt(0)
	s_delay_alu instid0(VALU_DEP_1)
	v_add_f32_e32 v6, v7, v8
	global_atomic_cmpswap_b32 v6, v[4:5], v[6:7], off glc
	s_waitcnt vmcnt(0)
	v_cmp_eq_u32_e32 vcc_lo, v6, v7
	v_mov_b32_e32 v7, v6
	s_or_b32 s10, vcc_lo, s10
	s_delay_alu instid0(SALU_CYCLE_1)
	s_and_not1_b32 exec_lo, exec_lo, s10
	s_cbranch_execnz .LBB62_117
; %bb.118:
	s_or_b32 exec_lo, exec_lo, s10
                                        ; implicit-def: $vgpr6_vgpr7
.LBB62_119:
	s_and_not1_saveexec_b32 s0, s0
	s_cbranch_execz .LBB62_121
; %bb.120:
	v_add_co_u32 v4, vcc_lo, s14, v6
	v_add_co_ci_u32_e32 v5, vcc_lo, s15, v7, vcc_lo
	v_subrev_nc_u32_e32 v6, s12, v2
	global_load_i8 v4, v[4:5], off
	ds_load_b32 v5, v14 offset:3072
	v_lshl_add_u32 v6, v6, 2, 0x1000
	s_waitcnt vmcnt(0)
	v_cvt_f32_i32_e32 v4, v4
	s_waitcnt lgkmcnt(0)
	s_delay_alu instid0(VALU_DEP_1)
	v_mul_f32_e32 v4, v5, v4
	ds_add_f32 v6, v4
.LBB62_121:
	s_or_b32 exec_lo, exec_lo, s7
	v_add_co_u32 v2, vcc_lo, s14, v2
	v_add_co_ci_u32_e32 v3, vcc_lo, s15, v3, vcc_lo
	global_load_i8 v2, v[2:3], off
	ds_load_b32 v3, v14 offset:3072
	s_waitcnt vmcnt(0)
	v_cvt_f32_i32_e32 v2, v2
	s_waitcnt lgkmcnt(0)
	s_delay_alu instid0(VALU_DEP_1)
	v_mul_f32_e32 v2, v3, v2
	ds_store_b32 v14, v2 offset:3072
.LBB62_122:
	s_or_b32 exec_lo, exec_lo, s1
	v_cmp_lt_i64_e64 s0, s[18:19], s[2:3]
	s_waitcnt lgkmcnt(0)
	s_barrier
	buffer_gl0_inv
	s_and_b32 s0, s0, exec_lo
	s_cselect_b32 s1, s18, s2
	s_cselect_b32 s0, s19, s3
	s_sub_u32 s2, s1, s22
	s_subb_u32 s3, s0, s23
	s_mov_b32 s0, exec_lo
	v_cmpx_gt_i64_e64 s[2:3], v[0:1]
	s_cbranch_execz .LBB62_127
; %bb.123:
	s_lshl_b64 s[10:11], s[12:13], 2
	v_dual_mov_b32 v3, v1 :: v_dual_mov_b32 v2, v0
	s_add_u32 s7, s20, s10
	s_addc_u32 s10, s21, s11
	s_mov_b32 s11, 0
	.p2align	6
.LBB62_124:                             ; =>This Loop Header: Depth=1
                                        ;     Child Loop BB62_125 Depth 2
	s_delay_alu instid0(VALU_DEP_1)
	v_lshlrev_b64 v[4:5], 2, v[2:3]
	v_lshl_add_u32 v6, v2, 2, 0x1000
	s_mov_b32 s12, 0
	ds_load_b32 v8, v6
	v_add_co_u32 v4, vcc_lo, s7, v4
	v_add_co_ci_u32_e32 v5, vcc_lo, s10, v5, vcc_lo
	global_load_b32 v7, v[4:5], off
.LBB62_125:                             ;   Parent Loop BB62_124 Depth=1
                                        ; =>  This Inner Loop Header: Depth=2
	s_waitcnt vmcnt(0) lgkmcnt(0)
	v_add_f32_e32 v6, v7, v8
	global_atomic_cmpswap_b32 v6, v[4:5], v[6:7], off glc
	s_waitcnt vmcnt(0)
	v_cmp_eq_u32_e32 vcc_lo, v6, v7
	v_mov_b32_e32 v7, v6
	s_or_b32 s12, vcc_lo, s12
	s_delay_alu instid0(SALU_CYCLE_1)
	s_and_not1_b32 exec_lo, exec_lo, s12
	s_cbranch_execnz .LBB62_125
; %bb.126:                              ;   in Loop: Header=BB62_124 Depth=1
	s_or_b32 exec_lo, exec_lo, s12
	v_add_co_u32 v2, vcc_lo, 0x100, v2
	v_add_co_ci_u32_e32 v3, vcc_lo, 0, v3, vcc_lo
	s_delay_alu instid0(VALU_DEP_1) | instskip(SKIP_1) | instid1(SALU_CYCLE_1)
	v_cmp_le_i64_e32 vcc_lo, s[2:3], v[2:3]
	s_or_b32 s11, vcc_lo, s11
	s_and_not1_b32 exec_lo, exec_lo, s11
	s_cbranch_execnz .LBB62_124
.LBB62_127:
	s_or_b32 exec_lo, exec_lo, s0
	s_add_i32 s0, s28, -1
	v_add_co_u32 v6, s10, s16, v0
	s_ashr_i32 s3, s0, 1
	v_add_co_ci_u32_e64 v7, null, s17, 0, s10
	s_or_b32 s0, s3, s0
	s_delay_alu instid0(SALU_CYCLE_1) | instskip(SKIP_4) | instid1(SALU_CYCLE_1)
	s_ashr_i32 s3, s0, 2
	s_barrier
	s_or_b32 s0, s3, s0
	buffer_gl0_inv
	s_ashr_i32 s3, s0, 4
	s_or_b32 s0, s3, s0
	s_delay_alu instid0(SALU_CYCLE_1) | instskip(NEXT) | instid1(SALU_CYCLE_1)
	s_ashr_i32 s3, s0, 8
	s_or_b32 s0, s3, s0
	s_delay_alu instid0(SALU_CYCLE_1) | instskip(NEXT) | instid1(SALU_CYCLE_1)
	s_ashr_i32 s3, s0, 16
	s_or_b32 s3, s3, s0
	s_mov_b32 s0, -1
	s_add_i32 s3, s3, 1
	s_delay_alu instid0(SALU_CYCLE_1) | instskip(NEXT) | instid1(SALU_CYCLE_1)
	s_ashr_i32 s7, s3, 1
	s_cmp_gt_i32 s7, 1
	s_cbranch_scc1 .LBB62_138
; %bb.128:
	s_mov_b32 s0, exec_lo
	v_cmpx_gt_i64_e64 s[18:19], v[6:7]
	s_cbranch_execz .LBB62_137
; %bb.129:
	s_sub_i32 s1, s1, s18
	v_dual_mov_b32 v9, v7 :: v_dual_mov_b32 v8, v6
	s_lshl_b32 s11, s4, 2
	s_lshl_b32 s1, s1, 2
	s_mov_b32 s10, 0
	s_addk_i32 s1, 0x1000
	s_sub_i32 s11, 0, s11
.LBB62_130:                             ; =>This Loop Header: Depth=1
                                        ;     Child Loop BB62_132 Depth 2
                                        ;     Child Loop BB62_135 Depth 2
	v_lshlrev_b64 v[2:3], 3, v[8:9]
	v_mov_b32_e32 v12, 0
	s_mov_b32 s12, exec_lo
	s_delay_alu instid0(VALU_DEP_2) | instskip(NEXT) | instid1(VALU_DEP_3)
	v_add_co_u32 v2, vcc_lo, s8, v2
	v_add_co_ci_u32_e32 v3, vcc_lo, s9, v3, vcc_lo
	global_load_b128 v[2:5], v[2:3], off
	s_waitcnt vmcnt(0)
	v_cmpx_lt_i64_e64 v[2:3], v[4:5]
	s_cbranch_execz .LBB62_134
; %bb.131:                              ;   in Loop: Header=BB62_130 Depth=1
	v_sub_co_u32 v4, vcc_lo, v4, s4
	v_subrev_co_ci_u32_e32 v5, vcc_lo, s5, v5, vcc_lo
	v_sub_co_u32 v10, vcc_lo, v2, s4
	v_subrev_co_ci_u32_e32 v11, vcc_lo, s5, v3, vcc_lo
	v_lshl_add_u32 v2, v2, 2, s11
	v_mov_b32_e32 v12, 0
	s_mov_b32 s13, 0
.LBB62_132:                             ;   Parent Loop BB62_130 Depth=1
                                        ; =>  This Inner Loop Header: Depth=2
	ds_load_b32 v3, v2
	v_add_co_u32 v10, vcc_lo, v10, 1
	v_add_co_ci_u32_e32 v11, vcc_lo, 0, v11, vcc_lo
	v_add_nc_u32_e32 v2, 4, v2
	s_delay_alu instid0(VALU_DEP_2)
	v_cmp_ge_i64_e32 vcc_lo, v[10:11], v[4:5]
	s_or_b32 s13, vcc_lo, s13
	s_waitcnt lgkmcnt(0)
	v_add_f32_e32 v12, v12, v3
	s_and_not1_b32 exec_lo, exec_lo, s13
	s_cbranch_execnz .LBB62_132
; %bb.133:                              ;   in Loop: Header=BB62_130 Depth=1
	s_or_b32 exec_lo, exec_lo, s13
.LBB62_134:                             ;   in Loop: Header=BB62_130 Depth=1
	s_delay_alu instid0(SALU_CYCLE_1)
	s_or_b32 exec_lo, exec_lo, s12
	v_lshlrev_b64 v[2:3], 2, v[8:9]
	v_lshl_add_u32 v4, v8, 2, s1
	s_mov_b32 s12, 0
	ds_load_b32 v4, v4
	v_add_co_u32 v2, vcc_lo, s20, v2
	v_add_co_ci_u32_e32 v3, vcc_lo, s21, v3, vcc_lo
	global_load_b32 v5, v[2:3], off
	s_waitcnt lgkmcnt(0)
	v_add_f32_e32 v10, v12, v4
.LBB62_135:                             ;   Parent Loop BB62_130 Depth=1
                                        ; =>  This Inner Loop Header: Depth=2
	s_waitcnt vmcnt(0)
	s_delay_alu instid0(VALU_DEP_1)
	v_add_f32_e32 v4, v5, v10
	global_atomic_cmpswap_b32 v4, v[2:3], v[4:5], off glc
	s_waitcnt vmcnt(0)
	v_cmp_eq_u32_e32 vcc_lo, v4, v5
	v_mov_b32_e32 v5, v4
	s_or_b32 s12, vcc_lo, s12
	s_delay_alu instid0(SALU_CYCLE_1)
	s_and_not1_b32 exec_lo, exec_lo, s12
	s_cbranch_execnz .LBB62_135
; %bb.136:                              ;   in Loop: Header=BB62_130 Depth=1
	s_or_b32 exec_lo, exec_lo, s12
	v_add_co_u32 v8, vcc_lo, v8, s6
	v_add_co_ci_u32_e32 v9, vcc_lo, 0, v9, vcc_lo
	s_delay_alu instid0(VALU_DEP_1) | instskip(SKIP_1) | instid1(SALU_CYCLE_1)
	v_cmp_le_i64_e32 vcc_lo, s[18:19], v[8:9]
	s_or_b32 s10, vcc_lo, s10
	s_and_not1_b32 exec_lo, exec_lo, s10
	s_cbranch_execnz .LBB62_130
.LBB62_137:
	s_or_b32 exec_lo, exec_lo, s0
	s_mov_b32 s0, 0
.LBB62_138:
	s_delay_alu instid0(SALU_CYCLE_1)
	s_and_not1_b32 vcc_lo, exec_lo, s0
	s_cbranch_vccnz .LBB62_167
; %bb.139:
	v_cvt_f32_u32_e32 v13, s7
	s_sub_i32 s1, 0, s7
	v_mov_b32_e32 v11, 0
	s_delay_alu instid0(VALU_DEP_2) | instskip(SKIP_2) | instid1(VALU_DEP_1)
	v_rcp_iflag_f32_e32 v2, v13
	s_waitcnt_depctr 0xfff
	v_mul_f32_e32 v2, 0x4f7ffffe, v2
	v_cvt_u32_f32_e32 v2, v2
	s_delay_alu instid0(VALU_DEP_1) | instskip(NEXT) | instid1(VALU_DEP_1)
	v_mul_lo_u32 v3, s1, v2
	v_mul_hi_u32 v3, v2, v3
	s_delay_alu instid0(VALU_DEP_1) | instskip(NEXT) | instid1(VALU_DEP_1)
	v_add_nc_u32_e32 v2, v2, v3
	v_mul_hi_u32 v2, v0, v2
	s_delay_alu instid0(VALU_DEP_1) | instskip(SKIP_1) | instid1(VALU_DEP_2)
	v_mul_lo_u32 v3, v2, s7
	v_add_nc_u32_e32 v4, 1, v2
	v_sub_nc_u32_e32 v3, v0, v3
	s_delay_alu instid0(VALU_DEP_1) | instskip(SKIP_1) | instid1(VALU_DEP_2)
	v_subrev_nc_u32_e32 v5, s7, v3
	v_cmp_le_u32_e32 vcc_lo, s7, v3
	v_dual_cndmask_b32 v2, v2, v4 :: v_dual_cndmask_b32 v3, v3, v5
	s_delay_alu instid0(VALU_DEP_1) | instskip(NEXT) | instid1(VALU_DEP_2)
	v_add_nc_u32_e32 v4, 1, v2
	v_cmp_le_u32_e32 vcc_lo, s7, v3
	s_delay_alu instid0(VALU_DEP_2) | instskip(NEXT) | instid1(VALU_DEP_1)
	v_cndmask_b32_e32 v10, v2, v4, vcc_lo
	v_lshlrev_b64 v[2:3], 3, v[10:11]
	s_delay_alu instid0(VALU_DEP_1) | instskip(NEXT) | instid1(VALU_DEP_2)
	v_add_co_u32 v2, vcc_lo, s26, v2
	v_add_co_ci_u32_e32 v3, vcc_lo, s27, v3, vcc_lo
	global_load_b128 v[2:5], v[2:3], off
	s_waitcnt vmcnt(0)
	v_sub_co_u32 v8, vcc_lo, v2, s4
	v_subrev_co_ci_u32_e32 v9, vcc_lo, s5, v3, vcc_lo
	v_sub_co_u32 v15, vcc_lo, v4, s4
	v_subrev_co_ci_u32_e32 v16, vcc_lo, s5, v5, vcc_lo
	v_mov_b32_e32 v4, v11
	s_delay_alu instid0(VALU_DEP_3) | instskip(NEXT) | instid1(VALU_DEP_3)
	v_sub_co_u32 v12, vcc_lo, v15, v8
	v_sub_co_ci_u32_e32 v5, vcc_lo, v16, v9, vcc_lo
	s_delay_alu instid0(VALU_DEP_1) | instskip(SKIP_1) | instid1(SALU_CYCLE_1)
	v_cmp_ne_u64_e32 vcc_lo, 0, v[4:5]
                                        ; implicit-def: $vgpr3_vgpr4
	s_and_saveexec_b32 s0, vcc_lo
	s_xor_b32 s5, exec_lo, s0
	s_cbranch_execz .LBB62_141
; %bb.140:
	v_cvt_f32_ubyte0_e32 v3, 0
	s_sub_u32 s0, 0, s7
	s_subb_u32 s6, 0, 0
	s_delay_alu instid0(VALU_DEP_1) | instskip(NEXT) | instid1(VALU_DEP_1)
	v_fmamk_f32 v3, v3, 0x4f800000, v13
	v_rcp_f32_e32 v3, v3
	s_waitcnt_depctr 0xfff
	v_mul_f32_e32 v3, 0x5f7ffffc, v3
	s_delay_alu instid0(VALU_DEP_1) | instskip(NEXT) | instid1(VALU_DEP_1)
	v_mul_f32_e32 v4, 0x2f800000, v3
	v_trunc_f32_e32 v4, v4
	s_delay_alu instid0(VALU_DEP_1) | instskip(SKIP_1) | instid1(VALU_DEP_2)
	v_fmamk_f32 v3, v4, 0xcf800000, v3
	v_cvt_u32_f32_e32 v4, v4
	v_cvt_u32_f32_e32 v3, v3
	s_delay_alu instid0(VALU_DEP_2) | instskip(NEXT) | instid1(VALU_DEP_2)
	v_mul_lo_u32 v13, s0, v4
	v_mul_hi_u32 v17, s0, v3
	v_mul_lo_u32 v18, s6, v3
	s_delay_alu instid0(VALU_DEP_2) | instskip(SKIP_1) | instid1(VALU_DEP_2)
	v_add_nc_u32_e32 v13, v17, v13
	v_mul_lo_u32 v17, s0, v3
	v_add_nc_u32_e32 v13, v13, v18
	s_delay_alu instid0(VALU_DEP_2) | instskip(NEXT) | instid1(VALU_DEP_2)
	v_mul_hi_u32 v18, v3, v17
	v_mul_lo_u32 v19, v3, v13
	v_mul_hi_u32 v20, v3, v13
	v_mul_hi_u32 v21, v4, v17
	v_mul_lo_u32 v17, v4, v17
	v_mul_hi_u32 v22, v4, v13
	v_mul_lo_u32 v13, v4, v13
	v_add_co_u32 v18, vcc_lo, v18, v19
	v_add_co_ci_u32_e32 v19, vcc_lo, 0, v20, vcc_lo
	s_delay_alu instid0(VALU_DEP_2) | instskip(NEXT) | instid1(VALU_DEP_2)
	v_add_co_u32 v17, vcc_lo, v18, v17
	v_add_co_ci_u32_e32 v17, vcc_lo, v19, v21, vcc_lo
	v_add_co_ci_u32_e32 v18, vcc_lo, 0, v22, vcc_lo
	v_ashrrev_i32_e32 v21, 31, v5
	s_delay_alu instid0(VALU_DEP_3) | instskip(NEXT) | instid1(VALU_DEP_3)
	v_add_co_u32 v13, vcc_lo, v17, v13
	v_add_co_ci_u32_e32 v17, vcc_lo, 0, v18, vcc_lo
	s_delay_alu instid0(VALU_DEP_2) | instskip(NEXT) | instid1(VALU_DEP_2)
	v_add_co_u32 v3, vcc_lo, v3, v13
	v_add_co_ci_u32_e32 v4, vcc_lo, v4, v17, vcc_lo
	s_delay_alu instid0(VALU_DEP_2) | instskip(SKIP_1) | instid1(VALU_DEP_3)
	v_mul_hi_u32 v13, s0, v3
	v_mul_lo_u32 v18, s6, v3
	v_mul_lo_u32 v17, s0, v4
	s_delay_alu instid0(VALU_DEP_1) | instskip(SKIP_1) | instid1(VALU_DEP_2)
	v_add_nc_u32_e32 v13, v13, v17
	v_mul_lo_u32 v17, s0, v3
	v_add_nc_u32_e32 v13, v13, v18
	s_delay_alu instid0(VALU_DEP_2) | instskip(NEXT) | instid1(VALU_DEP_2)
	v_mul_hi_u32 v18, v3, v17
	v_mul_lo_u32 v19, v3, v13
	v_mul_hi_u32 v20, v3, v13
	v_mul_hi_u32 v22, v4, v17
	v_mul_lo_u32 v17, v4, v17
	v_mul_hi_u32 v23, v4, v13
	v_mul_lo_u32 v13, v4, v13
	v_add_co_u32 v18, vcc_lo, v18, v19
	v_add_co_ci_u32_e32 v19, vcc_lo, 0, v20, vcc_lo
	s_delay_alu instid0(VALU_DEP_2) | instskip(NEXT) | instid1(VALU_DEP_2)
	v_add_co_u32 v17, vcc_lo, v18, v17
	v_add_co_ci_u32_e32 v17, vcc_lo, v19, v22, vcc_lo
	v_add_co_ci_u32_e32 v18, vcc_lo, 0, v23, vcc_lo
	v_add_co_u32 v12, vcc_lo, v12, v21
	v_add_co_ci_u32_e32 v5, vcc_lo, v5, v21, vcc_lo
	s_delay_alu instid0(VALU_DEP_4) | instskip(NEXT) | instid1(VALU_DEP_4)
	v_add_co_u32 v13, vcc_lo, v17, v13
	v_add_co_ci_u32_e32 v17, vcc_lo, 0, v18, vcc_lo
	s_delay_alu instid0(VALU_DEP_4) | instskip(NEXT) | instid1(VALU_DEP_3)
	v_xor_b32_e32 v19, v12, v21
	v_add_co_u32 v18, vcc_lo, v3, v13
	s_delay_alu instid0(VALU_DEP_3) | instskip(SKIP_1) | instid1(VALU_DEP_3)
	v_add_co_ci_u32_e32 v20, vcc_lo, v4, v17, vcc_lo
	v_xor_b32_e32 v5, v5, v21
	v_mul_hi_u32 v22, v19, v18
	s_delay_alu instid0(VALU_DEP_3) | instskip(NEXT) | instid1(VALU_DEP_3)
	v_mad_u64_u32 v[3:4], null, v19, v20, 0
	v_mad_u64_u32 v[12:13], null, v5, v18, 0
	;; [unrolled: 1-line block ×3, first 2 shown]
	s_delay_alu instid0(VALU_DEP_3) | instskip(NEXT) | instid1(VALU_DEP_4)
	v_add_co_u32 v3, vcc_lo, v22, v3
	v_add_co_ci_u32_e32 v4, vcc_lo, 0, v4, vcc_lo
	s_delay_alu instid0(VALU_DEP_2) | instskip(NEXT) | instid1(VALU_DEP_2)
	v_add_co_u32 v3, vcc_lo, v3, v12
	v_add_co_ci_u32_e32 v3, vcc_lo, v4, v13, vcc_lo
	v_add_co_ci_u32_e32 v4, vcc_lo, 0, v18, vcc_lo
	s_delay_alu instid0(VALU_DEP_2) | instskip(NEXT) | instid1(VALU_DEP_2)
	v_add_co_u32 v17, vcc_lo, v3, v17
	v_add_co_ci_u32_e32 v18, vcc_lo, 0, v4, vcc_lo
	s_delay_alu instid0(VALU_DEP_2) | instskip(NEXT) | instid1(VALU_DEP_1)
	v_mad_u64_u32 v[3:4], null, s7, v17, 0
	v_mad_u64_u32 v[12:13], null, s7, v18, v[4:5]
	s_delay_alu instid0(VALU_DEP_2) | instskip(NEXT) | instid1(VALU_DEP_2)
	v_sub_co_u32 v3, vcc_lo, v19, v3
	v_sub_co_ci_u32_e32 v4, vcc_lo, v5, v12, vcc_lo
	s_delay_alu instid0(VALU_DEP_2) | instskip(NEXT) | instid1(VALU_DEP_2)
	v_sub_co_u32 v5, vcc_lo, v3, s7
	v_subrev_co_ci_u32_e32 v12, vcc_lo, 0, v4, vcc_lo
	s_delay_alu instid0(VALU_DEP_2)
	v_cmp_le_u32_e32 vcc_lo, s7, v5
	v_cmp_eq_u32_e64 s0, 0, v4
	v_cndmask_b32_e64 v5, 0, -1, vcc_lo
	v_add_co_u32 v13, vcc_lo, v17, 2
	v_add_co_ci_u32_e32 v19, vcc_lo, 0, v18, vcc_lo
	v_cmp_le_u32_e32 vcc_lo, s7, v3
	v_cndmask_b32_e64 v3, 0, -1, vcc_lo
	v_cmp_eq_u32_e32 vcc_lo, 0, v12
	s_delay_alu instid0(VALU_DEP_2) | instskip(SKIP_3) | instid1(VALU_DEP_3)
	v_cndmask_b32_e64 v3, -1, v3, s0
	v_cndmask_b32_e32 v5, -1, v5, vcc_lo
	v_add_co_u32 v12, vcc_lo, v17, 1
	v_add_co_ci_u32_e32 v20, vcc_lo, 0, v18, vcc_lo
	v_cmp_ne_u32_e32 vcc_lo, 0, v5
	s_delay_alu instid0(VALU_DEP_2) | instskip(NEXT) | instid1(VALU_DEP_4)
	v_cndmask_b32_e32 v4, v20, v19, vcc_lo
	v_cndmask_b32_e32 v5, v12, v13, vcc_lo
	v_cmp_ne_u32_e32 vcc_lo, 0, v3
                                        ; implicit-def: $vgpr12
	s_delay_alu instid0(VALU_DEP_2) | instskip(NEXT) | instid1(VALU_DEP_1)
	v_dual_cndmask_b32 v3, v18, v4 :: v_dual_cndmask_b32 v4, v17, v5
	v_xor_b32_e32 v5, v3, v21
	s_delay_alu instid0(VALU_DEP_2) | instskip(NEXT) | instid1(VALU_DEP_1)
	v_xor_b32_e32 v4, v4, v21
	v_sub_co_u32 v3, vcc_lo, v4, v21
	s_delay_alu instid0(VALU_DEP_3)
	v_sub_co_ci_u32_e32 v4, vcc_lo, v5, v21, vcc_lo
.LBB62_141:
	s_and_not1_saveexec_b32 s0, s5
	s_cbranch_execz .LBB62_143
; %bb.142:
	v_cvt_f32_u32_e32 v3, s7
	s_delay_alu instid0(VALU_DEP_1) | instskip(SKIP_2) | instid1(VALU_DEP_1)
	v_rcp_iflag_f32_e32 v3, v3
	s_waitcnt_depctr 0xfff
	v_mul_f32_e32 v3, 0x4f7ffffe, v3
	v_cvt_u32_f32_e32 v3, v3
	s_delay_alu instid0(VALU_DEP_1) | instskip(NEXT) | instid1(VALU_DEP_1)
	v_mul_lo_u32 v4, s1, v3
	v_mul_hi_u32 v4, v3, v4
	s_delay_alu instid0(VALU_DEP_1) | instskip(NEXT) | instid1(VALU_DEP_1)
	v_add_nc_u32_e32 v3, v3, v4
	v_mul_hi_u32 v3, v12, v3
	s_delay_alu instid0(VALU_DEP_1) | instskip(SKIP_1) | instid1(VALU_DEP_2)
	v_mul_lo_u32 v4, v3, s7
	v_add_nc_u32_e32 v5, 1, v3
	v_sub_nc_u32_e32 v4, v12, v4
	s_delay_alu instid0(VALU_DEP_1) | instskip(SKIP_1) | instid1(VALU_DEP_2)
	v_subrev_nc_u32_e32 v12, s7, v4
	v_cmp_le_u32_e32 vcc_lo, s7, v4
	v_dual_cndmask_b32 v4, v4, v12 :: v_dual_cndmask_b32 v3, v3, v5
	s_delay_alu instid0(VALU_DEP_1) | instskip(NEXT) | instid1(VALU_DEP_2)
	v_cmp_le_u32_e32 vcc_lo, s7, v4
	v_dual_mov_b32 v4, 0 :: v_dual_add_nc_u32 v5, 1, v3
	s_delay_alu instid0(VALU_DEP_1)
	v_cndmask_b32_e32 v3, v3, v5, vcc_lo
.LBB62_143:
	s_or_b32 exec_lo, exec_lo, s0
	v_mov_b32_e32 v5, 0
	s_mov_b32 s5, exec_lo
	v_cmpx_gt_i64_e64 s[22:23], v[10:11]
	s_cbranch_execz .LBB62_157
; %bb.144:
	s_add_i32 s0, s7, -1
	s_mov_b32 s6, exec_lo
	v_dual_mov_b32 v5, 0 :: v_dual_and_b32 v10, s0, v0
	v_cmpx_lt_i64_e32 0, v[3:4]
	s_cbranch_execz .LBB62_154
; %bb.145:
	v_mov_b32_e32 v11, 0
	v_dual_mov_b32 v12, 0 :: v_dual_mov_b32 v5, 0
	s_mov_b32 s8, exec_lo
	v_cmpx_lt_u64_e32 3, v[3:4]
	s_cbranch_execz .LBB62_149
; %bb.146:
	v_lshlrev_b32_e32 v5, 2, v2
	s_lshl_b32 s0, s7, 2
	s_lshl_b32 s1, s4, 2
	v_and_b32_e32 v12, 0x7fffffff, v4
	v_and_b32_e32 v11, -4, v3
	v_lshl_add_u32 v13, v10, 2, v5
	v_mov_b32_e32 v5, 0
	s_sub_i32 s9, s0, s1
	s_lshl_b32 s0, s7, 3
	s_mul_i32 s12, s7, 12
	s_lshl_b32 s10, s7, 4
	s_sub_i32 s11, s0, s1
	s_sub_i32 s12, s12, s1
	s_mov_b32 s13, 0
	s_sub_i32 s14, 0, s1
	s_mov_b64 s[0:1], 0
	.p2align	6
.LBB62_147:                             ; =>This Inner Loop Header: Depth=1
	v_add_nc_u32_e32 v17, s14, v13
	v_add_nc_u32_e32 v18, s9, v13
	;; [unrolled: 1-line block ×3, first 2 shown]
	s_add_u32 s0, s0, 4
	s_addc_u32 s1, s1, 0
	ds_load_b32 v17, v17
	ds_load_b32 v18, v18
	v_cmp_eq_u64_e32 vcc_lo, s[0:1], v[11:12]
	s_or_b32 s13, vcc_lo, s13
	s_waitcnt lgkmcnt(1)
	v_add_f32_e32 v5, v5, v17
	v_add_nc_u32_e32 v20, s12, v13
	v_add_nc_u32_e32 v13, s10, v13
	s_waitcnt lgkmcnt(0)
	s_delay_alu instid0(VALU_DEP_3)
	v_add_f32_e32 v5, v5, v18
	ds_load_b32 v19, v19
	ds_load_b32 v20, v20
	s_waitcnt lgkmcnt(1)
	v_add_f32_e32 v5, v5, v19
	s_waitcnt lgkmcnt(0)
	s_delay_alu instid0(VALU_DEP_1)
	v_add_f32_e32 v5, v5, v20
	s_and_not1_b32 exec_lo, exec_lo, s13
	s_cbranch_execnz .LBB62_147
; %bb.148:
	s_or_b32 exec_lo, exec_lo, s13
.LBB62_149:
	s_delay_alu instid0(SALU_CYCLE_1) | instskip(SKIP_2) | instid1(VALU_DEP_1)
	s_or_b32 exec_lo, exec_lo, s8
	v_dual_mov_b32 v13, 0 :: v_dual_and_b32 v12, 3, v3
	s_mov_b32 s0, exec_lo
	v_cmpx_ne_u64_e32 0, v[12:13]
	s_cbranch_execz .LBB62_153
; %bb.150:
	v_mul_lo_u32 v11, s7, v11
	s_mov_b32 s1, 0
	s_delay_alu instid0(VALU_DEP_1) | instskip(NEXT) | instid1(VALU_DEP_1)
	v_add3_u32 v2, v10, v11, v2
	v_subrev_nc_u32_e32 v2, s4, v2
	s_lshl_b32 s4, s7, 2
	s_delay_alu instid0(VALU_DEP_1)
	v_lshlrev_b32_e32 v2, 2, v2
.LBB62_151:                             ; =>This Inner Loop Header: Depth=1
	ds_load_b32 v11, v2
	v_add_co_u32 v12, vcc_lo, v12, -1
	v_add_co_ci_u32_e32 v13, vcc_lo, -1, v13, vcc_lo
	v_add_nc_u32_e32 v2, s4, v2
	s_delay_alu instid0(VALU_DEP_2)
	v_cmp_eq_u64_e32 vcc_lo, 0, v[12:13]
	s_or_b32 s1, vcc_lo, s1
	s_waitcnt lgkmcnt(0)
	v_add_f32_e32 v5, v5, v11
	s_and_not1_b32 exec_lo, exec_lo, s1
	s_cbranch_execnz .LBB62_151
; %bb.152:
	s_or_b32 exec_lo, exec_lo, s1
.LBB62_153:
	s_delay_alu instid0(SALU_CYCLE_1)
	s_or_b32 exec_lo, exec_lo, s0
.LBB62_154:
	s_delay_alu instid0(SALU_CYCLE_1) | instskip(SKIP_3) | instid1(VALU_DEP_2)
	s_or_b32 exec_lo, exec_lo, s6
	v_mad_u64_u32 v[12:13], null, v3, s7, v[8:9]
	v_mov_b32_e32 v11, 0
	s_mov_b32 s0, exec_lo
	v_mov_b32_e32 v2, v13
	s_delay_alu instid0(VALU_DEP_1) | instskip(NEXT) | instid1(VALU_DEP_4)
	v_mad_u64_u32 v[8:9], null, v4, s7, v[2:3]
	v_sub_co_u32 v2, vcc_lo, v15, v12
	s_delay_alu instid0(VALU_DEP_2) | instskip(NEXT) | instid1(VALU_DEP_1)
	v_mov_b32_e32 v3, v8
	v_sub_co_ci_u32_e32 v3, vcc_lo, v16, v3, vcc_lo
	s_delay_alu instid0(VALU_DEP_1)
	v_cmpx_gt_i64_e64 v[2:3], v[10:11]
	s_cbranch_execz .LBB62_156
; %bb.155:
	v_add_lshl_u32 v2, v10, v12, 2
	ds_load_b32 v2, v2
	s_waitcnt lgkmcnt(0)
	v_add_f32_e32 v5, v5, v2
.LBB62_156:
	s_or_b32 exec_lo, exec_lo, s0
.LBB62_157:
	s_delay_alu instid0(SALU_CYCLE_1)
	s_or_b32 exec_lo, exec_lo, s5
	s_barrier
	buffer_gl0_inv
	ds_store_b32 v14, v5
	s_waitcnt lgkmcnt(0)
	s_barrier
	buffer_gl0_inv
	s_mov_b32 s0, exec_lo
	v_cmpx_gt_i64_e64 s[22:23], v[0:1]
	s_cbranch_execz .LBB62_167
; %bb.158:
	v_mul_lo_u32 v1, s7, v0
	s_cmp_lt_u32 s7, 8
	s_cbranch_scc1 .LBB62_161
; %bb.159:
	s_delay_alu instid0(VALU_DEP_1)
	v_dual_mov_b32 v3, 0 :: v_dual_lshlrev_b32 v2, 2, v1
	s_and_b32 s0, s7, 0x7ffffff8
	s_mov_b32 s1, 0
	.p2align	6
.LBB62_160:                             ; =>This Inner Loop Header: Depth=1
	ds_load_2addr_b32 v[4:5], v2 offset1:1
	ds_load_2addr_b32 v[8:9], v2 offset0:2 offset1:3
	ds_load_2addr_b32 v[10:11], v2 offset0:4 offset1:5
	;; [unrolled: 1-line block ×3, first 2 shown]
	s_add_i32 s1, s1, 8
	v_add_nc_u32_e32 v2, 32, v2
	s_cmp_eq_u32 s0, s1
	s_waitcnt lgkmcnt(3)
	v_add_f32_e32 v3, v3, v4
	s_delay_alu instid0(VALU_DEP_1) | instskip(SKIP_1) | instid1(VALU_DEP_1)
	v_add_f32_e32 v3, v3, v5
	s_waitcnt lgkmcnt(2)
	v_add_f32_e32 v3, v3, v8
	s_delay_alu instid0(VALU_DEP_1) | instskip(SKIP_1) | instid1(VALU_DEP_1)
	v_add_f32_e32 v3, v3, v9
	;; [unrolled: 4-line block ×3, first 2 shown]
	s_waitcnt lgkmcnt(0)
	v_add_f32_e32 v3, v3, v12
	s_delay_alu instid0(VALU_DEP_1)
	v_add_f32_e32 v3, v3, v13
	s_cbranch_scc0 .LBB62_160
	s_branch .LBB62_162
.LBB62_161:
	v_mov_b32_e32 v3, 0
	s_mov_b32 s0, 0
.LBB62_162:
	s_bfe_u32 s1, s3, 0x30001
	s_delay_alu instid0(SALU_CYCLE_1)
	s_cmp_eq_u32 s1, 0
	s_cbranch_scc1 .LBB62_165
; %bb.163:
	v_add_lshl_u32 v1, s0, v1, 2
.LBB62_164:                             ; =>This Inner Loop Header: Depth=1
	ds_load_b32 v2, v1
	v_add_nc_u32_e32 v1, 4, v1
	s_add_i32 s1, s1, -1
	s_delay_alu instid0(SALU_CYCLE_1)
	s_cmp_lg_u32 s1, 0
	s_waitcnt lgkmcnt(0)
	v_add_f32_e32 v3, v3, v2
	s_cbranch_scc1 .LBB62_164
.LBB62_165:
	v_lshlrev_b64 v[1:2], 2, v[6:7]
	v_lshlrev_b32_e32 v0, 2, v0
	s_lshl_b32 s0, s2, 2
	s_delay_alu instid0(VALU_DEP_1) | instid1(SALU_CYCLE_1)
	v_add3_u32 v0, 0x1000, s0, v0
	s_delay_alu instid0(VALU_DEP_3) | instskip(NEXT) | instid1(VALU_DEP_4)
	v_add_co_u32 v1, vcc_lo, s20, v1
	v_add_co_ci_u32_e32 v2, vcc_lo, s21, v2, vcc_lo
	ds_load_b32 v0, v0
	s_mov_b32 s0, 0
	global_load_b32 v4, v[1:2], off
	s_waitcnt lgkmcnt(0)
	v_add_f32_e32 v0, v3, v0
.LBB62_166:                             ; =>This Inner Loop Header: Depth=1
	s_waitcnt vmcnt(0)
	s_delay_alu instid0(VALU_DEP_1)
	v_add_f32_e32 v3, v4, v0
	global_atomic_cmpswap_b32 v3, v[1:2], v[3:4], off glc
	s_waitcnt vmcnt(0)
	v_cmp_eq_u32_e32 vcc_lo, v3, v4
	v_mov_b32_e32 v4, v3
	s_or_b32 s0, vcc_lo, s0
	s_delay_alu instid0(SALU_CYCLE_1)
	s_and_not1_b32 exec_lo, exec_lo, s0
	s_cbranch_execnz .LBB62_166
.LBB62_167:
	s_endpgm
	.section	.rodata,"a",@progbits
	.p2align	6, 0x0
	.amdhsa_kernel _ZN9rocsparseL27csrmvn_symm_adaptive_kernelIllaaffEEvbT_S1_PKS1_NS_24const_host_device_scalarIT4_EES3_PKT0_PKT1_PKT2_S6_PT3_21rocsparse_index_base_b
		.amdhsa_group_segment_fixed_size 4096
		.amdhsa_private_segment_fixed_size 0
		.amdhsa_kernarg_size 352
		.amdhsa_user_sgpr_count 15
		.amdhsa_user_sgpr_dispatch_ptr 0
		.amdhsa_user_sgpr_queue_ptr 0
		.amdhsa_user_sgpr_kernarg_segment_ptr 1
		.amdhsa_user_sgpr_dispatch_id 0
		.amdhsa_user_sgpr_private_segment_size 0
		.amdhsa_wavefront_size32 1
		.amdhsa_uses_dynamic_stack 0
		.amdhsa_enable_private_segment 0
		.amdhsa_system_sgpr_workgroup_id_x 1
		.amdhsa_system_sgpr_workgroup_id_y 0
		.amdhsa_system_sgpr_workgroup_id_z 0
		.amdhsa_system_sgpr_workgroup_info 0
		.amdhsa_system_vgpr_workitem_id 0
		.amdhsa_next_free_vgpr 24
		.amdhsa_next_free_sgpr 41
		.amdhsa_reserve_vcc 1
		.amdhsa_float_round_mode_32 0
		.amdhsa_float_round_mode_16_64 0
		.amdhsa_float_denorm_mode_32 3
		.amdhsa_float_denorm_mode_16_64 3
		.amdhsa_dx10_clamp 1
		.amdhsa_ieee_mode 1
		.amdhsa_fp16_overflow 0
		.amdhsa_workgroup_processor_mode 1
		.amdhsa_memory_ordered 1
		.amdhsa_forward_progress 0
		.amdhsa_shared_vgpr_count 0
		.amdhsa_exception_fp_ieee_invalid_op 0
		.amdhsa_exception_fp_denorm_src 0
		.amdhsa_exception_fp_ieee_div_zero 0
		.amdhsa_exception_fp_ieee_overflow 0
		.amdhsa_exception_fp_ieee_underflow 0
		.amdhsa_exception_fp_ieee_inexact 0
		.amdhsa_exception_int_div_zero 0
	.end_amdhsa_kernel
	.section	.text._ZN9rocsparseL27csrmvn_symm_adaptive_kernelIllaaffEEvbT_S1_PKS1_NS_24const_host_device_scalarIT4_EES3_PKT0_PKT1_PKT2_S6_PT3_21rocsparse_index_base_b,"axG",@progbits,_ZN9rocsparseL27csrmvn_symm_adaptive_kernelIllaaffEEvbT_S1_PKS1_NS_24const_host_device_scalarIT4_EES3_PKT0_PKT1_PKT2_S6_PT3_21rocsparse_index_base_b,comdat
.Lfunc_end62:
	.size	_ZN9rocsparseL27csrmvn_symm_adaptive_kernelIllaaffEEvbT_S1_PKS1_NS_24const_host_device_scalarIT4_EES3_PKT0_PKT1_PKT2_S6_PT3_21rocsparse_index_base_b, .Lfunc_end62-_ZN9rocsparseL27csrmvn_symm_adaptive_kernelIllaaffEEvbT_S1_PKS1_NS_24const_host_device_scalarIT4_EES3_PKT0_PKT1_PKT2_S6_PT3_21rocsparse_index_base_b
                                        ; -- End function
	.section	.AMDGPU.csdata,"",@progbits
; Kernel info:
; codeLenInByte = 9292
; NumSgprs: 43
; NumVgprs: 24
; ScratchSize: 0
; MemoryBound: 0
; FloatMode: 240
; IeeeMode: 1
; LDSByteSize: 4096 bytes/workgroup (compile time only)
; SGPRBlocks: 5
; VGPRBlocks: 2
; NumSGPRsForWavesPerEU: 43
; NumVGPRsForWavesPerEU: 24
; Occupancy: 16
; WaveLimiterHint : 1
; COMPUTE_PGM_RSRC2:SCRATCH_EN: 0
; COMPUTE_PGM_RSRC2:USER_SGPR: 15
; COMPUTE_PGM_RSRC2:TRAP_HANDLER: 0
; COMPUTE_PGM_RSRC2:TGID_X_EN: 1
; COMPUTE_PGM_RSRC2:TGID_Y_EN: 0
; COMPUTE_PGM_RSRC2:TGID_Z_EN: 0
; COMPUTE_PGM_RSRC2:TIDIG_COMP_CNT: 0
	.section	.text._ZL33csrmvn_symm_large_adaptive_kernelIllaaffEvbT_PKS0_N9rocsparse24const_host_device_scalarIT4_EES2_PKT0_PKT1_PKT2_S6_PT3_21rocsparse_index_base_b,"axG",@progbits,_ZL33csrmvn_symm_large_adaptive_kernelIllaaffEvbT_PKS0_N9rocsparse24const_host_device_scalarIT4_EES2_PKT0_PKT1_PKT2_S6_PT3_21rocsparse_index_base_b,comdat
	.globl	_ZL33csrmvn_symm_large_adaptive_kernelIllaaffEvbT_PKS0_N9rocsparse24const_host_device_scalarIT4_EES2_PKT0_PKT1_PKT2_S6_PT3_21rocsparse_index_base_b ; -- Begin function _ZL33csrmvn_symm_large_adaptive_kernelIllaaffEvbT_PKS0_N9rocsparse24const_host_device_scalarIT4_EES2_PKT0_PKT1_PKT2_S6_PT3_21rocsparse_index_base_b
	.p2align	8
	.type	_ZL33csrmvn_symm_large_adaptive_kernelIllaaffEvbT_PKS0_N9rocsparse24const_host_device_scalarIT4_EES2_PKT0_PKT1_PKT2_S6_PT3_21rocsparse_index_base_b,@function
_ZL33csrmvn_symm_large_adaptive_kernelIllaaffEvbT_PKS0_N9rocsparse24const_host_device_scalarIT4_EES2_PKT0_PKT1_PKT2_S6_PT3_21rocsparse_index_base_b: ; @_ZL33csrmvn_symm_large_adaptive_kernelIllaaffEvbT_PKS0_N9rocsparse24const_host_device_scalarIT4_EES2_PKT0_PKT1_PKT2_S6_PT3_21rocsparse_index_base_b
; %bb.0:
	s_clause 0x2
	s_load_b64 s[6:7], s[0:1], 0x50
	s_load_b64 s[20:21], s[0:1], 0x18
	;; [unrolled: 1-line block ×3, first 2 shown]
	s_mov_b32 s2, s15
	s_waitcnt lgkmcnt(0)
	s_bitcmp1_b32 s7, 0
	s_cselect_b32 s3, -1, 0
	s_delay_alu instid0(SALU_CYCLE_1)
	s_and_b32 vcc_lo, exec_lo, s3
	s_xor_b32 s3, s3, -1
	s_cbranch_vccnz .LBB63_2
; %bb.1:
	s_load_b32 s20, s[20:21], 0x0
.LBB63_2:
	s_and_not1_b32 vcc_lo, exec_lo, s3
	s_cbranch_vccnz .LBB63_4
; %bb.3:
	s_load_b32 s4, s[4:5], 0x0
.LBB63_4:
	s_waitcnt lgkmcnt(0)
	v_cmp_neq_f32_e64 s3, s20, 0
	v_cmp_neq_f32_e64 s4, s4, 1.0
	s_delay_alu instid0(VALU_DEP_1) | instskip(NEXT) | instid1(SALU_CYCLE_1)
	s_or_b32 s3, s3, s4
	s_and_not1_b32 vcc_lo, exec_lo, s3
	s_cbranch_vccnz .LBB63_38
; %bb.5:
	s_load_b64 s[4:5], s[0:1], 0x10
	s_ashr_i32 s3, s2, 31
	v_dual_mov_b32 v1, 0 :: v_dual_lshlrev_b32 v4, 2, v0
	s_lshl_b64 s[2:3], s[2:3], 3
	ds_store_2addr_stride64_b32 v4, v1, v1 offset1:4
	ds_store_2addr_stride64_b32 v4, v1, v1 offset0:8 offset1:12
	s_waitcnt lgkmcnt(0)
	s_barrier
	buffer_gl0_inv
	s_add_u32 s2, s4, s2
	s_addc_u32 s3, s5, s3
	s_load_b128 s[16:19], s[2:3], 0x0
	s_clause 0x1
	s_load_b256 s[8:15], s[0:1], 0x20
	s_load_b64 s[22:23], s[0:1], 0x48
	v_sub_co_u32 v5, s1, v0, s6
	s_delay_alu instid0(VALU_DEP_1) | instskip(SKIP_2) | instid1(VALU_DEP_1)
	v_sub_co_ci_u32_e64 v6, null, 0, 0, s1
	s_waitcnt lgkmcnt(0)
	v_cmp_lt_i64_e64 s0, s[16:17], s[18:19]
	s_and_b32 vcc_lo, exec_lo, s0
	s_cbranch_vccnz .LBB63_7
; %bb.6:
	s_lshl_b64 s[0:1], s[16:17], 3
	s_delay_alu instid0(SALU_CYCLE_1)
	s_add_u32 s0, s8, s0
	s_addc_u32 s1, s9, s1
	s_load_b64 s[24:25], s[0:1], 0x0
	s_cbranch_execz .LBB63_8
	s_branch .LBB63_28
.LBB63_7:
                                        ; implicit-def: $sgpr24_sgpr25
.LBB63_8:
	s_lshl_b64 s[0:1], s[16:17], 3
	v_cmp_gt_u32_e64 s2, 16, v0
	s_add_u32 s0, s8, s0
	s_addc_u32 s1, s9, s1
	v_cmp_gt_u32_e64 s3, 4, v0
	s_waitcnt lgkmcnt(0)
	s_load_b64 s[24:25], s[0:1], 0x0
	v_cmp_gt_u32_e64 s0, 0x100, v0
	v_cmp_gt_u32_e64 s1, 64, v0
	v_cmp_eq_u32_e64 s4, 0, v0
	v_mov_b32_e32 v7, 0
	s_add_u32 s7, s8, 8
	s_addc_u32 s21, s9, 0
	s_mov_b64 s[26:27], s[16:17]
	s_waitcnt lgkmcnt(0)
	s_mov_b64 s[28:29], s[24:25]
	s_branch .LBB63_10
.LBB63_9:                               ;   in Loop: Header=BB63_10 Depth=1
	s_or_b32 exec_lo, exec_lo, s5
	s_add_u32 s26, s26, 1
	s_addc_u32 s27, s27, 0
	s_delay_alu instid0(SALU_CYCLE_1) | instskip(NEXT) | instid1(VALU_DEP_1)
	v_cmp_ge_i64_e64 s5, s[26:27], s[18:19]
	s_and_b32 vcc_lo, exec_lo, s5
	s_cbranch_vccnz .LBB63_28
.LBB63_10:                              ; =>This Loop Header: Depth=1
                                        ;     Child Loop BB63_12 Depth 2
                                        ;     Child Loop BB63_27 Depth 2
	s_lshl_b64 s[30:31], s[26:27], 3
	s_mov_b64 s[34:35], s[28:29]
	s_add_u32 s30, s7, s30
	s_addc_u32 s31, s21, s31
	v_add_co_u32 v0, vcc_lo, s34, v5
	s_load_b64 s[28:29], s[30:31], 0x0
	v_add_co_ci_u32_e32 v1, vcc_lo, s35, v6, vcc_lo
	v_mov_b32_e32 v8, 0
	s_mov_b32 s33, exec_lo
	s_waitcnt lgkmcnt(0)
	s_sub_u32 s30, s28, s6
	s_subb_u32 s31, s29, 0
	s_delay_alu instid0(SALU_CYCLE_1)
	v_cmpx_gt_i64_e64 s[30:31], v[0:1]
	s_cbranch_execz .LBB63_14
; %bb.11:                               ;   in Loop: Header=BB63_10 Depth=1
	v_lshlrev_b64 v[2:3], 3, v[0:1]
	v_mov_b32_e32 v8, 0
	s_mov_b32 s34, 0
	s_delay_alu instid0(VALU_DEP_2) | instskip(NEXT) | instid1(VALU_DEP_3)
	v_add_co_u32 v2, vcc_lo, s10, v2
	v_add_co_ci_u32_e32 v3, vcc_lo, s11, v3, vcc_lo
	.p2align	6
.LBB63_12:                              ;   Parent Loop BB63_10 Depth=1
                                        ; =>  This Inner Loop Header: Depth=2
	global_load_b64 v[9:10], v[2:3], off
	v_add_co_u32 v11, vcc_lo, s12, v0
	v_add_co_ci_u32_e32 v12, vcc_lo, s13, v1, vcc_lo
	s_waitcnt vmcnt(0)
	v_sub_co_u32 v9, s5, v9, s6
	s_delay_alu instid0(VALU_DEP_1) | instskip(SKIP_1) | instid1(VALU_DEP_3)
	v_subrev_co_ci_u32_e64 v10, s5, 0, v10, s5
	v_add_co_u32 v2, s5, 0x800, v2
	v_add_co_u32 v9, vcc_lo, s14, v9
	s_delay_alu instid0(VALU_DEP_3)
	v_add_co_ci_u32_e32 v10, vcc_lo, s15, v10, vcc_lo
	v_add_co_u32 v0, vcc_lo, 0x100, v0
	global_load_i8 v11, v[11:12], off
	global_load_i8 v9, v[9:10], off
	v_add_co_ci_u32_e32 v1, vcc_lo, 0, v1, vcc_lo
	v_add_co_ci_u32_e64 v3, s5, 0, v3, s5
	s_delay_alu instid0(VALU_DEP_2)
	v_cmp_le_i64_e32 vcc_lo, s[30:31], v[0:1]
	s_or_b32 s34, vcc_lo, s34
	s_waitcnt vmcnt(1)
	v_cvt_f32_i32_e32 v10, v11
	s_waitcnt vmcnt(0)
	v_cvt_f32_i32_e32 v9, v9
	s_delay_alu instid0(VALU_DEP_1)
	v_fmac_f32_e32 v8, v10, v9
	s_and_not1_b32 exec_lo, exec_lo, s34
	s_cbranch_execnz .LBB63_12
; %bb.13:                               ;   in Loop: Header=BB63_10 Depth=1
	s_or_b32 exec_lo, exec_lo, s34
.LBB63_14:                              ;   in Loop: Header=BB63_10 Depth=1
	s_delay_alu instid0(SALU_CYCLE_1)
	s_or_b32 exec_lo, exec_lo, s33
	ds_store_b32 v4, v8
	s_waitcnt lgkmcnt(0)
	s_barrier
	buffer_gl0_inv
	s_and_saveexec_b32 s5, s0
	s_cbranch_execz .LBB63_16
; %bb.15:                               ;   in Loop: Header=BB63_10 Depth=1
	ds_load_2addr_stride64_b32 v[0:1], v4 offset1:4
	ds_load_2addr_stride64_b32 v[2:3], v4 offset0:8 offset1:12
	s_waitcnt lgkmcnt(0)
	v_add_f32_e32 v1, v1, v2
	s_delay_alu instid0(VALU_DEP_1) | instskip(NEXT) | instid1(VALU_DEP_1)
	v_add_f32_e32 v1, v1, v3
	v_add_f32_e32 v0, v0, v1
	ds_store_b32 v4, v0
.LBB63_16:                              ;   in Loop: Header=BB63_10 Depth=1
	s_or_b32 exec_lo, exec_lo, s5
	s_waitcnt lgkmcnt(0)
	s_barrier
	buffer_gl0_inv
	s_and_saveexec_b32 s5, s1
	s_cbranch_execz .LBB63_18
; %bb.17:                               ;   in Loop: Header=BB63_10 Depth=1
	ds_load_2addr_stride64_b32 v[0:1], v4 offset1:1
	ds_load_2addr_stride64_b32 v[2:3], v4 offset0:2 offset1:3
	s_waitcnt lgkmcnt(0)
	v_add_f32_e32 v1, v1, v2
	s_delay_alu instid0(VALU_DEP_1) | instskip(NEXT) | instid1(VALU_DEP_1)
	v_add_f32_e32 v1, v1, v3
	v_add_f32_e32 v0, v0, v1
	ds_store_b32 v4, v0
.LBB63_18:                              ;   in Loop: Header=BB63_10 Depth=1
	s_or_b32 exec_lo, exec_lo, s5
	s_waitcnt lgkmcnt(0)
	s_barrier
	buffer_gl0_inv
	s_and_saveexec_b32 s5, s2
	s_cbranch_execz .LBB63_20
; %bb.19:                               ;   in Loop: Header=BB63_10 Depth=1
	ds_load_2addr_b32 v[0:1], v4 offset1:16
	ds_load_2addr_b32 v[2:3], v4 offset0:32 offset1:48
	s_waitcnt lgkmcnt(0)
	v_add_f32_e32 v1, v1, v2
	s_delay_alu instid0(VALU_DEP_1) | instskip(NEXT) | instid1(VALU_DEP_1)
	v_add_f32_e32 v1, v1, v3
	v_add_f32_e32 v0, v0, v1
	ds_store_b32 v4, v0
.LBB63_20:                              ;   in Loop: Header=BB63_10 Depth=1
	s_or_b32 exec_lo, exec_lo, s5
	s_waitcnt lgkmcnt(0)
	s_barrier
	buffer_gl0_inv
	s_and_saveexec_b32 s5, s3
	s_cbranch_execz .LBB63_22
; %bb.21:                               ;   in Loop: Header=BB63_10 Depth=1
	ds_load_2addr_b32 v[0:1], v4 offset1:4
	ds_load_2addr_b32 v[2:3], v4 offset0:8 offset1:12
	s_waitcnt lgkmcnt(0)
	v_add_f32_e32 v1, v1, v2
	s_delay_alu instid0(VALU_DEP_1) | instskip(NEXT) | instid1(VALU_DEP_1)
	v_add_f32_e32 v1, v1, v3
	v_add_f32_e32 v0, v0, v1
	ds_store_b32 v4, v0
.LBB63_22:                              ;   in Loop: Header=BB63_10 Depth=1
	s_or_b32 exec_lo, exec_lo, s5
	s_waitcnt lgkmcnt(0)
	s_barrier
	buffer_gl0_inv
	s_and_saveexec_b32 s5, s4
	s_cbranch_execz .LBB63_24
; %bb.23:                               ;   in Loop: Header=BB63_10 Depth=1
	ds_load_2addr_b32 v[0:1], v7 offset0:1 offset1:2
	ds_load_b32 v2, v7 offset:12
	ds_load_b32 v3, v4
	s_waitcnt lgkmcnt(2)
	v_add_f32_e32 v0, v0, v1
	s_waitcnt lgkmcnt(1)
	s_delay_alu instid0(VALU_DEP_1) | instskip(SKIP_1) | instid1(VALU_DEP_1)
	v_add_f32_e32 v0, v0, v2
	s_waitcnt lgkmcnt(0)
	v_add_f32_e32 v0, v3, v0
	ds_store_b32 v4, v0
.LBB63_24:                              ;   in Loop: Header=BB63_10 Depth=1
	s_or_b32 exec_lo, exec_lo, s5
	s_waitcnt lgkmcnt(0)
	s_barrier
	buffer_gl0_inv
	s_and_saveexec_b32 s5, s4
	s_cbranch_execz .LBB63_9
; %bb.25:                               ;   in Loop: Header=BB63_10 Depth=1
	s_mov_b32 s33, exec_lo
	s_delay_alu instid0(SALU_CYCLE_1) | instskip(NEXT) | instid1(VALU_DEP_1)
	v_mbcnt_lo_u32_b32 v0, s33, 0
	v_cmp_eq_u32_e32 vcc_lo, 0, v0
	s_and_b32 s30, exec_lo, vcc_lo
	s_delay_alu instid0(SALU_CYCLE_1)
	s_mov_b32 exec_lo, s30
	s_cbranch_execz .LBB63_9
; %bb.26:                               ;   in Loop: Header=BB63_10 Depth=1
	s_lshl_b64 s[30:31], s[26:27], 2
	ds_load_b32 v0, v7
	s_add_u32 s30, s22, s30
	s_addc_u32 s31, s23, s31
	s_bcnt1_i32_b32 s33, s33
	global_load_b32 v1, v7, s[30:31]
	v_cvt_f32_ubyte0_e32 v2, s33
	s_mov_b32 s33, 0
	s_waitcnt lgkmcnt(0)
	v_mul_f32_e32 v0, s20, v0
	s_delay_alu instid0(VALU_DEP_1)
	v_mul_f32_e32 v2, v0, v2
.LBB63_27:                              ;   Parent Loop BB63_10 Depth=1
                                        ; =>  This Inner Loop Header: Depth=2
	s_waitcnt vmcnt(0)
	s_delay_alu instid0(VALU_DEP_1)
	v_add_f32_e32 v0, v1, v2
	global_atomic_cmpswap_b32 v0, v7, v[0:1], s[30:31] glc
	s_waitcnt vmcnt(0)
	v_cmp_eq_u32_e32 vcc_lo, v0, v1
	v_mov_b32_e32 v1, v0
	s_or_b32 s33, vcc_lo, s33
	s_delay_alu instid0(SALU_CYCLE_1)
	s_and_not1_b32 exec_lo, exec_lo, s33
	s_cbranch_execnz .LBB63_27
	s_branch .LBB63_9
.LBB63_28:
	s_lshl_b64 s[0:1], s[18:19], 3
	s_waitcnt lgkmcnt(0)
	v_add_co_u32 v0, vcc_lo, s24, v5
	s_add_u32 s0, s8, s0
	s_addc_u32 s1, s9, s1
	v_add_co_ci_u32_e32 v1, vcc_lo, s25, v6, vcc_lo
	s_load_b64 s[0:1], s[0:1], 0x0
	s_waitcnt lgkmcnt(0)
	s_sub_u32 s2, s0, s6
	s_subb_u32 s3, s1, 0
	s_mov_b32 s0, exec_lo
	v_cmpx_gt_i64_e64 s[2:3], v[0:1]
	s_cbranch_execz .LBB63_38
; %bb.29:
	s_add_u32 s4, s18, -1
	s_addc_u32 s5, s19, -1
	s_add_u32 s0, s18, -2
	v_cmp_gt_i64_e64 s7, s[4:5], s[16:17]
	s_addc_u32 s1, s19, -1
	s_delay_alu instid0(SALU_CYCLE_1)
	s_cmp_lg_u64 s[0:1], s[16:17]
	s_cselect_b32 s0, -1, 0
	s_delay_alu instid0(VALU_DEP_1) | instid1(SALU_CYCLE_1)
	s_and_b32 s1, s7, s0
	s_mov_b32 s7, 0
	s_branch .LBB63_31
.LBB63_30:                              ;   in Loop: Header=BB63_31 Depth=1
	s_or_b32 exec_lo, exec_lo, s0
	v_add_co_u32 v0, vcc_lo, 0x100, v0
	v_add_co_ci_u32_e32 v1, vcc_lo, 0, v1, vcc_lo
	s_delay_alu instid0(VALU_DEP_1) | instskip(SKIP_1) | instid1(SALU_CYCLE_1)
	v_cmp_le_i64_e32 vcc_lo, s[2:3], v[0:1]
	s_or_b32 s7, vcc_lo, s7
	s_and_not1_b32 exec_lo, exec_lo, s7
	s_cbranch_execz .LBB63_38
.LBB63_31:                              ; =>This Loop Header: Depth=1
                                        ;     Child Loop BB63_33 Depth 2
                                        ;     Child Loop BB63_37 Depth 2
	v_dual_mov_b32 v2, s16 :: v_dual_mov_b32 v3, s17
	v_dual_mov_b32 v4, s4 :: v_dual_mov_b32 v5, s5
	s_and_not1_b32 vcc_lo, exec_lo, s1
	s_cbranch_vccnz .LBB63_35
; %bb.32:                               ;   in Loop: Header=BB63_31 Depth=1
	v_dual_mov_b32 v2, s16 :: v_dual_mov_b32 v3, s17
	v_dual_mov_b32 v4, s4 :: v_dual_mov_b32 v5, s5
	s_mov_b32 s18, 0
	s_set_inst_prefetch_distance 0x1
	.p2align	6
.LBB63_33:                              ;   Parent Loop BB63_31 Depth=1
                                        ; =>  This Inner Loop Header: Depth=2
	s_delay_alu instid0(VALU_DEP_1) | instskip(NEXT) | instid1(VALU_DEP_2)
	v_add_co_u32 v6, vcc_lo, v4, v2
	v_add_co_ci_u32_e32 v7, vcc_lo, v5, v3, vcc_lo
	s_delay_alu instid0(VALU_DEP_1) | instskip(NEXT) | instid1(VALU_DEP_1)
	v_lshrrev_b32_e32 v8, 31, v7
	v_add_co_u32 v6, vcc_lo, v6, v8
	v_add_co_ci_u32_e32 v7, vcc_lo, 0, v7, vcc_lo
	s_delay_alu instid0(VALU_DEP_1) | instskip(NEXT) | instid1(VALU_DEP_1)
	v_ashrrev_i64 v[6:7], 1, v[6:7]
	v_lshlrev_b64 v[8:9], 3, v[6:7]
	s_delay_alu instid0(VALU_DEP_1) | instskip(NEXT) | instid1(VALU_DEP_2)
	v_add_co_u32 v8, vcc_lo, s8, v8
	v_add_co_ci_u32_e32 v9, vcc_lo, s9, v9, vcc_lo
	global_load_b64 v[8:9], v[8:9], off
	s_waitcnt vmcnt(0)
	v_sub_co_u32 v8, vcc_lo, v8, s6
	v_subrev_co_ci_u32_e32 v9, vcc_lo, 0, v9, vcc_lo
	s_delay_alu instid0(VALU_DEP_1) | instskip(SKIP_2) | instid1(VALU_DEP_2)
	v_cmp_gt_i64_e32 vcc_lo, v[8:9], v[0:1]
	v_dual_cndmask_b32 v5, v5, v7 :: v_dual_cndmask_b32 v4, v4, v6
	v_dual_cndmask_b32 v3, v7, v3 :: v_dual_cndmask_b32 v2, v6, v2
	v_add_co_u32 v6, vcc_lo, v4, -1
	s_delay_alu instid0(VALU_DEP_3) | instskip(NEXT) | instid1(VALU_DEP_3)
	v_add_co_ci_u32_e32 v7, vcc_lo, -1, v5, vcc_lo
	v_cmp_ge_i64_e32 vcc_lo, v[2:3], v[4:5]
	s_delay_alu instid0(VALU_DEP_2) | instskip(NEXT) | instid1(VALU_DEP_1)
	v_cmp_eq_u64_e64 s0, v[2:3], v[6:7]
	s_or_b32 s0, vcc_lo, s0
	s_delay_alu instid0(SALU_CYCLE_1) | instskip(NEXT) | instid1(SALU_CYCLE_1)
	s_and_b32 s0, exec_lo, s0
	s_or_b32 s18, s0, s18
	s_delay_alu instid0(SALU_CYCLE_1)
	s_and_not1_b32 exec_lo, exec_lo, s18
	s_cbranch_execnz .LBB63_33
; %bb.34:                               ;   in Loop: Header=BB63_31 Depth=1
	s_set_inst_prefetch_distance 0x2
	s_or_b32 exec_lo, exec_lo, s18
.LBB63_35:                              ;   in Loop: Header=BB63_31 Depth=1
	s_delay_alu instid0(VALU_DEP_1) | instskip(SKIP_2) | instid1(VALU_DEP_2)
	v_lshlrev_b64 v[6:7], 3, v[4:5]
	v_lshlrev_b64 v[8:9], 3, v[0:1]
	s_mov_b32 s0, exec_lo
	v_add_co_u32 v6, vcc_lo, s8, v6
	s_delay_alu instid0(VALU_DEP_3) | instskip(NEXT) | instid1(VALU_DEP_3)
	v_add_co_ci_u32_e32 v7, vcc_lo, s9, v7, vcc_lo
	v_add_co_u32 v8, vcc_lo, s10, v8
	s_delay_alu instid0(VALU_DEP_4)
	v_add_co_ci_u32_e32 v9, vcc_lo, s11, v9, vcc_lo
	global_load_b64 v[6:7], v[6:7], off
	global_load_b64 v[8:9], v[8:9], off
	s_waitcnt vmcnt(1)
	v_sub_co_u32 v6, vcc_lo, v6, s6
	v_subrev_co_ci_u32_e32 v7, vcc_lo, 0, v7, vcc_lo
	s_delay_alu instid0(VALU_DEP_1) | instskip(SKIP_4) | instid1(VALU_DEP_1)
	v_cmp_gt_i64_e32 vcc_lo, v[6:7], v[0:1]
	v_dual_cndmask_b32 v3, v5, v3 :: v_dual_cndmask_b32 v2, v4, v2
	s_waitcnt vmcnt(0)
	v_sub_co_u32 v4, vcc_lo, v8, s6
	v_subrev_co_ci_u32_e32 v5, vcc_lo, 0, v9, vcc_lo
	v_cmpx_ne_u64_e64 v[4:5], v[2:3]
	s_cbranch_execz .LBB63_30
; %bb.36:                               ;   in Loop: Header=BB63_31 Depth=1
	v_add_co_u32 v6, vcc_lo, s12, v0
	v_add_co_ci_u32_e32 v7, vcc_lo, s13, v1, vcc_lo
	v_add_co_u32 v2, vcc_lo, s14, v2
	v_add_co_ci_u32_e32 v3, vcc_lo, s15, v3, vcc_lo
	global_load_i8 v6, v[6:7], off
	v_lshlrev_b64 v[4:5], 2, v[4:5]
	s_mov_b32 s18, 0
	global_load_i8 v7, v[2:3], off
	v_add_co_u32 v2, vcc_lo, s22, v4
	v_add_co_ci_u32_e32 v3, vcc_lo, s23, v5, vcc_lo
	global_load_b32 v5, v[2:3], off
	s_waitcnt vmcnt(2)
	v_cvt_f32_i32_e32 v4, v6
	s_waitcnt vmcnt(1)
	v_cvt_f32_i32_e32 v6, v7
	s_delay_alu instid0(VALU_DEP_2) | instskip(NEXT) | instid1(VALU_DEP_1)
	v_mul_f32_e32 v4, s20, v4
	v_mul_f32_e32 v6, v4, v6
.LBB63_37:                              ;   Parent Loop BB63_31 Depth=1
                                        ; =>  This Inner Loop Header: Depth=2
	s_waitcnt vmcnt(0)
	s_delay_alu instid0(VALU_DEP_1)
	v_add_f32_e32 v4, v5, v6
	global_atomic_cmpswap_b32 v4, v[2:3], v[4:5], off glc
	s_waitcnt vmcnt(0)
	v_cmp_eq_u32_e32 vcc_lo, v4, v5
	v_mov_b32_e32 v5, v4
	s_or_b32 s18, vcc_lo, s18
	s_delay_alu instid0(SALU_CYCLE_1)
	s_and_not1_b32 exec_lo, exec_lo, s18
	s_cbranch_execnz .LBB63_37
	s_branch .LBB63_30
.LBB63_38:
	s_endpgm
	.section	.rodata,"a",@progbits
	.p2align	6, 0x0
	.amdhsa_kernel _ZL33csrmvn_symm_large_adaptive_kernelIllaaffEvbT_PKS0_N9rocsparse24const_host_device_scalarIT4_EES2_PKT0_PKT1_PKT2_S6_PT3_21rocsparse_index_base_b
		.amdhsa_group_segment_fixed_size 4096
		.amdhsa_private_segment_fixed_size 0
		.amdhsa_kernarg_size 88
		.amdhsa_user_sgpr_count 15
		.amdhsa_user_sgpr_dispatch_ptr 0
		.amdhsa_user_sgpr_queue_ptr 0
		.amdhsa_user_sgpr_kernarg_segment_ptr 1
		.amdhsa_user_sgpr_dispatch_id 0
		.amdhsa_user_sgpr_private_segment_size 0
		.amdhsa_wavefront_size32 1
		.amdhsa_uses_dynamic_stack 0
		.amdhsa_enable_private_segment 0
		.amdhsa_system_sgpr_workgroup_id_x 1
		.amdhsa_system_sgpr_workgroup_id_y 0
		.amdhsa_system_sgpr_workgroup_id_z 0
		.amdhsa_system_sgpr_workgroup_info 0
		.amdhsa_system_vgpr_workitem_id 0
		.amdhsa_next_free_vgpr 13
		.amdhsa_next_free_sgpr 36
		.amdhsa_reserve_vcc 1
		.amdhsa_float_round_mode_32 0
		.amdhsa_float_round_mode_16_64 0
		.amdhsa_float_denorm_mode_32 3
		.amdhsa_float_denorm_mode_16_64 3
		.amdhsa_dx10_clamp 1
		.amdhsa_ieee_mode 1
		.amdhsa_fp16_overflow 0
		.amdhsa_workgroup_processor_mode 1
		.amdhsa_memory_ordered 1
		.amdhsa_forward_progress 0
		.amdhsa_shared_vgpr_count 0
		.amdhsa_exception_fp_ieee_invalid_op 0
		.amdhsa_exception_fp_denorm_src 0
		.amdhsa_exception_fp_ieee_div_zero 0
		.amdhsa_exception_fp_ieee_overflow 0
		.amdhsa_exception_fp_ieee_underflow 0
		.amdhsa_exception_fp_ieee_inexact 0
		.amdhsa_exception_int_div_zero 0
	.end_amdhsa_kernel
	.section	.text._ZL33csrmvn_symm_large_adaptive_kernelIllaaffEvbT_PKS0_N9rocsparse24const_host_device_scalarIT4_EES2_PKT0_PKT1_PKT2_S6_PT3_21rocsparse_index_base_b,"axG",@progbits,_ZL33csrmvn_symm_large_adaptive_kernelIllaaffEvbT_PKS0_N9rocsparse24const_host_device_scalarIT4_EES2_PKT0_PKT1_PKT2_S6_PT3_21rocsparse_index_base_b,comdat
.Lfunc_end63:
	.size	_ZL33csrmvn_symm_large_adaptive_kernelIllaaffEvbT_PKS0_N9rocsparse24const_host_device_scalarIT4_EES2_PKT0_PKT1_PKT2_S6_PT3_21rocsparse_index_base_b, .Lfunc_end63-_ZL33csrmvn_symm_large_adaptive_kernelIllaaffEvbT_PKS0_N9rocsparse24const_host_device_scalarIT4_EES2_PKT0_PKT1_PKT2_S6_PT3_21rocsparse_index_base_b
                                        ; -- End function
	.section	.AMDGPU.csdata,"",@progbits
; Kernel info:
; codeLenInByte = 1916
; NumSgprs: 38
; NumVgprs: 13
; ScratchSize: 0
; MemoryBound: 0
; FloatMode: 240
; IeeeMode: 1
; LDSByteSize: 4096 bytes/workgroup (compile time only)
; SGPRBlocks: 4
; VGPRBlocks: 1
; NumSGPRsForWavesPerEU: 38
; NumVGPRsForWavesPerEU: 13
; Occupancy: 16
; WaveLimiterHint : 1
; COMPUTE_PGM_RSRC2:SCRATCH_EN: 0
; COMPUTE_PGM_RSRC2:USER_SGPR: 15
; COMPUTE_PGM_RSRC2:TRAP_HANDLER: 0
; COMPUTE_PGM_RSRC2:TGID_X_EN: 1
; COMPUTE_PGM_RSRC2:TGID_Y_EN: 0
; COMPUTE_PGM_RSRC2:TGID_Z_EN: 0
; COMPUTE_PGM_RSRC2:TIDIG_COMP_CNT: 0
	.section	.text._ZN9rocsparseL22csrmvn_adaptive_kernelIiiDF16_DF16_ffEEvbT_PKS1_PjPKT0_NS_24const_host_device_scalarIT4_EES3_S7_PKT1_PKT2_SA_PT3_21rocsparse_index_base_b,"axG",@progbits,_ZN9rocsparseL22csrmvn_adaptive_kernelIiiDF16_DF16_ffEEvbT_PKS1_PjPKT0_NS_24const_host_device_scalarIT4_EES3_S7_PKT1_PKT2_SA_PT3_21rocsparse_index_base_b,comdat
	.globl	_ZN9rocsparseL22csrmvn_adaptive_kernelIiiDF16_DF16_ffEEvbT_PKS1_PjPKT0_NS_24const_host_device_scalarIT4_EES3_S7_PKT1_PKT2_SA_PT3_21rocsparse_index_base_b ; -- Begin function _ZN9rocsparseL22csrmvn_adaptive_kernelIiiDF16_DF16_ffEEvbT_PKS1_PjPKT0_NS_24const_host_device_scalarIT4_EES3_S7_PKT1_PKT2_SA_PT3_21rocsparse_index_base_b
	.p2align	8
	.type	_ZN9rocsparseL22csrmvn_adaptive_kernelIiiDF16_DF16_ffEEvbT_PKS1_PjPKT0_NS_24const_host_device_scalarIT4_EES3_S7_PKT1_PKT2_SA_PT3_21rocsparse_index_base_b,@function
_ZN9rocsparseL22csrmvn_adaptive_kernelIiiDF16_DF16_ffEEvbT_PKS1_PjPKT0_NS_24const_host_device_scalarIT4_EES3_S7_PKT1_PKT2_SA_PT3_21rocsparse_index_base_b: ; @_ZN9rocsparseL22csrmvn_adaptive_kernelIiiDF16_DF16_ffEEvbT_PKS1_PjPKT0_NS_24const_host_device_scalarIT4_EES3_S7_PKT1_PKT2_SA_PT3_21rocsparse_index_base_b
; %bb.0:
	s_clause 0x2
	s_load_b64 s[30:31], s[0:1], 0x58
	s_load_b64 s[28:29], s[0:1], 0x20
	;; [unrolled: 1-line block ×3, first 2 shown]
	s_mov_b32 s36, s15
	s_waitcnt lgkmcnt(0)
	s_bitcmp1_b32 s31, 0
	s_cselect_b32 s2, -1, 0
	s_delay_alu instid0(SALU_CYCLE_1)
	s_and_b32 vcc_lo, exec_lo, s2
	s_xor_b32 s2, s2, -1
	s_cbranch_vccnz .LBB64_2
; %bb.1:
	s_load_b32 s28, s[28:29], 0x0
.LBB64_2:
	s_and_not1_b32 vcc_lo, exec_lo, s2
	s_cbranch_vccnz .LBB64_4
; %bb.3:
	s_load_b32 s20, s[20:21], 0x0
.LBB64_4:
	s_waitcnt lgkmcnt(0)
	v_cmp_neq_f32_e64 s2, s28, 0
	v_cmp_neq_f32_e64 s3, s20, 1.0
	s_delay_alu instid0(VALU_DEP_1) | instskip(NEXT) | instid1(SALU_CYCLE_1)
	s_or_b32 s2, s2, s3
	s_and_not1_b32 vcc_lo, exec_lo, s2
	s_cbranch_vccnz .LBB64_116
; %bb.5:
	s_clause 0x2
	s_load_b64 s[2:3], s[0:1], 0x8
	s_load_b64 s[4:5], s[0:1], 0x18
	;; [unrolled: 1-line block ×3, first 2 shown]
	s_ashr_i32 s37, s36, 31
	s_delay_alu instid0(SALU_CYCLE_1)
	s_lshl_b64 s[38:39], s[36:37], 2
	s_waitcnt lgkmcnt(0)
	s_add_u32 s2, s2, s38
	s_addc_u32 s3, s3, s39
	s_load_b64 s[24:25], s[2:3], 0x0
	s_load_b256 s[12:19], s[0:1], 0x28
	s_mov_b32 s3, -1
	s_waitcnt lgkmcnt(0)
	s_sub_i32 s2, s25, s24
	s_add_u32 s4, s4, s38
	s_addc_u32 s5, s5, s39
	s_ashr_i32 s7, s24, 31
	s_mov_b32 s6, s24
	s_delay_alu instid0(SALU_CYCLE_1) | instskip(NEXT) | instid1(SALU_CYCLE_1)
	s_lshl_b64 s[34:35], s[6:7], 2
	s_add_u32 s26, s12, s34
	s_addc_u32 s27, s13, s35
	s_load_b32 s11, s[4:5], 0x0
	s_load_b32 s21, s[26:27], 0x0
	s_cmp_lt_i32 s2, 2
	s_cbranch_scc0 .LBB64_72
; %bb.6:
	s_cmp_lg_u32 s2, 1
	s_cselect_b32 s2, -1, 0
	s_waitcnt lgkmcnt(0)
	s_cmp_lg_u32 s11, 0
	s_cselect_b32 s3, -1, 0
	s_delay_alu instid0(SALU_CYCLE_1) | instskip(NEXT) | instid1(SALU_CYCLE_1)
	s_or_b32 s2, s2, s3
	s_and_b32 vcc_lo, exec_lo, s2
	s_mov_b32 s2, -1
	s_cbranch_vccnz .LBB64_35
; %bb.7:
	s_cmp_le_i32 s25, s24
	s_cbranch_scc1 .LBB64_34
; %bb.8:
	v_subrev_nc_u32_e32 v6, s30, v0
	v_dual_mov_b32 v8, 0 :: v_dual_lshlrev_b32 v7, 2, v0
	v_cmp_gt_u32_e64 s2, 0x80, v0
	v_cmp_gt_u32_e64 s3, 64, v0
	;; [unrolled: 1-line block ×7, first 2 shown]
	v_cmp_eq_u32_e64 s9, 0, v0
	v_cmp_neq_f32_e64 s31, s20, 0
	s_add_u32 s29, s12, 4
	s_addc_u32 s33, s13, 0
	s_mov_b32 s37, s21
	s_mov_b32 s40, s24
	s_branch .LBB64_11
.LBB64_9:                               ;   in Loop: Header=BB64_11 Depth=1
	s_add_u32 s42, s22, s42
	s_addc_u32 s43, s23, s43
	s_waitcnt lgkmcnt(0)
	global_store_b32 v8, v1, s[42:43]
.LBB64_10:                              ;   in Loop: Header=BB64_11 Depth=1
	s_or_b32 exec_lo, exec_lo, s10
	s_add_i32 s40, s40, 1
	s_delay_alu instid0(SALU_CYCLE_1)
	s_cmp_ge_i32 s40, s25
	s_cbranch_scc1 .LBB64_34
.LBB64_11:                              ; =>This Loop Header: Depth=1
                                        ;     Child Loop BB64_13 Depth 2
	s_ashr_i32 s41, s40, 31
	s_mov_b32 s10, s37
	s_lshl_b64 s[42:43], s[40:41], 2
	v_add_nc_u32_e32 v1, s10, v6
	s_add_u32 s44, s29, s42
	s_addc_u32 s45, s33, s43
	v_mov_b32_e32 v9, 0
	s_load_b32 s37, s[44:45], 0x0
	s_mov_b32 s41, exec_lo
	s_waitcnt lgkmcnt(0)
	s_sub_i32 s44, s37, s30
	s_delay_alu instid0(SALU_CYCLE_1)
	v_cmpx_gt_i32_e64 s44, v1
	s_cbranch_execz .LBB64_15
; %bb.12:                               ;   in Loop: Header=BB64_11 Depth=1
	v_ashrrev_i32_e32 v2, 31, v1
	s_mov_b32 s45, 0
	s_delay_alu instid0(VALU_DEP_1) | instskip(SKIP_1) | instid1(VALU_DEP_2)
	v_lshlrev_b64 v[3:4], 1, v[1:2]
	v_lshlrev_b64 v[9:10], 2, v[1:2]
	v_add_co_u32 v2, vcc_lo, s16, v3
	s_delay_alu instid0(VALU_DEP_3) | instskip(NEXT) | instid1(VALU_DEP_3)
	v_add_co_ci_u32_e32 v3, vcc_lo, s17, v4, vcc_lo
	v_add_co_u32 v4, vcc_lo, s14, v9
	s_delay_alu instid0(VALU_DEP_4)
	v_add_co_ci_u32_e32 v5, vcc_lo, s15, v10, vcc_lo
	v_mov_b32_e32 v9, 0
	.p2align	6
.LBB64_13:                              ;   Parent Loop BB64_11 Depth=1
                                        ; =>  This Inner Loop Header: Depth=2
	global_load_b32 v10, v[4:5], off
	global_load_u16 v12, v[2:3], off
	v_add_nc_u32_e32 v1, 0x100, v1
	s_delay_alu instid0(VALU_DEP_1) | instskip(NEXT) | instid1(VALU_DEP_1)
	v_cmp_le_i32_e64 s10, s44, v1
	s_or_b32 s45, s10, s45
	s_waitcnt vmcnt(1)
	v_subrev_nc_u32_e32 v10, s30, v10
	s_delay_alu instid0(VALU_DEP_1) | instskip(NEXT) | instid1(VALU_DEP_1)
	v_ashrrev_i32_e32 v11, 31, v10
	v_lshlrev_b64 v[10:11], 1, v[10:11]
	s_delay_alu instid0(VALU_DEP_1) | instskip(NEXT) | instid1(VALU_DEP_2)
	v_add_co_u32 v10, vcc_lo, s18, v10
	v_add_co_ci_u32_e32 v11, vcc_lo, s19, v11, vcc_lo
	v_add_co_u32 v2, vcc_lo, 0x200, v2
	v_add_co_ci_u32_e32 v3, vcc_lo, 0, v3, vcc_lo
	global_load_u16 v10, v[10:11], off
	s_waitcnt vmcnt(1)
	v_cvt_f32_f16_e32 v11, v12
	v_add_co_u32 v4, vcc_lo, 0x400, v4
	v_add_co_ci_u32_e32 v5, vcc_lo, 0, v5, vcc_lo
	s_delay_alu instid0(VALU_DEP_3) | instskip(SKIP_1) | instid1(VALU_DEP_1)
	v_mul_f32_e32 v11, s28, v11
	s_waitcnt vmcnt(0)
	v_fma_mix_f32 v9, v11, v10, v9 op_sel_hi:[0,1,0]
	s_and_not1_b32 exec_lo, exec_lo, s45
	s_cbranch_execnz .LBB64_13
; %bb.14:                               ;   in Loop: Header=BB64_11 Depth=1
	s_or_b32 exec_lo, exec_lo, s45
.LBB64_15:                              ;   in Loop: Header=BB64_11 Depth=1
	s_delay_alu instid0(SALU_CYCLE_1)
	s_or_b32 exec_lo, exec_lo, s41
	ds_store_b32 v7, v9
	s_waitcnt lgkmcnt(0)
	s_waitcnt_vscnt null, 0x0
	s_barrier
	buffer_gl0_inv
	s_and_saveexec_b32 s10, s2
	s_cbranch_execz .LBB64_17
; %bb.16:                               ;   in Loop: Header=BB64_11 Depth=1
	ds_load_2addr_stride64_b32 v[1:2], v7 offset1:2
	s_waitcnt lgkmcnt(0)
	v_add_f32_e32 v1, v1, v2
	ds_store_b32 v7, v1
.LBB64_17:                              ;   in Loop: Header=BB64_11 Depth=1
	s_or_b32 exec_lo, exec_lo, s10
	s_waitcnt lgkmcnt(0)
	s_barrier
	buffer_gl0_inv
	s_and_saveexec_b32 s10, s3
	s_cbranch_execz .LBB64_19
; %bb.18:                               ;   in Loop: Header=BB64_11 Depth=1
	ds_load_2addr_stride64_b32 v[1:2], v7 offset1:1
	s_waitcnt lgkmcnt(0)
	v_add_f32_e32 v1, v1, v2
	ds_store_b32 v7, v1
.LBB64_19:                              ;   in Loop: Header=BB64_11 Depth=1
	s_or_b32 exec_lo, exec_lo, s10
	s_waitcnt lgkmcnt(0)
	s_barrier
	buffer_gl0_inv
	s_and_saveexec_b32 s10, s4
	s_cbranch_execz .LBB64_21
; %bb.20:                               ;   in Loop: Header=BB64_11 Depth=1
	ds_load_2addr_b32 v[1:2], v7 offset1:32
	s_waitcnt lgkmcnt(0)
	v_add_f32_e32 v1, v1, v2
	ds_store_b32 v7, v1
.LBB64_21:                              ;   in Loop: Header=BB64_11 Depth=1
	s_or_b32 exec_lo, exec_lo, s10
	s_waitcnt lgkmcnt(0)
	s_barrier
	buffer_gl0_inv
	s_and_saveexec_b32 s10, s5
	s_cbranch_execz .LBB64_23
; %bb.22:                               ;   in Loop: Header=BB64_11 Depth=1
	ds_load_2addr_b32 v[1:2], v7 offset1:16
	s_waitcnt lgkmcnt(0)
	v_add_f32_e32 v1, v1, v2
	ds_store_b32 v7, v1
.LBB64_23:                              ;   in Loop: Header=BB64_11 Depth=1
	;; [unrolled: 12-line block ×5, first 2 shown]
	s_or_b32 exec_lo, exec_lo, s10
	s_waitcnt lgkmcnt(0)
	s_barrier
	buffer_gl0_inv
	s_and_saveexec_b32 s10, s9
	s_cbranch_execz .LBB64_31
; %bb.30:                               ;   in Loop: Header=BB64_11 Depth=1
	ds_load_b64 v[1:2], v8
	s_waitcnt lgkmcnt(0)
	v_add_f32_e32 v1, v1, v2
	ds_store_b32 v8, v1
.LBB64_31:                              ;   in Loop: Header=BB64_11 Depth=1
	s_or_b32 exec_lo, exec_lo, s10
	s_waitcnt lgkmcnt(0)
	s_barrier
	buffer_gl0_inv
	s_and_saveexec_b32 s10, s9
	s_cbranch_execz .LBB64_10
; %bb.32:                               ;   in Loop: Header=BB64_11 Depth=1
	ds_load_b32 v1, v8
	s_and_not1_b32 vcc_lo, exec_lo, s31
	s_cbranch_vccnz .LBB64_9
; %bb.33:                               ;   in Loop: Header=BB64_11 Depth=1
	s_add_u32 s44, s22, s42
	s_addc_u32 s45, s23, s43
	global_load_b32 v2, v8, s[44:45]
	s_waitcnt vmcnt(0) lgkmcnt(0)
	v_fmac_f32_e32 v1, s20, v2
	s_branch .LBB64_9
.LBB64_34:
	s_mov_b32 s2, 0
.LBB64_35:
	s_delay_alu instid0(SALU_CYCLE_1)
	s_and_not1_b32 vcc_lo, exec_lo, s2
	s_cbranch_vccnz .LBB64_71
; %bb.36:
	s_load_b64 s[6:7], s[0:1], 0x10
	s_sub_i32 s8, s36, s11
	v_or_b32_e32 v1, s11, v0
	v_mov_b32_e32 v6, 0
	s_mov_b32 s2, exec_lo
	s_waitcnt lgkmcnt(0)
	s_add_u32 s4, s6, s38
	s_addc_u32 s5, s7, s39
	s_load_b32 s10, s[4:5], 0x0
	v_cmpx_eq_u32_e32 0, v1
	s_cbranch_execz .LBB64_40
; %bb.37:
	s_add_u32 s36, s22, s34
	s_addc_u32 s37, s23, s35
	s_mov_b32 s29, exec_lo
	s_load_b32 s3, s[36:37], 0x0
	v_mbcnt_lo_u32_b32 v2, s29, 0
	v_add_f32_e64 v1, s20, -1.0
	s_mov_b32 s31, exec_lo
	s_waitcnt vmcnt(0) expcnt(0) lgkmcnt(0)
	s_waitcnt_vscnt null, 0x0
	v_cmpx_eq_u32_e32 0, v2
	s_cbranch_execz .LBB64_39
; %bb.38:
	s_ashr_i32 s9, s8, 31
	s_delay_alu instid0(SALU_CYCLE_1) | instskip(NEXT) | instid1(SALU_CYCLE_1)
	s_lshl_b64 s[36:37], s[8:9], 2
	s_add_u32 s36, s6, s36
	s_addc_u32 s37, s7, s37
	s_bcnt1_i32_b32 s9, s29
	s_delay_alu instid0(SALU_CYCLE_1) | instskip(NEXT) | instid1(SALU_CYCLE_1)
	s_and_b32 s9, s9, 1
	v_dual_mov_b32 v2, 0 :: v_dual_mov_b32 v3, s9
	global_atomic_xor_b32 v2, v3, s[36:37]
.LBB64_39:
	s_or_b32 exec_lo, exec_lo, s31
	v_mul_f32_e32 v6, s3, v1
.LBB64_40:
	s_or_b32 exec_lo, exec_lo, s2
	s_load_b32 s2, s[26:27], 0x4
	s_mul_i32 s3, s11, 0xc00
	s_sub_i32 s9, s21, s30
	s_delay_alu instid0(SALU_CYCLE_1)
	s_add_i32 s9, s9, s3
	s_mov_b32 s3, exec_lo
	v_add_nc_u32_e32 v1, s9, v0
	s_waitcnt lgkmcnt(0)
	s_sub_i32 s2, s2, s30
	s_delay_alu instid0(VALU_DEP_1) | instid1(SALU_CYCLE_1)
	v_cmpx_gt_i32_e64 s2, v1
	s_cbranch_execz .LBB64_44
; %bb.41:
	v_ashrrev_i32_e32 v2, 31, v1
	s_addk_i32 s9, 0xc00
	s_mov_b32 s29, 0
	s_min_i32 s9, s9, s2
	s_delay_alu instid0(VALU_DEP_1) | instskip(SKIP_1) | instid1(VALU_DEP_2)
	v_lshlrev_b64 v[3:4], 1, v[1:2]
	v_lshlrev_b64 v[7:8], 2, v[1:2]
	v_add_co_u32 v2, vcc_lo, s16, v3
	s_delay_alu instid0(VALU_DEP_3) | instskip(NEXT) | instid1(VALU_DEP_3)
	v_add_co_ci_u32_e32 v3, vcc_lo, s17, v4, vcc_lo
	v_add_co_u32 v4, vcc_lo, s14, v7
	s_delay_alu instid0(VALU_DEP_4)
	v_add_co_ci_u32_e32 v5, vcc_lo, s15, v8, vcc_lo
	.p2align	6
.LBB64_42:                              ; =>This Inner Loop Header: Depth=1
	global_load_b32 v7, v[4:5], off
	global_load_u16 v9, v[2:3], off
	s_waitcnt vmcnt(1)
	v_subrev_nc_u32_e32 v7, s30, v7
	s_delay_alu instid0(VALU_DEP_1) | instskip(NEXT) | instid1(VALU_DEP_1)
	v_ashrrev_i32_e32 v8, 31, v7
	v_lshlrev_b64 v[7:8], 1, v[7:8]
	s_delay_alu instid0(VALU_DEP_1) | instskip(NEXT) | instid1(VALU_DEP_2)
	v_add_co_u32 v7, vcc_lo, s18, v7
	v_add_co_ci_u32_e32 v8, vcc_lo, s19, v8, vcc_lo
	v_add_co_u32 v2, vcc_lo, 0x200, v2
	v_add_co_ci_u32_e32 v3, vcc_lo, 0, v3, vcc_lo
	global_load_u16 v7, v[7:8], off
	s_waitcnt vmcnt(1)
	v_cvt_f32_f16_e32 v8, v9
	v_add_nc_u32_e32 v1, 0x100, v1
	v_add_co_u32 v4, vcc_lo, 0x400, v4
	v_add_co_ci_u32_e32 v5, vcc_lo, 0, v5, vcc_lo
	s_delay_alu instid0(VALU_DEP_4) | instskip(NEXT) | instid1(VALU_DEP_4)
	v_mul_f32_e32 v8, s28, v8
	v_cmp_le_i32_e64 s2, s9, v1
	s_delay_alu instid0(VALU_DEP_1) | instskip(SKIP_1) | instid1(VALU_DEP_2)
	s_or_b32 s29, s2, s29
	s_waitcnt vmcnt(0)
	v_fma_mix_f32 v6, v8, v7, v6 op_sel_hi:[0,1,0]
	s_and_not1_b32 exec_lo, exec_lo, s29
	s_cbranch_execnz .LBB64_42
; %bb.43:
	s_or_b32 exec_lo, exec_lo, s29
.LBB64_44:
	s_delay_alu instid0(SALU_CYCLE_1)
	s_or_b32 exec_lo, exec_lo, s3
	v_lshlrev_b32_e32 v1, 2, v0
	s_mov_b32 s2, exec_lo
	ds_store_b32 v1, v6
	s_waitcnt lgkmcnt(0)
	s_waitcnt_vscnt null, 0x0
	s_barrier
	buffer_gl0_inv
	v_cmpx_gt_u32_e32 0x80, v0
	s_cbranch_execz .LBB64_46
; %bb.45:
	ds_load_2addr_stride64_b32 v[2:3], v1 offset1:2
	s_waitcnt lgkmcnt(0)
	v_add_f32_e32 v2, v2, v3
	ds_store_b32 v1, v2
.LBB64_46:
	s_or_b32 exec_lo, exec_lo, s2
	s_delay_alu instid0(SALU_CYCLE_1)
	s_mov_b32 s2, exec_lo
	s_waitcnt lgkmcnt(0)
	s_barrier
	buffer_gl0_inv
	v_cmpx_gt_u32_e32 64, v0
	s_cbranch_execz .LBB64_48
; %bb.47:
	ds_load_2addr_stride64_b32 v[2:3], v1 offset1:1
	s_waitcnt lgkmcnt(0)
	v_add_f32_e32 v2, v2, v3
	ds_store_b32 v1, v2
.LBB64_48:
	s_or_b32 exec_lo, exec_lo, s2
	s_delay_alu instid0(SALU_CYCLE_1)
	s_mov_b32 s2, exec_lo
	s_waitcnt lgkmcnt(0)
	s_barrier
	buffer_gl0_inv
	v_cmpx_gt_u32_e32 32, v0
	s_cbranch_execz .LBB64_50
; %bb.49:
	ds_load_2addr_b32 v[2:3], v1 offset1:32
	s_waitcnt lgkmcnt(0)
	v_add_f32_e32 v2, v2, v3
	ds_store_b32 v1, v2
.LBB64_50:
	s_or_b32 exec_lo, exec_lo, s2
	s_delay_alu instid0(SALU_CYCLE_1)
	s_mov_b32 s2, exec_lo
	s_waitcnt lgkmcnt(0)
	s_barrier
	buffer_gl0_inv
	v_cmpx_gt_u32_e32 16, v0
	s_cbranch_execz .LBB64_52
; %bb.51:
	ds_load_2addr_b32 v[2:3], v1 offset1:16
	s_waitcnt lgkmcnt(0)
	v_add_f32_e32 v2, v2, v3
	ds_store_b32 v1, v2
.LBB64_52:
	;; [unrolled: 14-line block ×5, first 2 shown]
	s_or_b32 exec_lo, exec_lo, s2
	v_cmp_eq_u32_e32 vcc_lo, 0, v0
	s_waitcnt lgkmcnt(0)
	s_barrier
	buffer_gl0_inv
	s_and_saveexec_b32 s2, vcc_lo
	s_cbranch_execz .LBB64_60
; %bb.59:
	v_mov_b32_e32 v3, 0
	ds_load_b64 v[1:2], v3
	s_waitcnt lgkmcnt(0)
	v_add_f32_e32 v1, v1, v2
	ds_store_b32 v3, v1
.LBB64_60:
	s_or_b32 exec_lo, exec_lo, s2
	s_waitcnt lgkmcnt(0)
	s_barrier
	buffer_gl0_inv
	s_and_saveexec_b32 s29, vcc_lo
	s_cbranch_execz .LBB64_70
; %bb.61:
	s_cmp_eq_u32 s11, 0
	s_cbranch_scc1 .LBB64_67
; %bb.62:
	s_ashr_i32 s9, s8, 31
	v_mov_b32_e32 v1, 0
	s_lshl_b64 s[2:3], s[8:9], 2
	s_delay_alu instid0(SALU_CYCLE_1)
	s_add_u32 s2, s6, s2
	s_addc_u32 s3, s7, s3
	s_branch .LBB64_64
.LBB64_63:                              ;   in Loop: Header=BB64_64 Depth=1
	s_or_b32 exec_lo, exec_lo, s6
	s_waitcnt vmcnt(0)
	v_readfirstlane_b32 s6, v2
	s_delay_alu instid0(VALU_DEP_1)
	s_cmp_eq_u32 s6, s10
	s_cbranch_scc0 .LBB64_66
.LBB64_64:                              ; =>This Inner Loop Header: Depth=1
	v_mbcnt_lo_u32_b32 v2, exec_lo, 0
	s_delay_alu instid0(VALU_DEP_1)
	v_cmp_eq_u32_e32 vcc_lo, 0, v2
                                        ; implicit-def: $vgpr2
	s_and_saveexec_b32 s6, vcc_lo
	s_cbranch_execz .LBB64_63
; %bb.65:                               ;   in Loop: Header=BB64_64 Depth=1
	global_load_b32 v2, v1, s[2:3] glc
	s_branch .LBB64_63
.LBB64_66:
	v_mov_b32_e32 v1, 0
	global_load_b32 v2, v1, s[4:5]
	s_waitcnt vmcnt(0)
	v_xor_b32_e32 v2, 1, v2
	global_store_b32 v1, v2, s[4:5]
.LBB64_67:
	s_mov_b32 s4, exec_lo
	s_delay_alu instid0(SALU_CYCLE_1) | instskip(NEXT) | instid1(VALU_DEP_1)
	v_mbcnt_lo_u32_b32 v1, s4, 0
	v_cmp_eq_u32_e32 vcc_lo, 0, v1
	s_and_b32 s2, exec_lo, vcc_lo
	s_delay_alu instid0(SALU_CYCLE_1)
	s_mov_b32 exec_lo, s2
	s_cbranch_execz .LBB64_70
; %bb.68:
	s_add_u32 s2, s22, s34
	s_addc_u32 s3, s23, s35
	s_bcnt1_i32_b32 s4, s4
	s_delay_alu instid0(SALU_CYCLE_1)
	v_cvt_f32_ubyte0_e32 v4, s4
	v_mov_b32_e32 v3, 0
	s_mov_b32 s4, 0
	global_load_b32 v2, v3, s[2:3]
	ds_load_b32 v1, v3
	s_waitcnt lgkmcnt(0)
	v_mul_f32_e32 v4, v1, v4
.LBB64_69:                              ; =>This Inner Loop Header: Depth=1
	s_waitcnt vmcnt(0)
	s_delay_alu instid0(VALU_DEP_1)
	v_add_f32_e32 v1, v2, v4
	global_atomic_cmpswap_b32 v1, v3, v[1:2], s[2:3] glc
	s_waitcnt vmcnt(0)
	v_cmp_eq_u32_e32 vcc_lo, v1, v2
	v_mov_b32_e32 v2, v1
	s_or_b32 s4, vcc_lo, s4
	s_delay_alu instid0(SALU_CYCLE_1)
	s_and_not1_b32 exec_lo, exec_lo, s4
	s_cbranch_execnz .LBB64_69
.LBB64_70:
	s_or_b32 exec_lo, exec_lo, s29
.LBB64_71:
	s_mov_b32 s3, 0
.LBB64_72:
	s_delay_alu instid0(SALU_CYCLE_1)
	s_and_not1_b32 vcc_lo, exec_lo, s3
	s_cbranch_vccnz .LBB64_116
; %bb.73:
	s_load_b32 s0, s[0:1], 0x4
	v_subrev_nc_u32_e32 v1, s30, v0
	s_waitcnt lgkmcnt(0)
	s_delay_alu instid0(VALU_DEP_1) | instskip(NEXT) | instid1(VALU_DEP_1)
	v_add_nc_u32_e32 v1, s21, v1
	v_add_nc_u32_e32 v2, 0x300, v1
	s_delay_alu instid0(VALU_DEP_1) | instskip(SKIP_1) | instid1(SALU_CYCLE_1)
	v_cmp_le_i32_e32 vcc_lo, s0, v2
	s_and_saveexec_b32 s0, vcc_lo
	s_xor_b32 s0, exec_lo, s0
	s_cbranch_execz .LBB64_78
; %bb.74:
	s_ashr_i32 s3, s25, 31
	s_mov_b32 s2, s25
	s_delay_alu instid0(SALU_CYCLE_1) | instskip(NEXT) | instid1(SALU_CYCLE_1)
	s_lshl_b64 s[2:3], s[2:3], 2
	s_add_u32 s2, s12, s2
	s_addc_u32 s3, s13, s3
	s_load_b32 s1, s[2:3], 0x0
	s_mov_b32 s2, exec_lo
	s_waitcnt lgkmcnt(0)
	s_sub_i32 s1, s1, s30
	s_delay_alu instid0(SALU_CYCLE_1)
	v_cmpx_gt_i32_e64 s1, v1
	s_cbranch_execz .LBB64_77
; %bb.75:
	v_lshlrev_b32_e32 v3, 2, v0
	s_mov_b32 s3, 0
	s_set_inst_prefetch_distance 0x1
	.p2align	6
.LBB64_76:                              ; =>This Inner Loop Header: Depth=1
	v_ashrrev_i32_e32 v2, 31, v1
	s_delay_alu instid0(VALU_DEP_1) | instskip(NEXT) | instid1(VALU_DEP_1)
	v_lshlrev_b64 v[4:5], 2, v[1:2]
	v_add_co_u32 v4, vcc_lo, s14, v4
	s_delay_alu instid0(VALU_DEP_2) | instskip(SKIP_3) | instid1(VALU_DEP_2)
	v_add_co_ci_u32_e32 v5, vcc_lo, s15, v5, vcc_lo
	global_load_b32 v6, v[4:5], off
	v_lshlrev_b64 v[4:5], 1, v[1:2]
	v_add_nc_u32_e32 v1, 0x100, v1
	v_add_co_u32 v4, vcc_lo, s16, v4
	s_delay_alu instid0(VALU_DEP_3) | instskip(SKIP_3) | instid1(VALU_DEP_1)
	v_add_co_ci_u32_e32 v5, vcc_lo, s17, v5, vcc_lo
	global_load_u16 v2, v[4:5], off
	s_waitcnt vmcnt(1)
	v_subrev_nc_u32_e32 v6, s30, v6
	v_ashrrev_i32_e32 v7, 31, v6
	s_delay_alu instid0(VALU_DEP_1) | instskip(SKIP_2) | instid1(VALU_DEP_2)
	v_lshlrev_b64 v[6:7], 1, v[6:7]
	s_waitcnt vmcnt(0)
	v_cvt_f32_f16_e32 v2, v2
	v_add_co_u32 v4, vcc_lo, s18, v6
	s_delay_alu instid0(VALU_DEP_3) | instskip(NEXT) | instid1(VALU_DEP_3)
	v_add_co_ci_u32_e32 v5, vcc_lo, s19, v7, vcc_lo
	v_mul_f32_e32 v2, s28, v2
	v_cmp_le_i32_e32 vcc_lo, s1, v1
	global_load_u16 v4, v[4:5], off
	s_or_b32 s3, vcc_lo, s3
	s_waitcnt vmcnt(0)
	v_cvt_f32_f16_e32 v4, v4
	s_delay_alu instid0(VALU_DEP_1)
	v_mul_f32_e32 v2, v2, v4
	ds_store_b32 v3, v2
	v_add_nc_u32_e32 v3, 0x400, v3
	s_and_not1_b32 exec_lo, exec_lo, s3
	s_cbranch_execnz .LBB64_76
.LBB64_77:
	s_set_inst_prefetch_distance 0x2
	s_or_b32 exec_lo, exec_lo, s2
                                        ; implicit-def: $vgpr1
.LBB64_78:
	s_or_saveexec_b32 s0, s0
	v_lshlrev_b32_e32 v6, 2, v0
	s_xor_b32 exec_lo, exec_lo, s0
	s_cbranch_execz .LBB64_80
; %bb.79:
	v_ashrrev_i32_e32 v2, 31, v1
	s_delay_alu instid0(VALU_DEP_1) | instskip(SKIP_1) | instid1(VALU_DEP_2)
	v_lshlrev_b64 v[3:4], 2, v[1:2]
	v_lshlrev_b64 v[1:2], 1, v[1:2]
	v_add_co_u32 v3, vcc_lo, s14, v3
	s_delay_alu instid0(VALU_DEP_3) | instskip(NEXT) | instid1(VALU_DEP_3)
	v_add_co_ci_u32_e32 v4, vcc_lo, s15, v4, vcc_lo
	v_add_co_u32 v1, vcc_lo, s16, v1
	s_delay_alu instid0(VALU_DEP_4)
	v_add_co_ci_u32_e32 v2, vcc_lo, s17, v2, vcc_lo
	s_clause 0x3
	global_load_b32 v5, v[3:4], off
	global_load_b32 v7, v[3:4], off offset:1024
	global_load_b32 v8, v[3:4], off offset:2048
	;; [unrolled: 1-line block ×3, first 2 shown]
	s_waitcnt vmcnt(3)
	v_subrev_nc_u32_e32 v3, s30, v5
	s_waitcnt vmcnt(2)
	v_subrev_nc_u32_e32 v7, s30, v7
	;; [unrolled: 2-line block ×4, first 2 shown]
	s_clause 0x3
	global_load_u16 v5, v[1:2], off
	global_load_u16 v13, v[1:2], off offset:512
	global_load_u16 v14, v[1:2], off offset:1024
	;; [unrolled: 1-line block ×3, first 2 shown]
	v_ashrrev_i32_e32 v4, 31, v3
	v_ashrrev_i32_e32 v8, 31, v7
	;; [unrolled: 1-line block ×4, first 2 shown]
	s_delay_alu instid0(VALU_DEP_4) | instskip(NEXT) | instid1(VALU_DEP_4)
	v_lshlrev_b64 v[3:4], 1, v[3:4]
	v_lshlrev_b64 v[1:2], 1, v[7:8]
	s_delay_alu instid0(VALU_DEP_4) | instskip(NEXT) | instid1(VALU_DEP_4)
	v_lshlrev_b64 v[7:8], 1, v[9:10]
	v_lshlrev_b64 v[9:10], 1, v[11:12]
	s_delay_alu instid0(VALU_DEP_4)
	v_add_co_u32 v3, vcc_lo, s18, v3
	v_add_co_ci_u32_e32 v4, vcc_lo, s19, v4, vcc_lo
	v_add_co_u32 v1, vcc_lo, s18, v1
	v_add_co_ci_u32_e32 v2, vcc_lo, s19, v2, vcc_lo
	;; [unrolled: 2-line block ×4, first 2 shown]
	s_clause 0x3
	global_load_u16 v3, v[3:4], off
	global_load_u16 v1, v[1:2], off
	;; [unrolled: 1-line block ×4, first 2 shown]
	s_waitcnt vmcnt(7)
	v_cvt_f32_f16_e32 v5, v5
	s_waitcnt vmcnt(6)
	v_cvt_f32_f16_e32 v7, v13
	;; [unrolled: 2-line block ×4, first 2 shown]
	s_delay_alu instid0(VALU_DEP_2) | instskip(NEXT) | instid1(VALU_DEP_2)
	v_dual_mul_f32 v5, s28, v5 :: v_dual_mul_f32 v8, s28, v8
	v_mul_f32_e32 v9, s28, v9
	s_waitcnt vmcnt(3)
	v_cvt_f32_f16_e32 v3, v3
	s_waitcnt vmcnt(2)
	v_cvt_f32_f16_e32 v1, v1
	;; [unrolled: 2-line block ×3, first 2 shown]
	v_mul_f32_e32 v7, s28, v7
	s_waitcnt vmcnt(0)
	v_cvt_f32_f16_e32 v4, v4
	s_delay_alu instid0(VALU_DEP_3) | instskip(NEXT) | instid1(VALU_DEP_2)
	v_dual_mul_f32 v3, v5, v3 :: v_dual_mul_f32 v2, v8, v2
	v_dual_mul_f32 v1, v7, v1 :: v_dual_mul_f32 v4, v9, v4
	ds_store_2addr_stride64_b32 v6, v3, v1 offset1:4
	ds_store_2addr_stride64_b32 v6, v2, v4 offset0:8 offset1:12
.LBB64_80:
	s_or_b32 exec_lo, exec_lo, s0
	s_cmp_lt_i32 s11, 2
	s_mov_b32 s0, -1
	s_waitcnt lgkmcnt(0)
	s_waitcnt_vscnt null, 0x0
	s_barrier
	buffer_gl0_inv
	s_cbranch_scc0 .LBB64_91
; %bb.81:
	v_add_nc_u32_e32 v1, s24, v0
	s_mov_b32 s1, exec_lo
	s_delay_alu instid0(VALU_DEP_1)
	v_cmpx_gt_i32_e64 s25, v1
	s_cbranch_execz .LBB64_90
; %bb.82:
	v_cmp_neq_f32_e64 s2, s20, 0
	s_lshl_b32 s0, s21, 2
	s_mov_b32 s3, 0
	s_sub_i32 s4, 0, s0
	s_branch .LBB64_84
.LBB64_83:                              ;   in Loop: Header=BB64_84 Depth=1
	v_add_nc_u32_e32 v1, 0x100, v1
	v_add_co_u32 v2, s0, s22, v2
	s_delay_alu instid0(VALU_DEP_1) | instskip(NEXT) | instid1(VALU_DEP_3)
	v_add_co_ci_u32_e64 v3, s0, s23, v3, s0
	v_cmp_le_i32_e32 vcc_lo, s25, v1
	global_store_b32 v[2:3], v7, off
	s_or_b32 s3, vcc_lo, s3
	s_delay_alu instid0(SALU_CYCLE_1)
	s_and_not1_b32 exec_lo, exec_lo, s3
	s_cbranch_execz .LBB64_90
.LBB64_84:                              ; =>This Loop Header: Depth=1
                                        ;     Child Loop BB64_86 Depth 2
	v_ashrrev_i32_e32 v2, 31, v1
	v_mov_b32_e32 v7, 0
	s_mov_b32 s0, exec_lo
	s_delay_alu instid0(VALU_DEP_2) | instskip(NEXT) | instid1(VALU_DEP_1)
	v_lshlrev_b64 v[2:3], 2, v[1:2]
	v_add_co_u32 v4, vcc_lo, s12, v2
	s_delay_alu instid0(VALU_DEP_2)
	v_add_co_ci_u32_e32 v5, vcc_lo, s13, v3, vcc_lo
	global_load_b64 v[4:5], v[4:5], off
	s_waitcnt vmcnt(0)
	v_cmpx_lt_i32_e64 v4, v5
	s_cbranch_execz .LBB64_88
; %bb.85:                               ;   in Loop: Header=BB64_84 Depth=1
	v_subrev_nc_u32_e32 v5, s21, v5
	v_subrev_nc_u32_e32 v8, s21, v4
	v_lshl_add_u32 v4, v4, 2, s4
	v_mov_b32_e32 v7, 0
	s_mov_b32 s5, 0
.LBB64_86:                              ;   Parent Loop BB64_84 Depth=1
                                        ; =>  This Inner Loop Header: Depth=2
	ds_load_b32 v9, v4
	v_add_nc_u32_e32 v8, 1, v8
	s_waitcnt lgkmcnt(0)
	v_dual_add_f32 v7, v7, v9 :: v_dual_add_nc_u32 v4, 4, v4
	s_delay_alu instid0(VALU_DEP_2) | instskip(SKIP_1) | instid1(SALU_CYCLE_1)
	v_cmp_ge_i32_e32 vcc_lo, v8, v5
	s_or_b32 s5, vcc_lo, s5
	s_and_not1_b32 exec_lo, exec_lo, s5
	s_cbranch_execnz .LBB64_86
; %bb.87:                               ;   in Loop: Header=BB64_84 Depth=1
	s_or_b32 exec_lo, exec_lo, s5
.LBB64_88:                              ;   in Loop: Header=BB64_84 Depth=1
	s_delay_alu instid0(SALU_CYCLE_1) | instskip(NEXT) | instid1(SALU_CYCLE_1)
	s_or_b32 exec_lo, exec_lo, s0
	s_and_b32 vcc_lo, exec_lo, s2
	s_cbranch_vccz .LBB64_83
; %bb.89:                               ;   in Loop: Header=BB64_84 Depth=1
	v_add_co_u32 v4, vcc_lo, s22, v2
	v_add_co_ci_u32_e32 v5, vcc_lo, s23, v3, vcc_lo
	global_load_b32 v4, v[4:5], off
	s_waitcnt vmcnt(0)
	v_fmac_f32_e32 v7, s20, v4
	s_branch .LBB64_83
.LBB64_90:
	s_or_b32 exec_lo, exec_lo, s1
	s_mov_b32 s0, 0
.LBB64_91:
	s_delay_alu instid0(SALU_CYCLE_1)
	s_and_not1_b32 vcc_lo, exec_lo, s0
	s_cbranch_vccnz .LBB64_116
; %bb.92:
	s_clz_i32_u32 s0, s11
	s_mov_b32 s1, exec_lo
	s_xor_b32 s0, s0, 31
	v_mov_b32_e32 v2, 0
	v_lshrrev_b32_e32 v3, s0, v0
	s_add_i32 s0, s11, -1
	s_delay_alu instid0(SALU_CYCLE_1) | instskip(NEXT) | instid1(VALU_DEP_2)
	v_and_b32_e32 v0, s0, v0
	v_add_nc_u32_e32 v1, s24, v3
	s_delay_alu instid0(VALU_DEP_1)
	v_cmp_le_i32_e32 vcc_lo, s25, v1
	v_cmpx_gt_i32_e64 s25, v1
	s_cbranch_execz .LBB64_98
; %bb.93:
	v_lshlrev_b32_e32 v2, 2, v3
	v_subrev_nc_u32_e32 v4, s21, v0
	s_mov_b32 s2, exec_lo
	global_load_b64 v[2:3], v2, s[26:27]
	s_waitcnt vmcnt(0)
	v_subrev_nc_u32_e32 v3, s21, v3
	v_add_nc_u32_e32 v4, v2, v4
	v_mov_b32_e32 v2, 0
	s_delay_alu instid0(VALU_DEP_2)
	v_cmpx_lt_i32_e64 v4, v3
	s_cbranch_execz .LBB64_97
; %bb.94:
	v_dual_mov_b32 v2, 0 :: v_dual_lshlrev_b32 v5, 2, v4
	s_lshl_b32 s4, s11, 2
	s_mov_b32 s3, 0
.LBB64_95:                              ; =>This Inner Loop Header: Depth=1
	ds_load_b32 v7, v5
	v_add_nc_u32_e32 v4, s11, v4
	v_add_nc_u32_e32 v5, s4, v5
	s_delay_alu instid0(VALU_DEP_2) | instskip(NEXT) | instid1(VALU_DEP_1)
	v_cmp_ge_i32_e64 s0, v4, v3
	s_or_b32 s3, s0, s3
	s_waitcnt lgkmcnt(0)
	v_add_f32_e32 v2, v2, v7
	s_and_not1_b32 exec_lo, exec_lo, s3
	s_cbranch_execnz .LBB64_95
; %bb.96:
	s_or_b32 exec_lo, exec_lo, s3
.LBB64_97:
	s_delay_alu instid0(SALU_CYCLE_1)
	s_or_b32 exec_lo, exec_lo, s2
.LBB64_98:
	s_delay_alu instid0(SALU_CYCLE_1)
	s_or_b32 exec_lo, exec_lo, s1
	s_cmpk_lt_i32 s11, 0x81
	s_waitcnt_vscnt null, 0x0
	s_barrier
	buffer_gl0_inv
	ds_store_b32 v6, v2
	s_waitcnt lgkmcnt(0)
	s_barrier
	buffer_gl0_inv
	s_cbranch_scc1 .LBB64_100
; %bb.99:
	ds_load_b32 v3, v6 offset:512
	s_waitcnt lgkmcnt(0)
	s_barrier
	buffer_gl0_inv
	v_add_f32_e32 v2, v2, v3
	ds_store_b32 v6, v2
.LBB64_100:
	s_cmpk_lt_i32 s11, 0x41
	s_waitcnt lgkmcnt(0)
	s_barrier
	buffer_gl0_inv
	s_cbranch_scc1 .LBB64_102
; %bb.101:
	ds_load_b32 v3, v6 offset:256
	s_waitcnt lgkmcnt(0)
	s_barrier
	buffer_gl0_inv
	v_add_f32_e32 v2, v2, v3
	ds_store_b32 v6, v2
.LBB64_102:
	s_cmp_lt_i32 s11, 33
	s_waitcnt lgkmcnt(0)
	s_barrier
	buffer_gl0_inv
	s_cbranch_scc1 .LBB64_104
; %bb.103:
	ds_load_b32 v3, v6 offset:128
	s_waitcnt lgkmcnt(0)
	s_barrier
	buffer_gl0_inv
	v_add_f32_e32 v2, v2, v3
	ds_store_b32 v6, v2
.LBB64_104:
	s_cmp_lt_i32 s11, 17
	;; [unrolled: 13-line block ×4, first 2 shown]
	s_waitcnt lgkmcnt(0)
	s_barrier
	buffer_gl0_inv
	s_cbranch_scc1 .LBB64_110
; %bb.109:
	ds_load_b32 v3, v6 offset:16
	s_waitcnt lgkmcnt(0)
	s_barrier
	buffer_gl0_inv
	v_add_f32_e32 v2, v2, v3
	ds_store_b32 v6, v2
.LBB64_110:
	s_cmp_eq_u32 s11, 2
	s_waitcnt lgkmcnt(0)
	s_barrier
	buffer_gl0_inv
	s_cbranch_scc1 .LBB64_112
; %bb.111:
	ds_load_b32 v3, v6 offset:8
	s_waitcnt lgkmcnt(0)
	s_barrier
	buffer_gl0_inv
	v_add_f32_e32 v2, v2, v3
	ds_store_b32 v6, v2
.LBB64_112:
	s_waitcnt lgkmcnt(0)
	s_barrier
	buffer_gl0_inv
	ds_load_b32 v3, v6 offset:4
	v_cmp_eq_u32_e64 s0, 0, v0
	s_xor_b32 s1, vcc_lo, -1
	s_waitcnt lgkmcnt(0)
	s_barrier
	buffer_gl0_inv
	s_and_b32 s0, s0, s1
	v_add_f32_e32 v3, v2, v3
	ds_store_b32 v6, v3
	s_and_saveexec_b32 s1, s0
	s_cbranch_execz .LBB64_116
; %bb.113:
	v_ashrrev_i32_e32 v2, 31, v1
	v_cmp_eq_f32_e64 s0, s20, 0
	s_delay_alu instid0(VALU_DEP_2) | instskip(NEXT) | instid1(VALU_DEP_2)
	v_lshlrev_b64 v[0:1], 2, v[1:2]
	s_and_b32 vcc_lo, exec_lo, s0
	s_cbranch_vccnz .LBB64_115
; %bb.114:
	s_delay_alu instid0(VALU_DEP_1) | instskip(NEXT) | instid1(VALU_DEP_2)
	v_add_co_u32 v4, vcc_lo, s22, v0
	v_add_co_ci_u32_e32 v5, vcc_lo, s23, v1, vcc_lo
	global_load_b32 v2, v[4:5], off
	s_waitcnt vmcnt(0)
	v_fmac_f32_e32 v3, s20, v2
.LBB64_115:
	s_delay_alu instid0(VALU_DEP_1) | instskip(NEXT) | instid1(VALU_DEP_2)
	v_add_co_u32 v0, vcc_lo, s22, v0
	v_add_co_ci_u32_e32 v1, vcc_lo, s23, v1, vcc_lo
	global_store_b32 v[0:1], v3, off
.LBB64_116:
	s_nop 0
	s_sendmsg sendmsg(MSG_DEALLOC_VGPRS)
	s_endpgm
	.section	.rodata,"a",@progbits
	.p2align	6, 0x0
	.amdhsa_kernel _ZN9rocsparseL22csrmvn_adaptive_kernelIiiDF16_DF16_ffEEvbT_PKS1_PjPKT0_NS_24const_host_device_scalarIT4_EES3_S7_PKT1_PKT2_SA_PT3_21rocsparse_index_base_b
		.amdhsa_group_segment_fixed_size 4096
		.amdhsa_private_segment_fixed_size 0
		.amdhsa_kernarg_size 96
		.amdhsa_user_sgpr_count 15
		.amdhsa_user_sgpr_dispatch_ptr 0
		.amdhsa_user_sgpr_queue_ptr 0
		.amdhsa_user_sgpr_kernarg_segment_ptr 1
		.amdhsa_user_sgpr_dispatch_id 0
		.amdhsa_user_sgpr_private_segment_size 0
		.amdhsa_wavefront_size32 1
		.amdhsa_uses_dynamic_stack 0
		.amdhsa_enable_private_segment 0
		.amdhsa_system_sgpr_workgroup_id_x 1
		.amdhsa_system_sgpr_workgroup_id_y 0
		.amdhsa_system_sgpr_workgroup_id_z 0
		.amdhsa_system_sgpr_workgroup_info 0
		.amdhsa_system_vgpr_workitem_id 0
		.amdhsa_next_free_vgpr 16
		.amdhsa_next_free_sgpr 46
		.amdhsa_reserve_vcc 1
		.amdhsa_float_round_mode_32 0
		.amdhsa_float_round_mode_16_64 0
		.amdhsa_float_denorm_mode_32 3
		.amdhsa_float_denorm_mode_16_64 3
		.amdhsa_dx10_clamp 1
		.amdhsa_ieee_mode 1
		.amdhsa_fp16_overflow 0
		.amdhsa_workgroup_processor_mode 1
		.amdhsa_memory_ordered 1
		.amdhsa_forward_progress 0
		.amdhsa_shared_vgpr_count 0
		.amdhsa_exception_fp_ieee_invalid_op 0
		.amdhsa_exception_fp_denorm_src 0
		.amdhsa_exception_fp_ieee_div_zero 0
		.amdhsa_exception_fp_ieee_overflow 0
		.amdhsa_exception_fp_ieee_underflow 0
		.amdhsa_exception_fp_ieee_inexact 0
		.amdhsa_exception_int_div_zero 0
	.end_amdhsa_kernel
	.section	.text._ZN9rocsparseL22csrmvn_adaptive_kernelIiiDF16_DF16_ffEEvbT_PKS1_PjPKT0_NS_24const_host_device_scalarIT4_EES3_S7_PKT1_PKT2_SA_PT3_21rocsparse_index_base_b,"axG",@progbits,_ZN9rocsparseL22csrmvn_adaptive_kernelIiiDF16_DF16_ffEEvbT_PKS1_PjPKT0_NS_24const_host_device_scalarIT4_EES3_S7_PKT1_PKT2_SA_PT3_21rocsparse_index_base_b,comdat
.Lfunc_end64:
	.size	_ZN9rocsparseL22csrmvn_adaptive_kernelIiiDF16_DF16_ffEEvbT_PKS1_PjPKT0_NS_24const_host_device_scalarIT4_EES3_S7_PKT1_PKT2_SA_PT3_21rocsparse_index_base_b, .Lfunc_end64-_ZN9rocsparseL22csrmvn_adaptive_kernelIiiDF16_DF16_ffEEvbT_PKS1_PjPKT0_NS_24const_host_device_scalarIT4_EES3_S7_PKT1_PKT2_SA_PT3_21rocsparse_index_base_b
                                        ; -- End function
	.section	.AMDGPU.csdata,"",@progbits
; Kernel info:
; codeLenInByte = 4440
; NumSgprs: 48
; NumVgprs: 16
; ScratchSize: 0
; MemoryBound: 0
; FloatMode: 240
; IeeeMode: 1
; LDSByteSize: 4096 bytes/workgroup (compile time only)
; SGPRBlocks: 5
; VGPRBlocks: 1
; NumSGPRsForWavesPerEU: 48
; NumVGPRsForWavesPerEU: 16
; Occupancy: 16
; WaveLimiterHint : 1
; COMPUTE_PGM_RSRC2:SCRATCH_EN: 0
; COMPUTE_PGM_RSRC2:USER_SGPR: 15
; COMPUTE_PGM_RSRC2:TRAP_HANDLER: 0
; COMPUTE_PGM_RSRC2:TGID_X_EN: 1
; COMPUTE_PGM_RSRC2:TGID_Y_EN: 0
; COMPUTE_PGM_RSRC2:TGID_Z_EN: 0
; COMPUTE_PGM_RSRC2:TIDIG_COMP_CNT: 0
	.section	.text._ZN9rocsparseL27csrmvn_symm_adaptive_kernelIiiDF16_DF16_ffEEvbT_S1_PKS1_NS_24const_host_device_scalarIT4_EES3_PKT0_PKT1_PKT2_S6_PT3_21rocsparse_index_base_b,"axG",@progbits,_ZN9rocsparseL27csrmvn_symm_adaptive_kernelIiiDF16_DF16_ffEEvbT_S1_PKS1_NS_24const_host_device_scalarIT4_EES3_PKT0_PKT1_PKT2_S6_PT3_21rocsparse_index_base_b,comdat
	.globl	_ZN9rocsparseL27csrmvn_symm_adaptive_kernelIiiDF16_DF16_ffEEvbT_S1_PKS1_NS_24const_host_device_scalarIT4_EES3_PKT0_PKT1_PKT2_S6_PT3_21rocsparse_index_base_b ; -- Begin function _ZN9rocsparseL27csrmvn_symm_adaptive_kernelIiiDF16_DF16_ffEEvbT_S1_PKS1_NS_24const_host_device_scalarIT4_EES3_PKT0_PKT1_PKT2_S6_PT3_21rocsparse_index_base_b
	.p2align	8
	.type	_ZN9rocsparseL27csrmvn_symm_adaptive_kernelIiiDF16_DF16_ffEEvbT_S1_PKS1_NS_24const_host_device_scalarIT4_EES3_PKT0_PKT1_PKT2_S6_PT3_21rocsparse_index_base_b,@function
_ZN9rocsparseL27csrmvn_symm_adaptive_kernelIiiDF16_DF16_ffEEvbT_S1_PKS1_NS_24const_host_device_scalarIT4_EES3_PKT0_PKT1_PKT2_S6_PT3_21rocsparse_index_base_b: ; @_ZN9rocsparseL27csrmvn_symm_adaptive_kernelIiiDF16_DF16_ffEEvbT_S1_PKS1_NS_24const_host_device_scalarIT4_EES3_PKT0_PKT1_PKT2_S6_PT3_21rocsparse_index_base_b
; %bb.0:
	s_clause 0x2
	s_load_b64 s[20:21], s[0:1], 0x50
	s_load_b64 s[22:23], s[0:1], 0x18
	;; [unrolled: 1-line block ×3, first 2 shown]
	s_mov_b32 s2, s15
	s_waitcnt lgkmcnt(0)
	s_bitcmp1_b32 s21, 0
	s_cselect_b32 s3, -1, 0
	s_delay_alu instid0(SALU_CYCLE_1)
	s_and_b32 vcc_lo, exec_lo, s3
	s_xor_b32 s3, s3, -1
	s_cbranch_vccnz .LBB65_2
; %bb.1:
	s_load_b32 s22, s[22:23], 0x0
.LBB65_2:
	s_and_not1_b32 vcc_lo, exec_lo, s3
	s_cbranch_vccnz .LBB65_4
; %bb.3:
	s_load_b32 s4, s[4:5], 0x0
.LBB65_4:
	s_waitcnt lgkmcnt(0)
	v_cmp_neq_f32_e64 s3, s22, 0
	v_cmp_neq_f32_e64 s4, s4, 1.0
	s_delay_alu instid0(VALU_DEP_1) | instskip(NEXT) | instid1(SALU_CYCLE_1)
	s_or_b32 s3, s3, s4
	s_and_not1_b32 vcc_lo, exec_lo, s3
	s_cbranch_vccnz .LBB65_177
; %bb.5:
	s_load_b64 s[4:5], s[0:1], 0x10
	s_ashr_i32 s3, s2, 31
	v_lshlrev_b32_e32 v9, 2, v0
	v_mov_b32_e32 v1, 0
	s_lshl_b64 s[2:3], s[2:3], 2
	ds_store_2addr_stride64_b32 v9, v1, v1 offset1:4
	ds_store_2addr_stride64_b32 v9, v1, v1 offset0:8 offset1:12
	s_waitcnt lgkmcnt(0)
	s_barrier
	buffer_gl0_inv
	v_subrev_nc_u32_e32 v6, s20, v0
	s_add_u32 s2, s4, s2
	s_addc_u32 s3, s5, s3
	s_load_b64 s[18:19], s[2:3], 0x0
	s_clause 0x1
	s_load_b256 s[8:15], s[0:1], 0x20
	s_load_b64 s[16:17], s[0:1], 0x48
	s_mov_b32 s2, -1
	s_waitcnt lgkmcnt(0)
	s_sub_i32 s21, s19, s18
	s_delay_alu instid0(SALU_CYCLE_1)
	s_cmp_gt_i32 s21, 2
	s_cbranch_scc1 .LBB65_40
; %bb.6:
	s_cmp_gt_i32 s19, s18
	s_cbranch_scc1 .LBB65_8
; %bb.7:
	s_ashr_i32 s3, s18, 31
	s_mov_b32 s2, s18
	s_delay_alu instid0(SALU_CYCLE_1) | instskip(NEXT) | instid1(SALU_CYCLE_1)
	s_lshl_b64 s[2:3], s[2:3], 2
	s_add_u32 s2, s8, s2
	s_addc_u32 s3, s9, s3
	s_load_b32 s23, s[2:3], 0x0
	s_cbranch_execz .LBB65_9
	s_branch .LBB65_29
.LBB65_8:
                                        ; implicit-def: $sgpr23
	s_and_not1_b32 vcc_lo, exec_lo, s2
	s_cbranch_vccnz .LBB65_29
.LBB65_9:
	s_ashr_i32 s3, s18, 31
	s_mov_b32 s2, s18
	v_cmp_gt_u32_e32 vcc_lo, 0x100, v0
	s_lshl_b64 s[2:3], s[2:3], 2
	v_cmp_gt_u32_e64 s4, 4, v0
	s_add_u32 s2, s8, s2
	s_addc_u32 s3, s9, s3
	v_cmp_eq_u32_e64 s5, 0, v0
	s_waitcnt lgkmcnt(0)
	s_load_b32 s23, s[2:3], 0x0
	v_cmp_gt_u32_e64 s2, 64, v0
	v_cmp_gt_u32_e64 s3, 16, v0
	v_mov_b32_e32 v7, 0
	s_add_u32 s28, s8, 4
	s_addc_u32 s29, s9, 0
	s_mov_b32 s24, s18
	s_waitcnt lgkmcnt(0)
	s_mov_b32 s30, s23
	s_branch .LBB65_11
.LBB65_10:                              ;   in Loop: Header=BB65_11 Depth=1
	s_or_b32 exec_lo, exec_lo, s7
	s_add_i32 s24, s24, 1
	s_delay_alu instid0(SALU_CYCLE_1)
	s_cmp_ge_i32 s24, s19
	s_cbranch_scc1 .LBB65_29
.LBB65_11:                              ; =>This Loop Header: Depth=1
                                        ;     Child Loop BB65_13 Depth 2
                                        ;     Child Loop BB65_28 Depth 2
	s_ashr_i32 s25, s24, 31
	v_mov_b32_e32 v8, 0
	s_lshl_b64 s[26:27], s[24:25], 2
	s_mov_b32 s25, s30
	s_add_u32 s6, s28, s26
	s_addc_u32 s7, s29, s27
	v_add_nc_u32_e32 v1, s25, v6
	s_load_b32 s30, s[6:7], 0x0
	s_mov_b32 s25, exec_lo
	s_waitcnt lgkmcnt(0)
	s_sub_i32 s31, s30, s20
	s_delay_alu instid0(SALU_CYCLE_1)
	v_cmpx_gt_i32_e64 s31, v1
	s_cbranch_execz .LBB65_15
; %bb.12:                               ;   in Loop: Header=BB65_11 Depth=1
	v_ashrrev_i32_e32 v2, 31, v1
	v_mov_b32_e32 v8, 0
	s_mov_b32 s33, 0
	s_delay_alu instid0(VALU_DEP_2) | instskip(SKIP_1) | instid1(VALU_DEP_2)
	v_lshlrev_b64 v[3:4], 2, v[1:2]
	v_lshlrev_b64 v[10:11], 1, v[1:2]
	v_add_co_u32 v2, s6, s10, v3
	s_delay_alu instid0(VALU_DEP_1) | instskip(NEXT) | instid1(VALU_DEP_3)
	v_add_co_ci_u32_e64 v3, s6, s11, v4, s6
	v_add_co_u32 v4, s6, s12, v10
	s_delay_alu instid0(VALU_DEP_1)
	v_add_co_ci_u32_e64 v5, s6, s13, v11, s6
	s_set_inst_prefetch_distance 0x1
	.p2align	6
.LBB65_13:                              ;   Parent Loop BB65_11 Depth=1
                                        ; =>  This Inner Loop Header: Depth=2
	global_load_b32 v10, v[2:3], off
	v_add_nc_u32_e32 v1, 0x100, v1
	s_delay_alu instid0(VALU_DEP_1) | instskip(NEXT) | instid1(VALU_DEP_1)
	v_cmp_le_i32_e64 s7, s31, v1
	s_or_b32 s33, s7, s33
	s_waitcnt vmcnt(0)
	v_subrev_nc_u32_e32 v10, s20, v10
	s_delay_alu instid0(VALU_DEP_1) | instskip(NEXT) | instid1(VALU_DEP_1)
	v_ashrrev_i32_e32 v11, 31, v10
	v_lshlrev_b64 v[10:11], 1, v[10:11]
	s_delay_alu instid0(VALU_DEP_1) | instskip(NEXT) | instid1(VALU_DEP_1)
	v_add_co_u32 v10, s6, s14, v10
	v_add_co_ci_u32_e64 v11, s6, s15, v11, s6
	v_add_co_u32 v2, s6, 0x400, v2
	global_load_u16 v12, v[4:5], off
	global_load_u16 v10, v[10:11], off
	v_add_co_ci_u32_e64 v3, s6, 0, v3, s6
	v_add_co_u32 v4, s6, 0x200, v4
	s_delay_alu instid0(VALU_DEP_1)
	v_add_co_ci_u32_e64 v5, s6, 0, v5, s6
	s_waitcnt vmcnt(0)
	v_fma_mix_f32 v8, v12, v10, v8 op_sel_hi:[1,1,0]
	s_and_not1_b32 exec_lo, exec_lo, s33
	s_cbranch_execnz .LBB65_13
; %bb.14:                               ;   in Loop: Header=BB65_11 Depth=1
	s_set_inst_prefetch_distance 0x2
	s_or_b32 exec_lo, exec_lo, s33
.LBB65_15:                              ;   in Loop: Header=BB65_11 Depth=1
	s_delay_alu instid0(SALU_CYCLE_1)
	s_or_b32 exec_lo, exec_lo, s25
	ds_store_b32 v9, v8
	s_waitcnt lgkmcnt(0)
	s_barrier
	buffer_gl0_inv
	s_and_saveexec_b32 s6, vcc_lo
	s_cbranch_execz .LBB65_17
; %bb.16:                               ;   in Loop: Header=BB65_11 Depth=1
	ds_load_2addr_stride64_b32 v[1:2], v9 offset1:4
	ds_load_2addr_stride64_b32 v[3:4], v9 offset0:8 offset1:12
	s_waitcnt lgkmcnt(0)
	v_add_f32_e32 v2, v2, v3
	s_delay_alu instid0(VALU_DEP_1) | instskip(NEXT) | instid1(VALU_DEP_1)
	v_add_f32_e32 v2, v2, v4
	v_add_f32_e32 v1, v1, v2
	ds_store_b32 v9, v1
.LBB65_17:                              ;   in Loop: Header=BB65_11 Depth=1
	s_or_b32 exec_lo, exec_lo, s6
	s_waitcnt lgkmcnt(0)
	s_barrier
	buffer_gl0_inv
	s_and_saveexec_b32 s6, s2
	s_cbranch_execz .LBB65_19
; %bb.18:                               ;   in Loop: Header=BB65_11 Depth=1
	ds_load_2addr_stride64_b32 v[1:2], v9 offset1:1
	ds_load_2addr_stride64_b32 v[3:4], v9 offset0:2 offset1:3
	s_waitcnt lgkmcnt(0)
	v_add_f32_e32 v2, v2, v3
	s_delay_alu instid0(VALU_DEP_1) | instskip(NEXT) | instid1(VALU_DEP_1)
	v_add_f32_e32 v2, v2, v4
	v_add_f32_e32 v1, v1, v2
	ds_store_b32 v9, v1
.LBB65_19:                              ;   in Loop: Header=BB65_11 Depth=1
	s_or_b32 exec_lo, exec_lo, s6
	s_waitcnt lgkmcnt(0)
	s_barrier
	buffer_gl0_inv
	s_and_saveexec_b32 s6, s3
	s_cbranch_execz .LBB65_21
; %bb.20:                               ;   in Loop: Header=BB65_11 Depth=1
	ds_load_2addr_b32 v[1:2], v9 offset1:16
	ds_load_2addr_b32 v[3:4], v9 offset0:32 offset1:48
	s_waitcnt lgkmcnt(0)
	v_add_f32_e32 v2, v2, v3
	s_delay_alu instid0(VALU_DEP_1) | instskip(NEXT) | instid1(VALU_DEP_1)
	v_add_f32_e32 v2, v2, v4
	v_add_f32_e32 v1, v1, v2
	ds_store_b32 v9, v1
.LBB65_21:                              ;   in Loop: Header=BB65_11 Depth=1
	s_or_b32 exec_lo, exec_lo, s6
	s_waitcnt lgkmcnt(0)
	s_barrier
	buffer_gl0_inv
	s_and_saveexec_b32 s6, s4
	s_cbranch_execz .LBB65_23
; %bb.22:                               ;   in Loop: Header=BB65_11 Depth=1
	ds_load_2addr_b32 v[1:2], v9 offset1:4
	ds_load_2addr_b32 v[3:4], v9 offset0:8 offset1:12
	s_waitcnt lgkmcnt(0)
	v_add_f32_e32 v2, v2, v3
	s_delay_alu instid0(VALU_DEP_1) | instskip(NEXT) | instid1(VALU_DEP_1)
	v_add_f32_e32 v2, v2, v4
	v_add_f32_e32 v1, v1, v2
	ds_store_b32 v9, v1
.LBB65_23:                              ;   in Loop: Header=BB65_11 Depth=1
	s_or_b32 exec_lo, exec_lo, s6
	s_waitcnt lgkmcnt(0)
	s_barrier
	buffer_gl0_inv
	s_and_saveexec_b32 s6, s5
	s_cbranch_execz .LBB65_25
; %bb.24:                               ;   in Loop: Header=BB65_11 Depth=1
	ds_load_2addr_b32 v[1:2], v7 offset0:1 offset1:2
	ds_load_b32 v3, v7 offset:12
	ds_load_b32 v4, v9
	s_waitcnt lgkmcnt(2)
	v_add_f32_e32 v1, v1, v2
	s_waitcnt lgkmcnt(1)
	s_delay_alu instid0(VALU_DEP_1) | instskip(SKIP_1) | instid1(VALU_DEP_1)
	v_add_f32_e32 v1, v1, v3
	s_waitcnt lgkmcnt(0)
	v_add_f32_e32 v1, v4, v1
	ds_store_b32 v9, v1
.LBB65_25:                              ;   in Loop: Header=BB65_11 Depth=1
	s_or_b32 exec_lo, exec_lo, s6
	s_waitcnt lgkmcnt(0)
	s_barrier
	buffer_gl0_inv
	s_and_saveexec_b32 s7, s5
	s_cbranch_execz .LBB65_10
; %bb.26:                               ;   in Loop: Header=BB65_11 Depth=1
	s_mov_b32 s25, exec_lo
	s_delay_alu instid0(SALU_CYCLE_1) | instskip(NEXT) | instid1(VALU_DEP_1)
	v_mbcnt_lo_u32_b32 v1, s25, 0
	v_cmp_eq_u32_e64 s6, 0, v1
	s_delay_alu instid0(VALU_DEP_1) | instskip(NEXT) | instid1(SALU_CYCLE_1)
	s_and_b32 s6, exec_lo, s6
	s_mov_b32 exec_lo, s6
	s_cbranch_execz .LBB65_10
; %bb.27:                               ;   in Loop: Header=BB65_11 Depth=1
	s_add_u32 s26, s16, s26
	s_addc_u32 s27, s17, s27
	s_bcnt1_i32_b32 s6, s25
	global_load_b32 v2, v7, s[26:27]
	ds_load_b32 v1, v7
	v_cvt_f32_ubyte0_e32 v3, s6
	s_mov_b32 s25, 0
	s_waitcnt lgkmcnt(0)
	v_mul_f32_e32 v1, s22, v1
	s_delay_alu instid0(VALU_DEP_1)
	v_mul_f32_e32 v3, v1, v3
.LBB65_28:                              ;   Parent Loop BB65_11 Depth=1
                                        ; =>  This Inner Loop Header: Depth=2
	s_waitcnt vmcnt(0)
	s_delay_alu instid0(VALU_DEP_1) | instskip(SKIP_4) | instid1(VALU_DEP_2)
	v_add_f32_e32 v1, v2, v3
	global_atomic_cmpswap_b32 v1, v7, v[1:2], s[26:27] glc
	s_waitcnt vmcnt(0)
	v_cmp_eq_u32_e64 s6, v1, v2
	v_mov_b32_e32 v2, v1
	s_or_b32 s25, s6, s25
	s_delay_alu instid0(SALU_CYCLE_1)
	s_and_not1_b32 exec_lo, exec_lo, s25
	s_cbranch_execnz .LBB65_28
	s_branch .LBB65_10
.LBB65_29:
	s_ashr_i32 s3, s19, 31
	s_mov_b32 s2, s19
	s_waitcnt lgkmcnt(0)
	v_add_nc_u32_e32 v1, s23, v6
	s_lshl_b64 s[2:3], s[2:3], 2
	s_mov_b32 s4, exec_lo
	s_add_u32 s2, s8, s2
	s_addc_u32 s3, s9, s3
	s_load_b32 s2, s[2:3], 0x0
	s_waitcnt lgkmcnt(0)
	s_sub_i32 s3, s2, s20
	s_delay_alu instid0(SALU_CYCLE_1)
	v_cmpx_gt_i32_e64 s3, v1
	s_cbranch_execz .LBB65_39
; %bb.30:
	s_add_i32 s5, s19, -1
	s_mov_b32 s7, 0
	s_cmp_gt_i32 s5, s18
	s_cselect_b32 s2, -1, 0
	s_add_i32 s6, s19, -2
	s_delay_alu instid0(SALU_CYCLE_1) | instskip(SKIP_1) | instid1(SALU_CYCLE_1)
	s_cmp_lg_u32 s6, s18
	s_cselect_b32 s6, -1, 0
	s_and_b32 s6, s2, s6
	s_branch .LBB65_32
.LBB65_31:                              ;   in Loop: Header=BB65_32 Depth=1
	s_or_b32 exec_lo, exec_lo, s2
	v_add_nc_u32_e32 v1, 0x100, v1
	s_delay_alu instid0(VALU_DEP_1) | instskip(SKIP_1) | instid1(SALU_CYCLE_1)
	v_cmp_le_i32_e32 vcc_lo, s3, v1
	s_or_b32 s7, vcc_lo, s7
	s_and_not1_b32 exec_lo, exec_lo, s7
	s_cbranch_execz .LBB65_39
.LBB65_32:                              ; =>This Loop Header: Depth=1
                                        ;     Child Loop BB65_34 Depth 2
                                        ;     Child Loop BB65_38 Depth 2
	v_mov_b32_e32 v5, s18
	v_mov_b32_e32 v3, s5
	s_and_not1_b32 vcc_lo, exec_lo, s6
	s_cbranch_vccnz .LBB65_36
; %bb.33:                               ;   in Loop: Header=BB65_32 Depth=1
	v_mov_b32_e32 v5, s18
	v_mov_b32_e32 v3, s5
	s_mov_b32 s23, 0
	.p2align	6
.LBB65_34:                              ;   Parent Loop BB65_32 Depth=1
                                        ; =>  This Inner Loop Header: Depth=2
	s_delay_alu instid0(VALU_DEP_1) | instskip(NEXT) | instid1(VALU_DEP_1)
	v_add_nc_u32_e32 v2, v3, v5
	v_lshrrev_b32_e32 v4, 31, v2
	s_delay_alu instid0(VALU_DEP_1) | instskip(NEXT) | instid1(VALU_DEP_1)
	v_add_nc_u32_e32 v2, v2, v4
	v_ashrrev_i32_e32 v7, 1, v2
	s_delay_alu instid0(VALU_DEP_1) | instskip(NEXT) | instid1(VALU_DEP_1)
	v_ashrrev_i32_e32 v8, 31, v7
	v_lshlrev_b64 v[10:11], 2, v[7:8]
	s_delay_alu instid0(VALU_DEP_1) | instskip(NEXT) | instid1(VALU_DEP_2)
	v_add_co_u32 v10, vcc_lo, s8, v10
	v_add_co_ci_u32_e32 v11, vcc_lo, s9, v11, vcc_lo
	global_load_b32 v2, v[10:11], off
	s_waitcnt vmcnt(0)
	v_subrev_nc_u32_e32 v2, s20, v2
	s_delay_alu instid0(VALU_DEP_1) | instskip(SKIP_1) | instid1(VALU_DEP_1)
	v_cmp_gt_i32_e32 vcc_lo, v2, v1
	v_cndmask_b32_e32 v3, v3, v7, vcc_lo
	v_dual_cndmask_b32 v5, v7, v5 :: v_dual_add_nc_u32 v2, -1, v3
	s_delay_alu instid0(VALU_DEP_1) | instskip(NEXT) | instid1(VALU_DEP_2)
	v_cmp_ge_i32_e32 vcc_lo, v5, v3
	v_cmp_eq_u32_e64 s2, v5, v2
	s_delay_alu instid0(VALU_DEP_1) | instskip(NEXT) | instid1(SALU_CYCLE_1)
	s_or_b32 s2, vcc_lo, s2
	s_and_b32 s2, exec_lo, s2
	s_delay_alu instid0(SALU_CYCLE_1) | instskip(NEXT) | instid1(SALU_CYCLE_1)
	s_or_b32 s23, s2, s23
	s_and_not1_b32 exec_lo, exec_lo, s23
	s_cbranch_execnz .LBB65_34
; %bb.35:                               ;   in Loop: Header=BB65_32 Depth=1
	s_or_b32 exec_lo, exec_lo, s23
.LBB65_36:                              ;   in Loop: Header=BB65_32 Depth=1
	s_delay_alu instid0(VALU_DEP_1) | instskip(SKIP_2) | instid1(VALU_DEP_2)
	v_ashrrev_i32_e32 v4, 31, v3
	v_ashrrev_i32_e32 v2, 31, v1
	s_mov_b32 s2, exec_lo
	v_lshlrev_b64 v[7:8], 2, v[3:4]
	s_delay_alu instid0(VALU_DEP_2) | instskip(NEXT) | instid1(VALU_DEP_2)
	v_lshlrev_b64 v[10:11], 2, v[1:2]
	v_add_co_u32 v7, vcc_lo, s8, v7
	s_delay_alu instid0(VALU_DEP_3)
	v_add_co_ci_u32_e32 v8, vcc_lo, s9, v8, vcc_lo
	global_load_b32 v4, v[7:8], off
	v_add_co_u32 v7, vcc_lo, s10, v10
	v_add_co_ci_u32_e32 v8, vcc_lo, s11, v11, vcc_lo
	global_load_b32 v7, v[7:8], off
	s_waitcnt vmcnt(1)
	v_subrev_nc_u32_e32 v4, s20, v4
	s_delay_alu instid0(VALU_DEP_1) | instskip(SKIP_3) | instid1(VALU_DEP_1)
	v_cmp_gt_i32_e32 vcc_lo, v4, v1
	v_cndmask_b32_e32 v4, v3, v5, vcc_lo
	s_waitcnt vmcnt(0)
	v_subrev_nc_u32_e32 v3, s20, v7
	v_cmpx_ne_u32_e64 v3, v4
	s_cbranch_execz .LBB65_31
; %bb.37:                               ;   in Loop: Header=BB65_32 Depth=1
	v_lshlrev_b64 v[7:8], 1, v[1:2]
	v_ashrrev_i32_e32 v5, 31, v4
	s_mov_b32 s23, 0
	s_delay_alu instid0(VALU_DEP_1) | instskip(NEXT) | instid1(VALU_DEP_3)
	v_lshlrev_b64 v[10:11], 1, v[4:5]
	v_add_co_u32 v7, vcc_lo, s12, v7
	s_delay_alu instid0(VALU_DEP_4)
	v_add_co_ci_u32_e32 v8, vcc_lo, s13, v8, vcc_lo
	v_ashrrev_i32_e32 v4, 31, v3
	global_load_u16 v12, v[7:8], off
	v_add_co_u32 v7, vcc_lo, s14, v10
	v_add_co_ci_u32_e32 v8, vcc_lo, s15, v11, vcc_lo
	v_lshlrev_b64 v[2:3], 2, v[3:4]
	global_load_u16 v4, v[7:8], off
	v_add_co_u32 v2, vcc_lo, s16, v2
	v_add_co_ci_u32_e32 v3, vcc_lo, s17, v3, vcc_lo
	global_load_b32 v5, v[2:3], off
	s_waitcnt vmcnt(2)
	v_cvt_f32_f16_e32 v7, v12
	s_delay_alu instid0(VALU_DEP_1) | instskip(SKIP_2) | instid1(VALU_DEP_1)
	v_mul_f32_e32 v7, s22, v7
	s_waitcnt vmcnt(1)
	v_cvt_f32_f16_e32 v4, v4
	v_mul_f32_e32 v7, v7, v4
.LBB65_38:                              ;   Parent Loop BB65_32 Depth=1
                                        ; =>  This Inner Loop Header: Depth=2
	s_waitcnt vmcnt(0)
	s_delay_alu instid0(VALU_DEP_1)
	v_add_f32_e32 v4, v5, v7
	global_atomic_cmpswap_b32 v4, v[2:3], v[4:5], off glc
	s_waitcnt vmcnt(0)
	v_cmp_eq_u32_e32 vcc_lo, v4, v5
	v_mov_b32_e32 v5, v4
	s_or_b32 s23, vcc_lo, s23
	s_delay_alu instid0(SALU_CYCLE_1)
	s_and_not1_b32 exec_lo, exec_lo, s23
	s_cbranch_execnz .LBB65_38
	s_branch .LBB65_31
.LBB65_39:
	s_or_b32 exec_lo, exec_lo, s4
	s_mov_b32 s2, 0
.LBB65_40:
	s_delay_alu instid0(SALU_CYCLE_1)
	s_and_b32 vcc_lo, exec_lo, s2
	s_cbranch_vccz .LBB65_177
; %bb.41:
	s_ashr_i32 s3, s18, 31
	s_mov_b32 s2, s18
	s_sub_i32 s7, 0, s21
	s_lshl_b64 s[2:3], s[2:3], 2
	v_cvt_f32_u32_e32 v1, s21
	s_add_u32 s2, s8, s2
	s_addc_u32 s3, s9, s3
	s_load_b32 s23, s[2:3], 0x0
	s_delay_alu instid0(VALU_DEP_1)
	v_rcp_iflag_f32_e32 v1, v1
	s_clause 0x1
	s_load_b64 s[4:5], s[0:1], 0x4
	s_load_b32 s1, s[0:1], 0x64
	s_waitcnt lgkmcnt(0)
	s_waitcnt_depctr 0xfff
	v_dual_mul_f32 v2, 0x4f7ffffe, v1 :: v_dual_add_nc_u32 v1, s23, v6
	s_delay_alu instid0(VALU_DEP_1) | instskip(NEXT) | instid1(VALU_DEP_2)
	v_cvt_u32_f32_e32 v2, v2
	v_add_nc_u32_e32 v10, 0x300, v1
	s_delay_alu instid0(VALU_DEP_2) | instskip(NEXT) | instid1(VALU_DEP_2)
	v_readfirstlane_b32 s6, v2
	v_cmp_le_i32_e32 vcc_lo, s4, v10
	s_delay_alu instid0(VALU_DEP_2) | instskip(NEXT) | instid1(SALU_CYCLE_1)
	s_mul_i32 s7, s7, s6
	s_mul_hi_u32 s4, s6, s7
	s_and_saveexec_b32 s0, vcc_lo
	s_delay_alu instid0(SALU_CYCLE_1)
	s_xor_b32 s7, exec_lo, s0
	s_cbranch_execz .LBB65_46
; %bb.42:
	s_ashr_i32 s25, s19, 31
	s_mov_b32 s24, s19
	s_delay_alu instid0(SALU_CYCLE_1) | instskip(NEXT) | instid1(SALU_CYCLE_1)
	s_lshl_b64 s[24:25], s[24:25], 2
	s_add_u32 s24, s8, s24
	s_addc_u32 s25, s9, s25
	s_load_b32 s0, s[24:25], 0x0
	s_mov_b32 s25, exec_lo
	s_waitcnt lgkmcnt(0)
	s_sub_i32 s24, s0, s23
	s_delay_alu instid0(SALU_CYCLE_1)
	v_cmpx_gt_i32_e64 s24, v0
	s_cbranch_execz .LBB65_45
; %bb.43:
	v_dual_mov_b32 v2, v0 :: v_dual_mov_b32 v3, v9
	s_sub_i32 s26, s23, s20
	s_mov_b32 s27, 0
	.p2align	6
.LBB65_44:                              ; =>This Inner Loop Header: Depth=1
	s_delay_alu instid0(VALU_DEP_1) | instskip(SKIP_1) | instid1(VALU_DEP_2)
	v_add_nc_u32_e32 v4, s26, v2
	v_add_nc_u32_e32 v2, 0x100, v2
	v_ashrrev_i32_e32 v5, 31, v4
	s_delay_alu instid0(VALU_DEP_1) | instskip(NEXT) | instid1(VALU_DEP_1)
	v_lshlrev_b64 v[4:5], 1, v[4:5]
	v_add_co_u32 v4, s0, s12, v4
	s_delay_alu instid0(VALU_DEP_1)
	v_add_co_ci_u32_e64 v5, s0, s13, v5, s0
	v_cmp_le_i32_e64 s0, s24, v2
	global_load_u16 v4, v[4:5], off
	s_or_b32 s27, s0, s27
	s_waitcnt vmcnt(0)
	v_cvt_f32_f16_e32 v4, v4
	s_delay_alu instid0(VALU_DEP_1)
	v_mul_f32_e32 v4, s22, v4
	ds_store_b32 v3, v4
	v_add_nc_u32_e32 v3, 0x400, v3
	s_and_not1_b32 exec_lo, exec_lo, s27
	s_cbranch_execnz .LBB65_44
.LBB65_45:
	s_or_b32 exec_lo, exec_lo, s25
.LBB65_46:
	s_or_saveexec_b32 s7, s7
	v_ashrrev_i32_e32 v2, 31, v1
	s_and_b32 s1, s1, 0xffff
	s_add_i32 s6, s6, s4
	s_xor_b32 exec_lo, exec_lo, s7
	s_cbranch_execz .LBB65_48
; %bb.47:
	v_lshlrev_b64 v[3:4], 1, v[1:2]
	s_delay_alu instid0(VALU_DEP_1) | instskip(NEXT) | instid1(VALU_DEP_1)
	v_add_co_u32 v3, s0, s12, v3
	v_add_co_ci_u32_e64 v4, s0, s13, v4, s0
	s_clause 0x3
	global_load_u16 v5, v[3:4], off
	global_load_u16 v6, v[3:4], off offset:512
	global_load_u16 v7, v[3:4], off offset:1024
	;; [unrolled: 1-line block ×3, first 2 shown]
	s_waitcnt vmcnt(3)
	v_cvt_f32_f16_e32 v4, v5
	s_waitcnt vmcnt(2)
	v_cvt_f32_f16_e32 v5, v6
	;; [unrolled: 2-line block ×4, first 2 shown]
	v_dual_mul_f32 v4, s22, v4 :: v_dual_mul_f32 v5, s22, v5
	s_delay_alu instid0(VALU_DEP_2)
	v_dual_mul_f32 v6, s22, v6 :: v_dual_mul_f32 v3, s22, v3
	ds_store_2addr_stride64_b32 v9, v4, v5 offset1:4
	ds_store_2addr_stride64_b32 v9, v6, v3 offset0:8 offset1:12
.LBB65_48:
	s_or_b32 exec_lo, exec_lo, s7
	s_mul_hi_u32 s4, s1, s6
	s_mov_b32 s6, exec_lo
	v_cmpx_gt_i32_e64 s5, v0
	s_cbranch_execz .LBB65_51
; %bb.49:
	v_lshl_add_u32 v3, v0, 2, 0x1000
	v_dual_mov_b32 v4, 0 :: v_dual_mov_b32 v5, v0
	s_mov_b32 s7, 0
.LBB65_50:                              ; =>This Inner Loop Header: Depth=1
	s_delay_alu instid0(VALU_DEP_1) | instskip(SKIP_3) | instid1(VALU_DEP_1)
	v_add_nc_u32_e32 v5, 0x100, v5
	ds_store_b32 v3, v4
	v_add_nc_u32_e32 v3, 0x400, v3
	v_cmp_le_i32_e64 s0, s5, v5
	s_or_b32 s7, s0, s7
	s_delay_alu instid0(SALU_CYCLE_1)
	s_and_not1_b32 exec_lo, exec_lo, s7
	s_cbranch_execnz .LBB65_50
.LBB65_51:
	s_or_b32 exec_lo, exec_lo, s6
	s_sub_i32 s0, s19, s5
	s_cmp_ge_i32 s19, s5
	s_waitcnt lgkmcnt(0)
	s_cselect_b32 s12, s0, 0
	s_barrier
	buffer_gl0_inv
	s_and_saveexec_b32 s0, vcc_lo
	s_delay_alu instid0(SALU_CYCLE_1)
	s_xor_b32 s6, exec_lo, s0
	s_cbranch_execz .LBB65_70
; %bb.52:
	s_ashr_i32 s25, s19, 31
	s_mov_b32 s24, s19
	s_mov_b32 s13, exec_lo
	s_lshl_b64 s[24:25], s[24:25], 2
	s_delay_alu instid0(SALU_CYCLE_1) | instskip(SKIP_4) | instid1(SALU_CYCLE_1)
	s_add_u32 s24, s8, s24
	s_addc_u32 s25, s9, s25
	s_load_b32 s0, s[24:25], 0x0
	s_waitcnt lgkmcnt(0)
	s_sub_i32 s7, s0, s23
	v_cmpx_gt_i32_e64 s7, v0
	s_cbranch_execz .LBB65_69
; %bb.53:
	s_add_i32 s22, s19, -1
	s_mov_b32 s26, 0
	s_cmp_gt_i32 s22, s18
	s_mov_b32 s27, 0
	s_cselect_b32 s24, -1, 0
	s_add_i32 s25, s19, -2
	s_delay_alu instid0(SALU_CYCLE_1) | instskip(SKIP_1) | instid1(SALU_CYCLE_1)
	s_cmp_lg_u32 s25, s18
	s_cselect_b32 s25, -1, 0
	s_and_b32 s24, s24, s25
	s_sub_i32 s25, s0, s20
	s_branch .LBB65_56
.LBB65_54:                              ;   in Loop: Header=BB65_56 Depth=1
	s_or_b32 exec_lo, exec_lo, s0
.LBB65_55:                              ;   in Loop: Header=BB65_56 Depth=1
	s_delay_alu instid0(SALU_CYCLE_1) | instskip(SKIP_2) | instid1(VALU_DEP_1)
	s_or_b32 exec_lo, exec_lo, s28
	v_ashrrev_i32_e32 v3, 31, v2
	s_addk_i32 s27, 0x100
	v_lshlrev_b64 v[2:3], 1, v[2:3]
	s_delay_alu instid0(VALU_DEP_1) | instskip(NEXT) | instid1(VALU_DEP_2)
	v_add_co_u32 v2, vcc_lo, s14, v2
	v_add_co_ci_u32_e32 v3, vcc_lo, s15, v3, vcc_lo
	global_load_u16 v2, v[2:3], off
	s_waitcnt vmcnt(0)
	v_cvt_f32_f16_e32 v2, v2
	s_waitcnt lgkmcnt(0)
	s_delay_alu instid0(VALU_DEP_1) | instskip(NEXT) | instid1(VALU_DEP_1)
	v_dual_mul_f32 v2, v8, v2 :: v_dual_add_nc_u32 v3, s27, v0
	v_cmp_le_i32_e32 vcc_lo, s7, v3
	ds_store_b32 v7, v2
	s_or_b32 s26, vcc_lo, s26
	s_delay_alu instid0(SALU_CYCLE_1)
	s_and_not1_b32 exec_lo, exec_lo, s26
	s_cbranch_execz .LBB65_69
.LBB65_56:                              ; =>This Loop Header: Depth=1
                                        ;     Child Loop BB65_58 Depth 2
                                        ;     Child Loop BB65_65 Depth 2
	v_add_nc_u32_e32 v3, s27, v1
	v_mov_b32_e32 v7, s18
	v_mov_b32_e32 v5, s22
	s_and_not1_b32 vcc_lo, exec_lo, s24
	s_cbranch_vccnz .LBB65_60
; %bb.57:                               ;   in Loop: Header=BB65_56 Depth=1
	v_mov_b32_e32 v7, s18
	v_mov_b32_e32 v5, s22
	s_mov_b32 s28, 0
	.p2align	6
.LBB65_58:                              ;   Parent Loop BB65_56 Depth=1
                                        ; =>  This Inner Loop Header: Depth=2
	s_delay_alu instid0(VALU_DEP_1) | instskip(NEXT) | instid1(VALU_DEP_1)
	v_add_nc_u32_e32 v2, v5, v7
	v_lshrrev_b32_e32 v4, 31, v2
	s_delay_alu instid0(VALU_DEP_1) | instskip(NEXT) | instid1(VALU_DEP_1)
	v_add_nc_u32_e32 v2, v2, v4
	v_ashrrev_i32_e32 v10, 1, v2
	s_delay_alu instid0(VALU_DEP_1) | instskip(NEXT) | instid1(VALU_DEP_1)
	v_ashrrev_i32_e32 v11, 31, v10
	v_lshlrev_b64 v[11:12], 2, v[10:11]
	s_delay_alu instid0(VALU_DEP_1) | instskip(NEXT) | instid1(VALU_DEP_2)
	v_add_co_u32 v11, vcc_lo, s8, v11
	v_add_co_ci_u32_e32 v12, vcc_lo, s9, v12, vcc_lo
	global_load_b32 v2, v[11:12], off
	s_waitcnt vmcnt(0)
	v_subrev_nc_u32_e32 v2, s20, v2
	s_delay_alu instid0(VALU_DEP_1) | instskip(SKIP_1) | instid1(VALU_DEP_1)
	v_cmp_gt_i32_e32 vcc_lo, v2, v3
	v_cndmask_b32_e32 v5, v5, v10, vcc_lo
	v_dual_cndmask_b32 v7, v10, v7 :: v_dual_add_nc_u32 v2, -1, v5
	s_delay_alu instid0(VALU_DEP_1) | instskip(NEXT) | instid1(VALU_DEP_2)
	v_cmp_ge_i32_e32 vcc_lo, v7, v5
	v_cmp_eq_u32_e64 s0, v7, v2
	s_delay_alu instid0(VALU_DEP_1) | instskip(NEXT) | instid1(SALU_CYCLE_1)
	s_or_b32 s0, vcc_lo, s0
	s_and_b32 s0, exec_lo, s0
	s_delay_alu instid0(SALU_CYCLE_1) | instskip(NEXT) | instid1(SALU_CYCLE_1)
	s_or_b32 s28, s0, s28
	s_and_not1_b32 exec_lo, exec_lo, s28
	s_cbranch_execnz .LBB65_58
; %bb.59:                               ;   in Loop: Header=BB65_56 Depth=1
	s_or_b32 exec_lo, exec_lo, s28
.LBB65_60:                              ;   in Loop: Header=BB65_56 Depth=1
	s_delay_alu instid0(VALU_DEP_1) | instskip(SKIP_2) | instid1(VALU_DEP_3)
	v_ashrrev_i32_e32 v6, 31, v5
	v_ashrrev_i32_e32 v4, 31, v3
	v_cmp_le_i32_e64 s0, s25, v3
                                        ; implicit-def: $vgpr8
	v_lshlrev_b64 v[10:11], 2, v[5:6]
	s_delay_alu instid0(VALU_DEP_3) | instskip(NEXT) | instid1(VALU_DEP_2)
	v_lshlrev_b64 v[12:13], 2, v[3:4]
	v_add_co_u32 v10, vcc_lo, s8, v10
	s_delay_alu instid0(VALU_DEP_3) | instskip(NEXT) | instid1(VALU_DEP_3)
	v_add_co_ci_u32_e32 v11, vcc_lo, s9, v11, vcc_lo
	v_add_co_u32 v12, vcc_lo, s10, v12
	s_delay_alu instid0(VALU_DEP_4)
	v_add_co_ci_u32_e32 v13, vcc_lo, s11, v13, vcc_lo
	global_load_b32 v2, v[10:11], off
	global_load_b32 v4, v[12:13], off
	s_waitcnt vmcnt(1)
	v_subrev_nc_u32_e32 v6, s20, v2
	s_waitcnt vmcnt(0)
	v_subrev_nc_u32_e32 v2, s20, v4
	s_delay_alu instid0(VALU_DEP_2) | instskip(SKIP_2) | instid1(VALU_DEP_2)
	v_cmp_gt_i32_e32 vcc_lo, v6, v3
	v_cndmask_b32_e32 v4, v5, v7, vcc_lo
	v_lshl_add_u32 v7, s27, 2, v9
	v_cmp_eq_u32_e32 vcc_lo, v2, v4
	s_or_b32 s0, vcc_lo, s0
	s_delay_alu instid0(SALU_CYCLE_1) | instskip(NEXT) | instid1(SALU_CYCLE_1)
	s_and_saveexec_b32 s28, s0
	s_xor_b32 s0, exec_lo, s28
	s_cbranch_execz .LBB65_62
; %bb.61:                               ;   in Loop: Header=BB65_56 Depth=1
	ds_load_b32 v8, v7
                                        ; implicit-def: $vgpr4
.LBB65_62:                              ;   in Loop: Header=BB65_56 Depth=1
	s_and_not1_saveexec_b32 s28, s0
	s_cbranch_execz .LBB65_55
; %bb.63:                               ;   in Loop: Header=BB65_56 Depth=1
	v_ashrrev_i32_e32 v5, 31, v4
	s_waitcnt lgkmcnt(0)
	ds_load_b32 v8, v7
	v_cmp_le_i32_e64 s0, s19, v2
	v_lshlrev_b64 v[3:4], 1, v[4:5]
	s_delay_alu instid0(VALU_DEP_1) | instskip(NEXT) | instid1(VALU_DEP_2)
	v_add_co_u32 v3, vcc_lo, s14, v3
	v_add_co_ci_u32_e32 v4, vcc_lo, s15, v4, vcc_lo
	v_cmp_gt_i32_e32 vcc_lo, s12, v2
	global_load_u16 v3, v[3:4], off
	s_or_b32 s0, vcc_lo, s0
	s_waitcnt vmcnt(0)
	v_cvt_f32_f16_e32 v3, v3
	s_waitcnt lgkmcnt(0)
	s_delay_alu instid0(VALU_DEP_1) | instskip(SKIP_1) | instid1(SALU_CYCLE_1)
	v_mul_f32_e32 v10, v8, v3
	s_and_saveexec_b32 s29, s0
	s_xor_b32 s0, exec_lo, s29
	s_cbranch_execz .LBB65_67
; %bb.64:                               ;   in Loop: Header=BB65_56 Depth=1
	v_ashrrev_i32_e32 v3, 31, v2
	s_mov_b32 s29, 0
	s_delay_alu instid0(VALU_DEP_1) | instskip(NEXT) | instid1(VALU_DEP_1)
	v_lshlrev_b64 v[3:4], 2, v[2:3]
	v_add_co_u32 v3, vcc_lo, s16, v3
	s_delay_alu instid0(VALU_DEP_2)
	v_add_co_ci_u32_e32 v4, vcc_lo, s17, v4, vcc_lo
	global_load_b32 v6, v[3:4], off
.LBB65_65:                              ;   Parent Loop BB65_56 Depth=1
                                        ; =>  This Inner Loop Header: Depth=2
	s_waitcnt vmcnt(0)
	v_add_f32_e32 v5, v6, v10
	global_atomic_cmpswap_b32 v5, v[3:4], v[5:6], off glc
	s_waitcnt vmcnt(0)
	v_cmp_eq_u32_e32 vcc_lo, v5, v6
	v_mov_b32_e32 v6, v5
	s_or_b32 s29, vcc_lo, s29
	s_delay_alu instid0(SALU_CYCLE_1)
	s_and_not1_b32 exec_lo, exec_lo, s29
	s_cbranch_execnz .LBB65_65
; %bb.66:                               ;   in Loop: Header=BB65_56 Depth=1
	s_or_b32 exec_lo, exec_lo, s29
                                        ; implicit-def: $vgpr10
.LBB65_67:                              ;   in Loop: Header=BB65_56 Depth=1
	s_and_not1_saveexec_b32 s0, s0
	s_cbranch_execz .LBB65_54
; %bb.68:                               ;   in Loop: Header=BB65_56 Depth=1
	v_subrev_nc_u32_e32 v3, s12, v2
	s_delay_alu instid0(VALU_DEP_1)
	v_lshl_add_u32 v3, v3, 2, 0x1000
	ds_add_f32 v3, v10
	s_branch .LBB65_54
.LBB65_69:
	s_or_b32 exec_lo, exec_lo, s13
                                        ; implicit-def: $vgpr10
                                        ; implicit-def: $vgpr1
.LBB65_70:
	s_and_not1_saveexec_b32 s13, s6
	s_cbranch_execz .LBB65_136
; %bb.71:
	s_add_i32 s22, s19, -1
	v_mov_b32_e32 v6, s18
	s_cmp_le_i32 s22, s18
	v_mov_b32_e32 v4, s22
	s_cselect_b32 s0, -1, 0
	s_add_i32 s6, s19, -2
	s_delay_alu instid0(SALU_CYCLE_1) | instskip(SKIP_1) | instid1(SALU_CYCLE_1)
	s_cmp_eq_u32 s6, s18
	s_cselect_b32 s6, -1, 0
	s_or_b32 s6, s0, s6
	s_delay_alu instid0(SALU_CYCLE_1)
	s_and_b32 vcc_lo, exec_lo, s6
	s_cbranch_vccnz .LBB65_75
; %bb.72:
	v_mov_b32_e32 v6, s18
	v_mov_b32_e32 v4, s22
	s_mov_b32 s7, 0
	.p2align	6
.LBB65_73:                              ; =>This Inner Loop Header: Depth=1
	s_delay_alu instid0(VALU_DEP_1) | instskip(NEXT) | instid1(VALU_DEP_1)
	v_add_nc_u32_e32 v3, v4, v6
	v_lshrrev_b32_e32 v5, 31, v3
	s_delay_alu instid0(VALU_DEP_1) | instskip(NEXT) | instid1(VALU_DEP_1)
	v_add_nc_u32_e32 v3, v3, v5
	v_ashrrev_i32_e32 v7, 1, v3
	s_delay_alu instid0(VALU_DEP_1) | instskip(NEXT) | instid1(VALU_DEP_1)
	v_ashrrev_i32_e32 v8, 31, v7
	v_lshlrev_b64 v[11:12], 2, v[7:8]
	s_delay_alu instid0(VALU_DEP_1) | instskip(NEXT) | instid1(VALU_DEP_2)
	v_add_co_u32 v11, vcc_lo, s8, v11
	v_add_co_ci_u32_e32 v12, vcc_lo, s9, v12, vcc_lo
	global_load_b32 v3, v[11:12], off
	s_waitcnt vmcnt(0)
	v_subrev_nc_u32_e32 v3, s20, v3
	s_delay_alu instid0(VALU_DEP_1) | instskip(SKIP_1) | instid1(VALU_DEP_1)
	v_cmp_gt_i32_e32 vcc_lo, v3, v1
	v_cndmask_b32_e32 v4, v4, v7, vcc_lo
	v_dual_cndmask_b32 v6, v7, v6 :: v_dual_add_nc_u32 v3, -1, v4
	s_delay_alu instid0(VALU_DEP_1) | instskip(NEXT) | instid1(VALU_DEP_2)
	v_cmp_ge_i32_e32 vcc_lo, v6, v4
	v_cmp_eq_u32_e64 s0, v6, v3
	s_delay_alu instid0(VALU_DEP_1) | instskip(NEXT) | instid1(SALU_CYCLE_1)
	s_or_b32 s0, vcc_lo, s0
	s_and_b32 s0, exec_lo, s0
	s_delay_alu instid0(SALU_CYCLE_1) | instskip(NEXT) | instid1(SALU_CYCLE_1)
	s_or_b32 s7, s0, s7
	s_and_not1_b32 exec_lo, exec_lo, s7
	s_cbranch_execnz .LBB65_73
; %bb.74:
	s_or_b32 exec_lo, exec_lo, s7
.LBB65_75:
	v_ashrrev_i32_e32 v5, 31, v4
	v_lshlrev_b64 v[2:3], 2, v[1:2]
	s_xor_b32 s24, s6, -1
	s_ashr_i32 s7, s19, 31
	s_mov_b32 s6, s19
	v_lshlrev_b64 v[7:8], 2, v[4:5]
	s_lshl_b64 s[6:7], s[6:7], 2
                                        ; implicit-def: $vgpr12
	s_mov_b32 s0, exec_lo
	s_add_u32 s6, s8, s6
	s_addc_u32 s7, s9, s7
	s_delay_alu instid0(VALU_DEP_1)
	v_add_co_u32 v7, vcc_lo, s8, v7
	v_add_co_ci_u32_e32 v8, vcc_lo, s9, v8, vcc_lo
	v_add_co_u32 v2, vcc_lo, s10, v2
	v_add_co_ci_u32_e32 v3, vcc_lo, s11, v3, vcc_lo
	global_load_b32 v5, v[7:8], off
	global_load_b32 v7, v[2:3], off
	s_waitcnt vmcnt(1)
	v_subrev_nc_u32_e32 v5, s20, v5
	s_delay_alu instid0(VALU_DEP_1) | instskip(SKIP_3) | instid1(VALU_DEP_1)
	v_cmp_gt_i32_e32 vcc_lo, v5, v1
	v_cndmask_b32_e32 v5, v4, v6, vcc_lo
	s_waitcnt vmcnt(0)
	v_subrev_nc_u32_e32 v4, s20, v7
	v_cmpx_ne_u32_e64 v4, v5
	s_xor_b32 s10, exec_lo, s0
	s_cbranch_execz .LBB65_85
; %bb.76:
	s_load_b32 s0, s[6:7], 0x0
	ds_load_b32 v12, v9
	s_mov_b32 s11, exec_lo
	s_waitcnt lgkmcnt(0)
	s_sub_i32 s0, s0, s20
	s_delay_alu instid0(SALU_CYCLE_1)
	v_cmpx_gt_i32_e64 s0, v1
	s_cbranch_execz .LBB65_84
; %bb.77:
	v_ashrrev_i32_e32 v6, 31, v5
	v_cmp_le_i32_e64 s0, s19, v4
	s_delay_alu instid0(VALU_DEP_2) | instskip(NEXT) | instid1(VALU_DEP_1)
	v_lshlrev_b64 v[5:6], 1, v[5:6]
	v_add_co_u32 v5, vcc_lo, s14, v5
	s_delay_alu instid0(VALU_DEP_2)
	v_add_co_ci_u32_e32 v6, vcc_lo, s15, v6, vcc_lo
	v_cmp_gt_i32_e32 vcc_lo, s12, v4
	global_load_u16 v5, v[5:6], off
	s_or_b32 s0, vcc_lo, s0
	s_waitcnt vmcnt(0)
	v_cvt_f32_f16_e32 v5, v5
	s_delay_alu instid0(VALU_DEP_1) | instskip(SKIP_1) | instid1(SALU_CYCLE_1)
	v_mul_f32_e32 v11, v12, v5
	s_and_saveexec_b32 s25, s0
	s_xor_b32 s0, exec_lo, s25
	s_cbranch_execz .LBB65_81
; %bb.78:
	v_ashrrev_i32_e32 v5, 31, v4
	s_mov_b32 s25, 0
	s_delay_alu instid0(VALU_DEP_1) | instskip(NEXT) | instid1(VALU_DEP_1)
	v_lshlrev_b64 v[5:6], 2, v[4:5]
	v_add_co_u32 v5, vcc_lo, s16, v5
	s_delay_alu instid0(VALU_DEP_2)
	v_add_co_ci_u32_e32 v6, vcc_lo, s17, v6, vcc_lo
	global_load_b32 v8, v[5:6], off
.LBB65_79:                              ; =>This Inner Loop Header: Depth=1
	s_waitcnt vmcnt(0)
	v_add_f32_e32 v7, v8, v11
	global_atomic_cmpswap_b32 v7, v[5:6], v[7:8], off glc
	s_waitcnt vmcnt(0)
	v_cmp_eq_u32_e32 vcc_lo, v7, v8
	v_mov_b32_e32 v8, v7
	s_or_b32 s25, vcc_lo, s25
	s_delay_alu instid0(SALU_CYCLE_1)
	s_and_not1_b32 exec_lo, exec_lo, s25
	s_cbranch_execnz .LBB65_79
; %bb.80:
	s_or_b32 exec_lo, exec_lo, s25
                                        ; implicit-def: $vgpr11
.LBB65_81:
	s_and_not1_saveexec_b32 s0, s0
	s_cbranch_execz .LBB65_83
; %bb.82:
	v_subrev_nc_u32_e32 v5, s12, v4
	s_delay_alu instid0(VALU_DEP_1)
	v_lshl_add_u32 v5, v5, 2, 0x1000
	ds_add_f32 v5, v11
.LBB65_83:
	s_or_b32 exec_lo, exec_lo, s0
.LBB65_84:
	s_delay_alu instid0(SALU_CYCLE_1)
	s_or_b32 exec_lo, exec_lo, s11
.LBB65_85:
	s_and_not1_saveexec_b32 s0, s10
	s_cbranch_execz .LBB65_87
; %bb.86:
	ds_load_b32 v12, v9
.LBB65_87:
	s_or_b32 exec_lo, exec_lo, s0
	v_ashrrev_i32_e32 v5, 31, v4
	v_cndmask_b32_e64 v11, 0, 1, s24
	v_mov_b32_e32 v7, s18
	s_delay_alu instid0(VALU_DEP_3) | instskip(NEXT) | instid1(VALU_DEP_1)
	v_lshlrev_b64 v[4:5], 1, v[4:5]
	v_add_co_u32 v4, vcc_lo, s14, v4
	s_delay_alu instid0(VALU_DEP_2)
	v_add_co_ci_u32_e32 v5, vcc_lo, s15, v5, vcc_lo
	s_and_not1_b32 vcc_lo, exec_lo, s24
	global_load_u16 v4, v[4:5], off
	s_waitcnt vmcnt(0)
	v_cvt_f32_f16_e32 v4, v4
	s_waitcnt lgkmcnt(0)
	s_delay_alu instid0(VALU_DEP_1)
	v_dual_mul_f32 v5, v12, v4 :: v_dual_add_nc_u32 v6, 0x100, v1
	v_mov_b32_e32 v4, s22
	ds_store_b32 v9, v5
	s_cbranch_vccnz .LBB65_91
; %bb.88:
	v_dual_mov_b32 v7, s18 :: v_dual_mov_b32 v4, s22
	s_mov_b32 s10, 0
	.p2align	6
.LBB65_89:                              ; =>This Inner Loop Header: Depth=1
	s_delay_alu instid0(VALU_DEP_1) | instskip(NEXT) | instid1(VALU_DEP_1)
	v_add_nc_u32_e32 v5, v4, v7
	v_lshrrev_b32_e32 v8, 31, v5
	s_delay_alu instid0(VALU_DEP_1) | instskip(NEXT) | instid1(VALU_DEP_1)
	v_add_nc_u32_e32 v5, v5, v8
	v_ashrrev_i32_e32 v12, 1, v5
	s_delay_alu instid0(VALU_DEP_1) | instskip(NEXT) | instid1(VALU_DEP_1)
	v_ashrrev_i32_e32 v13, 31, v12
	v_lshlrev_b64 v[13:14], 2, v[12:13]
	s_delay_alu instid0(VALU_DEP_1) | instskip(NEXT) | instid1(VALU_DEP_2)
	v_add_co_u32 v13, vcc_lo, s8, v13
	v_add_co_ci_u32_e32 v14, vcc_lo, s9, v14, vcc_lo
	global_load_b32 v5, v[13:14], off
	s_waitcnt vmcnt(0)
	v_subrev_nc_u32_e32 v5, s20, v5
	s_delay_alu instid0(VALU_DEP_1) | instskip(SKIP_2) | instid1(VALU_DEP_2)
	v_cmp_gt_i32_e32 vcc_lo, v5, v6
	v_cndmask_b32_e32 v4, v4, v12, vcc_lo
	v_cndmask_b32_e32 v7, v12, v7, vcc_lo
	v_add_nc_u32_e32 v5, -1, v4
	s_delay_alu instid0(VALU_DEP_2) | instskip(NEXT) | instid1(VALU_DEP_2)
	v_cmp_ge_i32_e32 vcc_lo, v7, v4
	v_cmp_eq_u32_e64 s0, v7, v5
	s_delay_alu instid0(VALU_DEP_1) | instskip(NEXT) | instid1(SALU_CYCLE_1)
	s_or_b32 s0, vcc_lo, s0
	s_and_b32 s0, exec_lo, s0
	s_delay_alu instid0(SALU_CYCLE_1) | instskip(NEXT) | instid1(SALU_CYCLE_1)
	s_or_b32 s10, s0, s10
	s_and_not1_b32 exec_lo, exec_lo, s10
	s_cbranch_execnz .LBB65_89
; %bb.90:
	s_or_b32 exec_lo, exec_lo, s10
.LBB65_91:
	v_ashrrev_i32_e32 v5, 31, v4
	s_mov_b32 s0, exec_lo
	s_delay_alu instid0(VALU_DEP_1) | instskip(NEXT) | instid1(VALU_DEP_1)
	v_lshlrev_b64 v[12:13], 2, v[4:5]
	v_add_co_u32 v12, vcc_lo, s8, v12
	s_delay_alu instid0(VALU_DEP_2) | instskip(SKIP_4) | instid1(VALU_DEP_1)
	v_add_co_ci_u32_e32 v13, vcc_lo, s9, v13, vcc_lo
	global_load_b32 v5, v[12:13], off
	global_load_b32 v8, v[2:3], off offset:1024
                                        ; implicit-def: $vgpr12
	s_waitcnt vmcnt(1)
	v_subrev_nc_u32_e32 v5, s20, v5
	v_cmp_gt_i32_e32 vcc_lo, v5, v6
	v_cndmask_b32_e32 v5, v4, v7, vcc_lo
	s_waitcnt vmcnt(0)
	v_subrev_nc_u32_e32 v4, s20, v8
	s_delay_alu instid0(VALU_DEP_1)
	v_cmpx_ne_u32_e64 v4, v5
	s_xor_b32 s10, exec_lo, s0
	s_cbranch_execz .LBB65_101
; %bb.92:
	s_load_b32 s0, s[6:7], 0x0
	ds_load_b32 v12, v9 offset:1024
	s_mov_b32 s11, exec_lo
	s_waitcnt lgkmcnt(0)
	s_sub_i32 s0, s0, s20
	s_delay_alu instid0(SALU_CYCLE_1)
	v_cmpx_gt_i32_e64 s0, v6
	s_cbranch_execz .LBB65_100
; %bb.93:
	v_ashrrev_i32_e32 v6, 31, v5
	v_cmp_le_i32_e64 s0, s19, v4
	s_delay_alu instid0(VALU_DEP_2) | instskip(NEXT) | instid1(VALU_DEP_1)
	v_lshlrev_b64 v[5:6], 1, v[5:6]
	v_add_co_u32 v5, vcc_lo, s14, v5
	s_delay_alu instid0(VALU_DEP_2)
	v_add_co_ci_u32_e32 v6, vcc_lo, s15, v6, vcc_lo
	v_cmp_gt_i32_e32 vcc_lo, s12, v4
	global_load_u16 v5, v[5:6], off
	s_or_b32 s0, vcc_lo, s0
	s_waitcnt vmcnt(0)
	v_cvt_f32_f16_e32 v5, v5
	s_delay_alu instid0(VALU_DEP_1) | instskip(SKIP_1) | instid1(SALU_CYCLE_1)
	v_mul_f32_e32 v13, v12, v5
	s_and_saveexec_b32 s24, s0
	s_xor_b32 s0, exec_lo, s24
	s_cbranch_execz .LBB65_97
; %bb.94:
	v_ashrrev_i32_e32 v5, 31, v4
	s_mov_b32 s24, 0
	s_delay_alu instid0(VALU_DEP_1) | instskip(NEXT) | instid1(VALU_DEP_1)
	v_lshlrev_b64 v[5:6], 2, v[4:5]
	v_add_co_u32 v5, vcc_lo, s16, v5
	s_delay_alu instid0(VALU_DEP_2)
	v_add_co_ci_u32_e32 v6, vcc_lo, s17, v6, vcc_lo
	global_load_b32 v8, v[5:6], off
.LBB65_95:                              ; =>This Inner Loop Header: Depth=1
	s_waitcnt vmcnt(0)
	v_add_f32_e32 v7, v8, v13
	global_atomic_cmpswap_b32 v7, v[5:6], v[7:8], off glc
	s_waitcnt vmcnt(0)
	v_cmp_eq_u32_e32 vcc_lo, v7, v8
	v_mov_b32_e32 v8, v7
	s_or_b32 s24, vcc_lo, s24
	s_delay_alu instid0(SALU_CYCLE_1)
	s_and_not1_b32 exec_lo, exec_lo, s24
	s_cbranch_execnz .LBB65_95
; %bb.96:
	s_or_b32 exec_lo, exec_lo, s24
                                        ; implicit-def: $vgpr13
.LBB65_97:
	s_and_not1_saveexec_b32 s0, s0
	s_cbranch_execz .LBB65_99
; %bb.98:
	v_subrev_nc_u32_e32 v5, s12, v4
	s_delay_alu instid0(VALU_DEP_1)
	v_lshl_add_u32 v5, v5, 2, 0x1000
	ds_add_f32 v5, v13
.LBB65_99:
	s_or_b32 exec_lo, exec_lo, s0
.LBB65_100:
	s_delay_alu instid0(SALU_CYCLE_1)
	s_or_b32 exec_lo, exec_lo, s11
.LBB65_101:
	s_and_not1_saveexec_b32 s0, s10
	s_cbranch_execz .LBB65_103
; %bb.102:
	ds_load_b32 v12, v9 offset:1024
.LBB65_103:
	s_or_b32 exec_lo, exec_lo, s0
	v_ashrrev_i32_e32 v5, 31, v4
	s_delay_alu instid0(VALU_DEP_1) | instskip(NEXT) | instid1(VALU_DEP_1)
	v_lshlrev_b64 v[4:5], 1, v[4:5]
	v_add_co_u32 v4, vcc_lo, s14, v4
	s_delay_alu instid0(VALU_DEP_2)
	v_add_co_ci_u32_e32 v5, vcc_lo, s15, v5, vcc_lo
	v_cmp_ne_u32_e32 vcc_lo, 1, v11
	global_load_u16 v4, v[4:5], off
	s_and_b32 vcc_lo, exec_lo, vcc_lo
	s_waitcnt vmcnt(0)
	v_cvt_f32_f16_e32 v4, v4
	v_dual_mov_b32 v1, s18 :: v_dual_add_nc_u32 v6, 0x200, v1
	s_waitcnt lgkmcnt(0)
	s_delay_alu instid0(VALU_DEP_2)
	v_dual_mul_f32 v5, v12, v4 :: v_dual_mov_b32 v4, s22
	ds_store_b32 v9, v5 offset:1024
	s_cbranch_vccnz .LBB65_107
; %bb.104:
	v_dual_mov_b32 v1, s18 :: v_dual_mov_b32 v4, s22
	s_mov_b32 s10, 0
	.p2align	6
.LBB65_105:                             ; =>This Inner Loop Header: Depth=1
	s_delay_alu instid0(VALU_DEP_1) | instskip(NEXT) | instid1(VALU_DEP_1)
	v_add_nc_u32_e32 v5, v4, v1
	v_lshrrev_b32_e32 v7, 31, v5
	s_delay_alu instid0(VALU_DEP_1) | instskip(NEXT) | instid1(VALU_DEP_1)
	v_add_nc_u32_e32 v5, v5, v7
	v_ashrrev_i32_e32 v7, 1, v5
	s_delay_alu instid0(VALU_DEP_1) | instskip(NEXT) | instid1(VALU_DEP_1)
	v_ashrrev_i32_e32 v8, 31, v7
	v_lshlrev_b64 v[12:13], 2, v[7:8]
	s_delay_alu instid0(VALU_DEP_1) | instskip(NEXT) | instid1(VALU_DEP_2)
	v_add_co_u32 v12, vcc_lo, s8, v12
	v_add_co_ci_u32_e32 v13, vcc_lo, s9, v13, vcc_lo
	global_load_b32 v5, v[12:13], off
	s_waitcnt vmcnt(0)
	v_subrev_nc_u32_e32 v5, s20, v5
	s_delay_alu instid0(VALU_DEP_1) | instskip(SKIP_1) | instid1(VALU_DEP_1)
	v_cmp_gt_i32_e32 vcc_lo, v5, v6
	v_dual_cndmask_b32 v4, v4, v7 :: v_dual_cndmask_b32 v1, v7, v1
	v_add_nc_u32_e32 v5, -1, v4
	s_delay_alu instid0(VALU_DEP_2) | instskip(NEXT) | instid1(VALU_DEP_2)
	v_cmp_ge_i32_e32 vcc_lo, v1, v4
	v_cmp_eq_u32_e64 s0, v1, v5
	s_delay_alu instid0(VALU_DEP_1) | instskip(NEXT) | instid1(SALU_CYCLE_1)
	s_or_b32 s0, vcc_lo, s0
	s_and_b32 s0, exec_lo, s0
	s_delay_alu instid0(SALU_CYCLE_1) | instskip(NEXT) | instid1(SALU_CYCLE_1)
	s_or_b32 s10, s0, s10
	s_and_not1_b32 exec_lo, exec_lo, s10
	s_cbranch_execnz .LBB65_105
; %bb.106:
	s_or_b32 exec_lo, exec_lo, s10
.LBB65_107:
	v_ashrrev_i32_e32 v5, 31, v4
	s_mov_b32 s0, exec_lo
	s_delay_alu instid0(VALU_DEP_1) | instskip(NEXT) | instid1(VALU_DEP_1)
	v_lshlrev_b64 v[7:8], 2, v[4:5]
	v_add_co_u32 v7, vcc_lo, s8, v7
	s_delay_alu instid0(VALU_DEP_2) | instskip(SKIP_4) | instid1(VALU_DEP_1)
	v_add_co_ci_u32_e32 v8, vcc_lo, s9, v8, vcc_lo
	global_load_b32 v5, v[7:8], off
	global_load_b32 v7, v[2:3], off offset:2048
	s_waitcnt vmcnt(1)
	v_subrev_nc_u32_e32 v5, s20, v5
	v_cmp_gt_i32_e32 vcc_lo, v5, v6
	v_cndmask_b32_e32 v5, v4, v1, vcc_lo
	s_waitcnt vmcnt(0)
	v_subrev_nc_u32_e32 v4, s20, v7
                                        ; implicit-def: $vgpr1
	s_delay_alu instid0(VALU_DEP_1)
	v_cmpx_ne_u32_e64 v4, v5
	s_xor_b32 s10, exec_lo, s0
	s_cbranch_execz .LBB65_117
; %bb.108:
	s_load_b32 s0, s[6:7], 0x0
	ds_load_b32 v1, v9 offset:2048
	s_mov_b32 s11, exec_lo
	s_waitcnt lgkmcnt(0)
	s_sub_i32 s0, s0, s20
	s_delay_alu instid0(SALU_CYCLE_1)
	v_cmpx_gt_i32_e64 s0, v6
	s_cbranch_execz .LBB65_116
; %bb.109:
	v_ashrrev_i32_e32 v6, 31, v5
	v_cmp_le_i32_e64 s0, s19, v4
	s_delay_alu instid0(VALU_DEP_2) | instskip(NEXT) | instid1(VALU_DEP_1)
	v_lshlrev_b64 v[5:6], 1, v[5:6]
	v_add_co_u32 v5, vcc_lo, s14, v5
	s_delay_alu instid0(VALU_DEP_2)
	v_add_co_ci_u32_e32 v6, vcc_lo, s15, v6, vcc_lo
	v_cmp_gt_i32_e32 vcc_lo, s12, v4
	global_load_u16 v5, v[5:6], off
	s_or_b32 s0, vcc_lo, s0
	s_waitcnt vmcnt(0)
	v_cvt_f32_f16_e32 v5, v5
	s_delay_alu instid0(VALU_DEP_1) | instskip(SKIP_1) | instid1(SALU_CYCLE_1)
	v_mul_f32_e32 v12, v1, v5
	s_and_saveexec_b32 s24, s0
	s_xor_b32 s0, exec_lo, s24
	s_cbranch_execz .LBB65_113
; %bb.110:
	v_ashrrev_i32_e32 v5, 31, v4
	s_mov_b32 s24, 0
	s_delay_alu instid0(VALU_DEP_1) | instskip(NEXT) | instid1(VALU_DEP_1)
	v_lshlrev_b64 v[5:6], 2, v[4:5]
	v_add_co_u32 v5, vcc_lo, s16, v5
	s_delay_alu instid0(VALU_DEP_2)
	v_add_co_ci_u32_e32 v6, vcc_lo, s17, v6, vcc_lo
	global_load_b32 v8, v[5:6], off
.LBB65_111:                             ; =>This Inner Loop Header: Depth=1
	s_waitcnt vmcnt(0)
	v_add_f32_e32 v7, v8, v12
	global_atomic_cmpswap_b32 v7, v[5:6], v[7:8], off glc
	s_waitcnt vmcnt(0)
	v_cmp_eq_u32_e32 vcc_lo, v7, v8
	v_mov_b32_e32 v8, v7
	s_or_b32 s24, vcc_lo, s24
	s_delay_alu instid0(SALU_CYCLE_1)
	s_and_not1_b32 exec_lo, exec_lo, s24
	s_cbranch_execnz .LBB65_111
; %bb.112:
	s_or_b32 exec_lo, exec_lo, s24
                                        ; implicit-def: $vgpr12
.LBB65_113:
	s_and_not1_saveexec_b32 s0, s0
	s_cbranch_execz .LBB65_115
; %bb.114:
	v_subrev_nc_u32_e32 v5, s12, v4
	s_delay_alu instid0(VALU_DEP_1)
	v_lshl_add_u32 v5, v5, 2, 0x1000
	ds_add_f32 v5, v12
.LBB65_115:
	s_or_b32 exec_lo, exec_lo, s0
.LBB65_116:
	s_delay_alu instid0(SALU_CYCLE_1)
	s_or_b32 exec_lo, exec_lo, s11
.LBB65_117:
	s_and_not1_saveexec_b32 s0, s10
	s_cbranch_execz .LBB65_119
; %bb.118:
	ds_load_b32 v1, v9 offset:2048
.LBB65_119:
	s_or_b32 exec_lo, exec_lo, s0
	v_ashrrev_i32_e32 v5, 31, v4
	s_delay_alu instid0(VALU_DEP_1) | instskip(NEXT) | instid1(VALU_DEP_1)
	v_lshlrev_b64 v[4:5], 1, v[4:5]
	v_add_co_u32 v4, vcc_lo, s14, v4
	s_delay_alu instid0(VALU_DEP_2)
	v_add_co_ci_u32_e32 v5, vcc_lo, s15, v5, vcc_lo
	v_cmp_ne_u32_e32 vcc_lo, 1, v11
	global_load_u16 v4, v[4:5], off
	s_and_b32 vcc_lo, exec_lo, vcc_lo
	s_waitcnt vmcnt(0)
	v_cvt_f32_f16_e32 v4, v4
	s_waitcnt lgkmcnt(0)
	s_delay_alu instid0(VALU_DEP_1)
	v_dual_mul_f32 v5, v1, v4 :: v_dual_mov_b32 v4, s22
	v_mov_b32_e32 v1, s18
	ds_store_b32 v9, v5 offset:2048
	s_cbranch_vccnz .LBB65_123
; %bb.120:
	v_dual_mov_b32 v1, s18 :: v_dual_mov_b32 v4, s22
	s_mov_b32 s10, 0
	.p2align	6
.LBB65_121:                             ; =>This Inner Loop Header: Depth=1
	s_delay_alu instid0(VALU_DEP_1) | instskip(NEXT) | instid1(VALU_DEP_1)
	v_add_nc_u32_e32 v5, v4, v1
	v_lshrrev_b32_e32 v6, 31, v5
	s_delay_alu instid0(VALU_DEP_1) | instskip(NEXT) | instid1(VALU_DEP_1)
	v_add_nc_u32_e32 v5, v5, v6
	v_ashrrev_i32_e32 v5, 1, v5
	s_delay_alu instid0(VALU_DEP_1) | instskip(NEXT) | instid1(VALU_DEP_1)
	v_ashrrev_i32_e32 v6, 31, v5
	v_lshlrev_b64 v[6:7], 2, v[5:6]
	s_delay_alu instid0(VALU_DEP_1) | instskip(NEXT) | instid1(VALU_DEP_2)
	v_add_co_u32 v6, vcc_lo, s8, v6
	v_add_co_ci_u32_e32 v7, vcc_lo, s9, v7, vcc_lo
	global_load_b32 v6, v[6:7], off
	s_waitcnt vmcnt(0)
	v_subrev_nc_u32_e32 v6, s20, v6
	s_delay_alu instid0(VALU_DEP_1) | instskip(SKIP_2) | instid1(VALU_DEP_2)
	v_cmp_gt_i32_e32 vcc_lo, v6, v10
	v_cndmask_b32_e32 v4, v4, v5, vcc_lo
	v_cndmask_b32_e32 v1, v5, v1, vcc_lo
	v_add_nc_u32_e32 v5, -1, v4
	s_delay_alu instid0(VALU_DEP_2) | instskip(NEXT) | instid1(VALU_DEP_2)
	v_cmp_ge_i32_e32 vcc_lo, v1, v4
	v_cmp_eq_u32_e64 s0, v1, v5
	s_delay_alu instid0(VALU_DEP_1) | instskip(NEXT) | instid1(SALU_CYCLE_1)
	s_or_b32 s0, vcc_lo, s0
	s_and_b32 s0, exec_lo, s0
	s_delay_alu instid0(SALU_CYCLE_1) | instskip(NEXT) | instid1(SALU_CYCLE_1)
	s_or_b32 s10, s0, s10
	s_and_not1_b32 exec_lo, exec_lo, s10
	s_cbranch_execnz .LBB65_121
; %bb.122:
	s_or_b32 exec_lo, exec_lo, s10
.LBB65_123:
	v_ashrrev_i32_e32 v5, 31, v4
	s_mov_b32 s0, exec_lo
	s_delay_alu instid0(VALU_DEP_1) | instskip(NEXT) | instid1(VALU_DEP_1)
	v_lshlrev_b64 v[5:6], 2, v[4:5]
	v_add_co_u32 v5, vcc_lo, s8, v5
	s_delay_alu instid0(VALU_DEP_2) | instskip(SKIP_4) | instid1(VALU_DEP_1)
	v_add_co_ci_u32_e32 v6, vcc_lo, s9, v6, vcc_lo
	global_load_b32 v5, v[5:6], off
	global_load_b32 v3, v[2:3], off offset:3072
                                        ; implicit-def: $vgpr6
	s_waitcnt vmcnt(1)
	v_subrev_nc_u32_e32 v2, s20, v5
	v_cmp_gt_i32_e32 vcc_lo, v2, v10
	v_cndmask_b32_e32 v2, v4, v1, vcc_lo
	s_waitcnt vmcnt(0)
	v_subrev_nc_u32_e32 v1, s20, v3
	s_delay_alu instid0(VALU_DEP_1)
	v_cmpx_ne_u32_e64 v1, v2
	s_xor_b32 s10, exec_lo, s0
	s_cbranch_execz .LBB65_133
; %bb.124:
	s_load_b32 s0, s[6:7], 0x0
	ds_load_b32 v6, v9 offset:3072
	s_mov_b32 s6, exec_lo
	s_waitcnt lgkmcnt(0)
	s_sub_i32 s0, s0, s20
	s_delay_alu instid0(SALU_CYCLE_1)
	v_cmpx_gt_i32_e64 s0, v10
	s_cbranch_execz .LBB65_132
; %bb.125:
	v_ashrrev_i32_e32 v3, 31, v2
	v_cmp_le_i32_e64 s0, s19, v1
	s_delay_alu instid0(VALU_DEP_2) | instskip(NEXT) | instid1(VALU_DEP_1)
	v_lshlrev_b64 v[2:3], 1, v[2:3]
	v_add_co_u32 v2, vcc_lo, s14, v2
	s_delay_alu instid0(VALU_DEP_2)
	v_add_co_ci_u32_e32 v3, vcc_lo, s15, v3, vcc_lo
	v_cmp_gt_i32_e32 vcc_lo, s12, v1
	global_load_u16 v2, v[2:3], off
	s_or_b32 s0, vcc_lo, s0
	s_waitcnt vmcnt(0)
	v_cvt_f32_f16_e32 v2, v2
	s_delay_alu instid0(VALU_DEP_1) | instskip(SKIP_1) | instid1(SALU_CYCLE_1)
	v_mul_f32_e32 v7, v6, v2
	s_and_saveexec_b32 s7, s0
	s_xor_b32 s0, exec_lo, s7
	s_cbranch_execz .LBB65_129
; %bb.126:
	v_ashrrev_i32_e32 v2, 31, v1
	s_mov_b32 s7, 0
	s_delay_alu instid0(VALU_DEP_1) | instskip(NEXT) | instid1(VALU_DEP_1)
	v_lshlrev_b64 v[2:3], 2, v[1:2]
	v_add_co_u32 v2, vcc_lo, s16, v2
	s_delay_alu instid0(VALU_DEP_2)
	v_add_co_ci_u32_e32 v3, vcc_lo, s17, v3, vcc_lo
	global_load_b32 v5, v[2:3], off
.LBB65_127:                             ; =>This Inner Loop Header: Depth=1
	s_waitcnt vmcnt(0)
	v_add_f32_e32 v4, v5, v7
	global_atomic_cmpswap_b32 v4, v[2:3], v[4:5], off glc
	s_waitcnt vmcnt(0)
	v_cmp_eq_u32_e32 vcc_lo, v4, v5
	v_mov_b32_e32 v5, v4
	s_or_b32 s7, vcc_lo, s7
	s_delay_alu instid0(SALU_CYCLE_1)
	s_and_not1_b32 exec_lo, exec_lo, s7
	s_cbranch_execnz .LBB65_127
; %bb.128:
	s_or_b32 exec_lo, exec_lo, s7
                                        ; implicit-def: $vgpr7
.LBB65_129:
	s_and_not1_saveexec_b32 s0, s0
	s_cbranch_execz .LBB65_131
; %bb.130:
	v_subrev_nc_u32_e32 v2, s12, v1
	s_delay_alu instid0(VALU_DEP_1)
	v_lshl_add_u32 v2, v2, 2, 0x1000
	ds_add_f32 v2, v7
.LBB65_131:
	s_or_b32 exec_lo, exec_lo, s0
.LBB65_132:
	s_delay_alu instid0(SALU_CYCLE_1)
	s_or_b32 exec_lo, exec_lo, s6
.LBB65_133:
	s_and_not1_saveexec_b32 s0, s10
	s_cbranch_execz .LBB65_135
; %bb.134:
	ds_load_b32 v6, v9 offset:3072
.LBB65_135:
	s_or_b32 exec_lo, exec_lo, s0
	v_ashrrev_i32_e32 v2, 31, v1
	s_delay_alu instid0(VALU_DEP_1) | instskip(NEXT) | instid1(VALU_DEP_1)
	v_lshlrev_b64 v[1:2], 1, v[1:2]
	v_add_co_u32 v1, vcc_lo, s14, v1
	s_delay_alu instid0(VALU_DEP_2) | instskip(SKIP_4) | instid1(VALU_DEP_1)
	v_add_co_ci_u32_e32 v2, vcc_lo, s15, v2, vcc_lo
	global_load_u16 v1, v[1:2], off
	s_waitcnt vmcnt(0)
	v_cvt_f32_f16_e32 v1, v1
	s_waitcnt lgkmcnt(0)
	v_mul_f32_e32 v1, v6, v1
	ds_store_b32 v9, v1 offset:3072
.LBB65_136:
	s_or_b32 exec_lo, exec_lo, s13
	s_min_i32 s7, s19, s5
	s_mov_b32 s5, exec_lo
	s_sub_i32 s0, s7, s21
	s_waitcnt lgkmcnt(0)
	s_barrier
	buffer_gl0_inv
	v_cmpx_gt_i32_e64 s0, v0
	s_cbranch_execz .LBB65_141
; %bb.137:
	v_mov_b32_e32 v5, v0
	s_mov_b32 s6, 0
	.p2align	6
.LBB65_138:                             ; =>This Loop Header: Depth=1
                                        ;     Child Loop BB65_139 Depth 2
	s_delay_alu instid0(VALU_DEP_1) | instskip(SKIP_2) | instid1(VALU_DEP_2)
	v_add_nc_u32_e32 v1, s12, v5
	v_lshl_add_u32 v3, v5, 2, 0x1000
	s_mov_b32 s10, 0
	v_ashrrev_i32_e32 v2, 31, v1
	ds_load_b32 v6, v3
	v_lshlrev_b64 v[1:2], 2, v[1:2]
	s_delay_alu instid0(VALU_DEP_1) | instskip(NEXT) | instid1(VALU_DEP_2)
	v_add_co_u32 v1, vcc_lo, s16, v1
	v_add_co_ci_u32_e32 v2, vcc_lo, s17, v2, vcc_lo
	global_load_b32 v4, v[1:2], off
.LBB65_139:                             ;   Parent Loop BB65_138 Depth=1
                                        ; =>  This Inner Loop Header: Depth=2
	s_waitcnt vmcnt(0) lgkmcnt(0)
	v_add_f32_e32 v3, v4, v6
	global_atomic_cmpswap_b32 v3, v[1:2], v[3:4], off glc
	s_waitcnt vmcnt(0)
	v_cmp_eq_u32_e32 vcc_lo, v3, v4
	v_mov_b32_e32 v4, v3
	s_or_b32 s10, vcc_lo, s10
	s_delay_alu instid0(SALU_CYCLE_1)
	s_and_not1_b32 exec_lo, exec_lo, s10
	s_cbranch_execnz .LBB65_139
; %bb.140:                              ;   in Loop: Header=BB65_138 Depth=1
	s_or_b32 exec_lo, exec_lo, s10
	v_add_nc_u32_e32 v5, 0x100, v5
	s_delay_alu instid0(VALU_DEP_1) | instskip(SKIP_1) | instid1(SALU_CYCLE_1)
	v_cmp_le_i32_e32 vcc_lo, s0, v5
	s_or_b32 s6, vcc_lo, s6
	s_and_not1_b32 exec_lo, exec_lo, s6
	s_cbranch_execnz .LBB65_138
.LBB65_141:
	s_or_b32 exec_lo, exec_lo, s5
	s_mul_i32 s5, s4, s21
	s_add_i32 s6, s4, 1
	s_sub_i32 s5, s1, s5
	v_add_nc_u32_e32 v1, s18, v0
	s_sub_i32 s10, s5, s21
	s_cmp_ge_u32 s5, s21
	s_cselect_b32 s4, s6, s4
	s_cselect_b32 s5, s10, s5
	s_add_i32 s6, s4, 1
	s_cmp_ge_u32 s5, s21
	s_barrier
	s_cselect_b32 s4, s6, s4
	s_mov_b32 s6, -1
	s_add_i32 s4, s4, -1
	buffer_gl0_inv
	s_ashr_i32 s5, s4, 1
	s_delay_alu instid0(SALU_CYCLE_1) | instskip(NEXT) | instid1(SALU_CYCLE_1)
	s_or_b32 s4, s5, s4
	s_ashr_i32 s5, s4, 2
	s_delay_alu instid0(SALU_CYCLE_1) | instskip(NEXT) | instid1(SALU_CYCLE_1)
	s_or_b32 s4, s5, s4
	s_ashr_i32 s5, s4, 4
	s_delay_alu instid0(SALU_CYCLE_1) | instskip(NEXT) | instid1(SALU_CYCLE_1)
	s_or_b32 s4, s5, s4
	s_ashr_i32 s5, s4, 8
	s_delay_alu instid0(SALU_CYCLE_1) | instskip(NEXT) | instid1(SALU_CYCLE_1)
	s_or_b32 s4, s5, s4
	s_ashr_i32 s5, s4, 16
	s_delay_alu instid0(SALU_CYCLE_1) | instskip(NEXT) | instid1(SALU_CYCLE_1)
	s_or_b32 s4, s5, s4
	s_add_i32 s4, s4, 1
	s_delay_alu instid0(SALU_CYCLE_1) | instskip(NEXT) | instid1(SALU_CYCLE_1)
	s_ashr_i32 s5, s4, 1
	s_cmp_gt_i32 s5, 1
	s_cbranch_scc1 .LBB65_152
; %bb.142:
	s_mov_b32 s6, exec_lo
	v_cmpx_gt_i32_e64 s19, v1
	s_cbranch_execz .LBB65_151
; %bb.143:
	s_sub_i32 s7, s7, s19
	v_mov_b32_e32 v2, v1
	s_lshl_b32 s11, s23, 2
	s_lshl_b32 s7, s7, 2
	s_mov_b32 s10, 0
	s_addk_i32 s7, 0x1000
	s_sub_i32 s11, 0, s11
.LBB65_144:                             ; =>This Loop Header: Depth=1
                                        ;     Child Loop BB65_146 Depth 2
                                        ;     Child Loop BB65_149 Depth 2
	v_ashrrev_i32_e32 v3, 31, v2
	v_mov_b32_e32 v7, 0
	s_mov_b32 s12, exec_lo
	s_delay_alu instid0(VALU_DEP_2) | instskip(NEXT) | instid1(VALU_DEP_1)
	v_lshlrev_b64 v[3:4], 2, v[2:3]
	v_add_co_u32 v5, vcc_lo, s8, v3
	s_delay_alu instid0(VALU_DEP_2)
	v_add_co_ci_u32_e32 v6, vcc_lo, s9, v4, vcc_lo
	global_load_b64 v[5:6], v[5:6], off
	s_waitcnt vmcnt(0)
	v_cmpx_lt_i32_e64 v5, v6
	s_cbranch_execz .LBB65_148
; %bb.145:                              ;   in Loop: Header=BB65_144 Depth=1
	v_subrev_nc_u32_e32 v6, s23, v6
	v_subrev_nc_u32_e32 v8, s23, v5
	v_lshl_add_u32 v5, v5, 2, s11
	v_mov_b32_e32 v7, 0
	s_mov_b32 s13, 0
.LBB65_146:                             ;   Parent Loop BB65_144 Depth=1
                                        ; =>  This Inner Loop Header: Depth=2
	ds_load_b32 v10, v5
	v_add_nc_u32_e32 v8, 1, v8
	v_add_nc_u32_e32 v5, 4, v5
	s_waitcnt lgkmcnt(0)
	v_add_f32_e32 v7, v7, v10
	s_delay_alu instid0(VALU_DEP_3) | instskip(SKIP_1) | instid1(SALU_CYCLE_1)
	v_cmp_ge_i32_e32 vcc_lo, v8, v6
	s_or_b32 s13, vcc_lo, s13
	s_and_not1_b32 exec_lo, exec_lo, s13
	s_cbranch_execnz .LBB65_146
; %bb.147:                              ;   in Loop: Header=BB65_144 Depth=1
	s_or_b32 exec_lo, exec_lo, s13
.LBB65_148:                             ;   in Loop: Header=BB65_144 Depth=1
	s_delay_alu instid0(SALU_CYCLE_1)
	s_or_b32 exec_lo, exec_lo, s12
	v_add_co_u32 v3, vcc_lo, s16, v3
	v_add_co_ci_u32_e32 v4, vcc_lo, s17, v4, vcc_lo
	v_lshl_add_u32 v5, v2, 2, s7
	s_mov_b32 s12, 0
	global_load_b32 v6, v[3:4], off
	ds_load_b32 v5, v5
	s_waitcnt lgkmcnt(0)
	v_add_f32_e32 v7, v7, v5
.LBB65_149:                             ;   Parent Loop BB65_144 Depth=1
                                        ; =>  This Inner Loop Header: Depth=2
	s_waitcnt vmcnt(0)
	s_delay_alu instid0(VALU_DEP_1)
	v_add_f32_e32 v5, v6, v7
	global_atomic_cmpswap_b32 v5, v[3:4], v[5:6], off glc
	s_waitcnt vmcnt(0)
	v_cmp_eq_u32_e32 vcc_lo, v5, v6
	v_mov_b32_e32 v6, v5
	s_or_b32 s12, vcc_lo, s12
	s_delay_alu instid0(SALU_CYCLE_1)
	s_and_not1_b32 exec_lo, exec_lo, s12
	s_cbranch_execnz .LBB65_149
; %bb.150:                              ;   in Loop: Header=BB65_144 Depth=1
	s_or_b32 exec_lo, exec_lo, s12
	v_add_nc_u32_e32 v2, s1, v2
	s_delay_alu instid0(VALU_DEP_1) | instskip(SKIP_1) | instid1(SALU_CYCLE_1)
	v_cmp_le_i32_e32 vcc_lo, s19, v2
	s_or_b32 s10, vcc_lo, s10
	s_and_not1_b32 exec_lo, exec_lo, s10
	s_cbranch_execnz .LBB65_144
.LBB65_151:
	s_or_b32 exec_lo, exec_lo, s6
	s_mov_b32 s6, 0
.LBB65_152:
	s_delay_alu instid0(SALU_CYCLE_1)
	s_and_not1_b32 vcc_lo, exec_lo, s6
	s_cbranch_vccnz .LBB65_177
; %bb.153:
	v_cvt_f32_u32_e32 v2, s5
	s_sub_i32 s1, 0, s5
	v_mov_b32_e32 v8, 0
	s_delay_alu instid0(VALU_DEP_2) | instskip(SKIP_2) | instid1(VALU_DEP_1)
	v_rcp_iflag_f32_e32 v2, v2
	s_waitcnt_depctr 0xfff
	v_mul_f32_e32 v2, 0x4f7ffffe, v2
	v_cvt_u32_f32_e32 v2, v2
	s_delay_alu instid0(VALU_DEP_1) | instskip(SKIP_1) | instid1(VALU_DEP_1)
	v_mul_lo_u32 v3, s1, v2
	s_mov_b32 s1, exec_lo
	v_mul_hi_u32 v3, v2, v3
	s_delay_alu instid0(VALU_DEP_1) | instskip(NEXT) | instid1(VALU_DEP_1)
	v_add_nc_u32_e32 v2, v2, v3
	v_mul_hi_u32 v2, v0, v2
	s_delay_alu instid0(VALU_DEP_1) | instskip(SKIP_1) | instid1(VALU_DEP_2)
	v_mul_lo_u32 v3, v2, s5
	v_add_nc_u32_e32 v4, 1, v2
	v_sub_nc_u32_e32 v3, v0, v3
	s_delay_alu instid0(VALU_DEP_1) | instskip(SKIP_1) | instid1(VALU_DEP_2)
	v_subrev_nc_u32_e32 v5, s5, v3
	v_cmp_le_u32_e32 vcc_lo, s5, v3
	v_dual_cndmask_b32 v3, v3, v5 :: v_dual_cndmask_b32 v2, v2, v4
	s_delay_alu instid0(VALU_DEP_1) | instskip(NEXT) | instid1(VALU_DEP_2)
	v_cmp_le_u32_e32 vcc_lo, s5, v3
	v_add_nc_u32_e32 v4, 1, v2
	s_delay_alu instid0(VALU_DEP_1) | instskip(NEXT) | instid1(VALU_DEP_1)
	v_cndmask_b32_e32 v2, v2, v4, vcc_lo
	v_lshlrev_b32_e32 v3, 2, v2
	global_load_b64 v[3:4], v3, s[2:3]
	v_cmpx_gt_i32_e64 s21, v2
	s_cbranch_execz .LBB65_167
; %bb.154:
	s_abs_i32 s2, s5
	s_waitcnt vmcnt(0)
	v_subrev_nc_u32_e32 v5, s23, v4
	v_cvt_f32_u32_e32 v2, s2
	s_sub_i32 s3, 0, s2
	s_delay_alu instid0(VALU_DEP_1) | instskip(SKIP_2) | instid1(VALU_DEP_1)
	v_rcp_iflag_f32_e32 v2, v2
	s_waitcnt_depctr 0xfff
	v_mul_f32_e32 v2, 0x4f7ffffe, v2
	v_cvt_u32_f32_e32 v6, v2
	v_subrev_nc_u32_e32 v2, s23, v3
	s_delay_alu instid0(VALU_DEP_2) | instskip(NEXT) | instid1(VALU_DEP_2)
	v_mul_lo_u32 v7, s3, v6
	v_sub_nc_u32_e32 v4, v5, v2
	s_ashr_i32 s3, s5, 31
	s_delay_alu instid0(VALU_DEP_1) | instskip(NEXT) | instid1(VALU_DEP_3)
	v_sub_nc_u32_e32 v8, 0, v4
	v_mul_hi_u32 v7, v6, v7
	s_delay_alu instid0(VALU_DEP_2) | instskip(SKIP_1) | instid1(VALU_DEP_3)
	v_max_i32_e32 v8, v4, v8
	v_ashrrev_i32_e32 v4, 31, v4
	v_add_nc_u32_e32 v10, v6, v7
	s_delay_alu instid0(VALU_DEP_2) | instskip(NEXT) | instid1(VALU_DEP_2)
	v_xor_b32_e32 v4, s3, v4
	v_mad_u64_u32 v[6:7], null, v8, v10, 0
	s_delay_alu instid0(VALU_DEP_1) | instskip(NEXT) | instid1(VALU_DEP_1)
	v_mul_lo_u32 v6, v7, s2
	v_sub_nc_u32_e32 v6, v8, v6
	v_add_nc_u32_e32 v8, 1, v7
	s_delay_alu instid0(VALU_DEP_2) | instskip(SKIP_1) | instid1(VALU_DEP_2)
	v_subrev_nc_u32_e32 v10, s2, v6
	v_cmp_le_u32_e32 vcc_lo, s2, v6
	v_dual_cndmask_b32 v7, v7, v8 :: v_dual_cndmask_b32 v6, v6, v10
	s_delay_alu instid0(VALU_DEP_1) | instskip(NEXT) | instid1(VALU_DEP_2)
	v_add_nc_u32_e32 v8, 1, v7
	v_cmp_le_u32_e32 vcc_lo, s2, v6
	s_add_i32 s2, s5, -1
	s_delay_alu instid0(VALU_DEP_2) | instskip(SKIP_1) | instid1(VALU_DEP_2)
	v_cndmask_b32_e32 v6, v7, v8, vcc_lo
	v_mov_b32_e32 v8, 0
	v_xor_b32_e32 v6, v6, v4
	s_delay_alu instid0(VALU_DEP_1) | instskip(SKIP_2) | instid1(VALU_DEP_2)
	v_sub_nc_u32_e32 v7, v6, v4
	v_and_b32_e32 v6, s2, v0
	s_mov_b32 s2, exec_lo
	v_cmpx_lt_i32_e32 0, v7
	s_cbranch_execz .LBB65_164
; %bb.155:
	v_mov_b32_e32 v4, 0
	v_mov_b32_e32 v8, 0
	s_mov_b32 s3, exec_lo
	v_cmpx_lt_u32_e32 7, v7
	s_cbranch_execz .LBB65_159
; %bb.156:
	v_add_nc_u32_e32 v4, v3, v6
	s_lshl_b32 s6, s5, 5
	s_lshl_b32 s8, s5, 2
	s_mov_b32 s7, 0
	s_mov_b32 s9, 0
	v_subrev_nc_u32_e32 v8, s23, v4
	v_and_b32_e32 v4, 0x7ffffff8, v7
	s_delay_alu instid0(VALU_DEP_2)
	v_lshlrev_b32_e32 v10, 2, v8
	v_mov_b32_e32 v8, 0
	s_set_inst_prefetch_distance 0x1
	.p2align	6
.LBB65_157:                             ; =>This Inner Loop Header: Depth=1
	ds_load_b32 v12, v10
	v_add_nc_u32_e32 v11, s8, v10
	s_add_i32 s9, s9, 8
	s_delay_alu instid0(SALU_CYCLE_1) | instskip(NEXT) | instid1(VALU_DEP_2)
	v_cmp_eq_u32_e32 vcc_lo, s9, v4
	v_add_nc_u32_e32 v13, s8, v11
	ds_load_b32 v11, v11
	s_or_b32 s7, vcc_lo, s7
	v_add_nc_u32_e32 v14, s8, v13
	ds_load_b32 v13, v13
	v_add_nc_u32_e32 v15, s8, v14
	ds_load_b32 v14, v14
	v_add_nc_u32_e32 v10, s6, v10
	s_waitcnt lgkmcnt(3)
	v_add_f32_e32 v8, v8, v12
	s_waitcnt lgkmcnt(2)
	s_delay_alu instid0(VALU_DEP_1) | instskip(SKIP_3) | instid1(VALU_DEP_1)
	v_add_f32_e32 v8, v8, v11
	ds_load_b32 v12, v15
	v_add_nc_u32_e32 v16, s8, v15
	s_waitcnt lgkmcnt(2)
	v_dual_add_f32 v8, v8, v13 :: v_dual_add_nc_u32 v15, s8, v16
	ds_load_b32 v16, v16
	ds_load_b32 v17, v15
	s_waitcnt lgkmcnt(3)
	v_dual_add_f32 v8, v8, v14 :: v_dual_add_nc_u32 v11, s8, v15
	s_waitcnt lgkmcnt(2)
	s_delay_alu instid0(VALU_DEP_1) | instskip(SKIP_4) | instid1(VALU_DEP_1)
	v_add_f32_e32 v8, v8, v12
	ds_load_b32 v11, v11
	s_waitcnt lgkmcnt(2)
	v_add_f32_e32 v8, v8, v16
	s_waitcnt lgkmcnt(1)
	v_add_f32_e32 v8, v8, v17
	s_waitcnt lgkmcnt(0)
	s_delay_alu instid0(VALU_DEP_1)
	v_add_f32_e32 v8, v8, v11
	s_and_not1_b32 exec_lo, exec_lo, s7
	s_cbranch_execnz .LBB65_157
; %bb.158:
	s_set_inst_prefetch_distance 0x2
	s_or_b32 exec_lo, exec_lo, s7
.LBB65_159:
	s_delay_alu instid0(SALU_CYCLE_1) | instskip(SKIP_3) | instid1(VALU_DEP_1)
	s_or_b32 exec_lo, exec_lo, s3
	v_and_b32_e32 v10, 7, v7
	s_mov_b32 s6, 0
	s_mov_b32 s3, exec_lo
	v_cmpx_ne_u32_e32 0, v10
	s_cbranch_execz .LBB65_163
; %bb.160:
	v_mul_lo_u32 v4, v4, s5
	s_lshl_b32 s7, s5, 2
	s_delay_alu instid0(VALU_DEP_1) | instskip(NEXT) | instid1(VALU_DEP_1)
	v_add3_u32 v3, v3, v6, v4
	v_subrev_nc_u32_e32 v3, s23, v3
	s_delay_alu instid0(VALU_DEP_1)
	v_lshlrev_b32_e32 v3, 2, v3
.LBB65_161:                             ; =>This Inner Loop Header: Depth=1
	ds_load_b32 v4, v3
	v_add_nc_u32_e32 v10, -1, v10
	v_add_nc_u32_e32 v3, s7, v3
	s_delay_alu instid0(VALU_DEP_2)
	v_cmp_eq_u32_e32 vcc_lo, 0, v10
	s_or_b32 s6, vcc_lo, s6
	s_waitcnt lgkmcnt(0)
	v_add_f32_e32 v8, v8, v4
	s_and_not1_b32 exec_lo, exec_lo, s6
	s_cbranch_execnz .LBB65_161
; %bb.162:
	s_or_b32 exec_lo, exec_lo, s6
.LBB65_163:
	s_delay_alu instid0(SALU_CYCLE_1)
	s_or_b32 exec_lo, exec_lo, s3
.LBB65_164:
	s_delay_alu instid0(SALU_CYCLE_1) | instskip(SKIP_2) | instid1(VALU_DEP_1)
	s_or_b32 exec_lo, exec_lo, s2
	v_mad_u64_u32 v[3:4], null, v7, s5, v[2:3]
	s_mov_b32 s2, exec_lo
	v_sub_nc_u32_e32 v2, v5, v3
	s_delay_alu instid0(VALU_DEP_1)
	v_cmpx_lt_i32_e64 v6, v2
	s_cbranch_execz .LBB65_166
; %bb.165:
	v_add_lshl_u32 v2, v3, v6, 2
	ds_load_b32 v2, v2
	s_waitcnt lgkmcnt(0)
	v_add_f32_e32 v8, v8, v2
.LBB65_166:
	s_or_b32 exec_lo, exec_lo, s2
.LBB65_167:
	s_delay_alu instid0(SALU_CYCLE_1)
	s_or_b32 exec_lo, exec_lo, s1
	s_waitcnt vmcnt(0)
	s_barrier
	buffer_gl0_inv
	ds_store_b32 v9, v8
	s_waitcnt lgkmcnt(0)
	s_barrier
	buffer_gl0_inv
	s_mov_b32 s1, exec_lo
	v_cmpx_gt_i32_e64 s21, v0
	s_cbranch_execz .LBB65_177
; %bb.168:
	v_mul_lo_u32 v2, s5, v0
	s_cmp_lt_u32 s5, 8
	s_cbranch_scc1 .LBB65_171
; %bb.169:
	s_delay_alu instid0(VALU_DEP_1)
	v_dual_mov_b32 v3, 0 :: v_dual_lshlrev_b32 v4, 2, v2
	s_and_b32 s1, s5, 0x7ffffff8
	s_mov_b32 s2, 0
	.p2align	6
.LBB65_170:                             ; =>This Inner Loop Header: Depth=1
	ds_load_2addr_b32 v[5:6], v4 offset1:1
	ds_load_2addr_b32 v[7:8], v4 offset0:2 offset1:3
	ds_load_2addr_b32 v[9:10], v4 offset0:4 offset1:5
	;; [unrolled: 1-line block ×3, first 2 shown]
	s_add_i32 s2, s2, 8
	v_add_nc_u32_e32 v4, 32, v4
	s_cmp_eq_u32 s1, s2
	s_waitcnt lgkmcnt(3)
	v_add_f32_e32 v3, v3, v5
	s_delay_alu instid0(VALU_DEP_1) | instskip(SKIP_1) | instid1(VALU_DEP_1)
	v_add_f32_e32 v3, v3, v6
	s_waitcnt lgkmcnt(2)
	v_add_f32_e32 v3, v3, v7
	s_delay_alu instid0(VALU_DEP_1) | instskip(SKIP_1) | instid1(VALU_DEP_1)
	v_add_f32_e32 v3, v3, v8
	;; [unrolled: 4-line block ×3, first 2 shown]
	s_waitcnt lgkmcnt(0)
	v_add_f32_e32 v3, v3, v11
	s_delay_alu instid0(VALU_DEP_1)
	v_add_f32_e32 v3, v3, v12
	s_cbranch_scc0 .LBB65_170
	s_branch .LBB65_172
.LBB65_171:
	v_mov_b32_e32 v3, 0
	s_mov_b32 s1, 0
.LBB65_172:
	s_bfe_u32 s2, s4, 0x30001
	s_delay_alu instid0(SALU_CYCLE_1)
	s_cmp_eq_u32 s2, 0
	s_cbranch_scc1 .LBB65_175
; %bb.173:
	v_add_lshl_u32 v2, s1, v2, 2
.LBB65_174:                             ; =>This Inner Loop Header: Depth=1
	ds_load_b32 v4, v2
	v_add_nc_u32_e32 v2, 4, v2
	s_add_i32 s2, s2, -1
	s_delay_alu instid0(SALU_CYCLE_1)
	s_cmp_lg_u32 s2, 0
	s_waitcnt lgkmcnt(0)
	v_add_f32_e32 v3, v3, v4
	s_cbranch_scc1 .LBB65_174
.LBB65_175:
	v_ashrrev_i32_e32 v2, 31, v1
	v_lshlrev_b32_e32 v0, 2, v0
	s_lshl_b32 s0, s0, 2
	s_delay_alu instid0(VALU_DEP_2) | instskip(NEXT) | instid1(VALU_DEP_2)
	v_lshlrev_b64 v[1:2], 2, v[1:2]
	v_add3_u32 v0, 0x1000, s0, v0
	s_mov_b32 s0, 0
	ds_load_b32 v0, v0
	v_add_co_u32 v1, vcc_lo, s16, v1
	v_add_co_ci_u32_e32 v2, vcc_lo, s17, v2, vcc_lo
	global_load_b32 v4, v[1:2], off
	s_waitcnt lgkmcnt(0)
	v_add_f32_e32 v0, v3, v0
.LBB65_176:                             ; =>This Inner Loop Header: Depth=1
	s_waitcnt vmcnt(0)
	s_delay_alu instid0(VALU_DEP_1)
	v_add_f32_e32 v3, v4, v0
	global_atomic_cmpswap_b32 v3, v[1:2], v[3:4], off glc
	s_waitcnt vmcnt(0)
	v_cmp_eq_u32_e32 vcc_lo, v3, v4
	v_mov_b32_e32 v4, v3
	s_or_b32 s0, vcc_lo, s0
	s_delay_alu instid0(SALU_CYCLE_1)
	s_and_not1_b32 exec_lo, exec_lo, s0
	s_cbranch_execnz .LBB65_176
.LBB65_177:
	s_endpgm
	.section	.rodata,"a",@progbits
	.p2align	6, 0x0
	.amdhsa_kernel _ZN9rocsparseL27csrmvn_symm_adaptive_kernelIiiDF16_DF16_ffEEvbT_S1_PKS1_NS_24const_host_device_scalarIT4_EES3_PKT0_PKT1_PKT2_S6_PT3_21rocsparse_index_base_b
		.amdhsa_group_segment_fixed_size 4096
		.amdhsa_private_segment_fixed_size 0
		.amdhsa_kernarg_size 344
		.amdhsa_user_sgpr_count 15
		.amdhsa_user_sgpr_dispatch_ptr 0
		.amdhsa_user_sgpr_queue_ptr 0
		.amdhsa_user_sgpr_kernarg_segment_ptr 1
		.amdhsa_user_sgpr_dispatch_id 0
		.amdhsa_user_sgpr_private_segment_size 0
		.amdhsa_wavefront_size32 1
		.amdhsa_uses_dynamic_stack 0
		.amdhsa_enable_private_segment 0
		.amdhsa_system_sgpr_workgroup_id_x 1
		.amdhsa_system_sgpr_workgroup_id_y 0
		.amdhsa_system_sgpr_workgroup_id_z 0
		.amdhsa_system_sgpr_workgroup_info 0
		.amdhsa_system_vgpr_workitem_id 0
		.amdhsa_next_free_vgpr 18
		.amdhsa_next_free_sgpr 34
		.amdhsa_reserve_vcc 1
		.amdhsa_float_round_mode_32 0
		.amdhsa_float_round_mode_16_64 0
		.amdhsa_float_denorm_mode_32 3
		.amdhsa_float_denorm_mode_16_64 3
		.amdhsa_dx10_clamp 1
		.amdhsa_ieee_mode 1
		.amdhsa_fp16_overflow 0
		.amdhsa_workgroup_processor_mode 1
		.amdhsa_memory_ordered 1
		.amdhsa_forward_progress 0
		.amdhsa_shared_vgpr_count 0
		.amdhsa_exception_fp_ieee_invalid_op 0
		.amdhsa_exception_fp_denorm_src 0
		.amdhsa_exception_fp_ieee_div_zero 0
		.amdhsa_exception_fp_ieee_overflow 0
		.amdhsa_exception_fp_ieee_underflow 0
		.amdhsa_exception_fp_ieee_inexact 0
		.amdhsa_exception_int_div_zero 0
	.end_amdhsa_kernel
	.section	.text._ZN9rocsparseL27csrmvn_symm_adaptive_kernelIiiDF16_DF16_ffEEvbT_S1_PKS1_NS_24const_host_device_scalarIT4_EES3_PKT0_PKT1_PKT2_S6_PT3_21rocsparse_index_base_b,"axG",@progbits,_ZN9rocsparseL27csrmvn_symm_adaptive_kernelIiiDF16_DF16_ffEEvbT_S1_PKS1_NS_24const_host_device_scalarIT4_EES3_PKT0_PKT1_PKT2_S6_PT3_21rocsparse_index_base_b,comdat
.Lfunc_end65:
	.size	_ZN9rocsparseL27csrmvn_symm_adaptive_kernelIiiDF16_DF16_ffEEvbT_S1_PKS1_NS_24const_host_device_scalarIT4_EES3_PKT0_PKT1_PKT2_S6_PT3_21rocsparse_index_base_b, .Lfunc_end65-_ZN9rocsparseL27csrmvn_symm_adaptive_kernelIiiDF16_DF16_ffEEvbT_S1_PKS1_NS_24const_host_device_scalarIT4_EES3_PKT0_PKT1_PKT2_S6_PT3_21rocsparse_index_base_b
                                        ; -- End function
	.section	.AMDGPU.csdata,"",@progbits
; Kernel info:
; codeLenInByte = 7848
; NumSgprs: 36
; NumVgprs: 18
; ScratchSize: 0
; MemoryBound: 0
; FloatMode: 240
; IeeeMode: 1
; LDSByteSize: 4096 bytes/workgroup (compile time only)
; SGPRBlocks: 4
; VGPRBlocks: 2
; NumSGPRsForWavesPerEU: 36
; NumVGPRsForWavesPerEU: 18
; Occupancy: 16
; WaveLimiterHint : 1
; COMPUTE_PGM_RSRC2:SCRATCH_EN: 0
; COMPUTE_PGM_RSRC2:USER_SGPR: 15
; COMPUTE_PGM_RSRC2:TRAP_HANDLER: 0
; COMPUTE_PGM_RSRC2:TGID_X_EN: 1
; COMPUTE_PGM_RSRC2:TGID_Y_EN: 0
; COMPUTE_PGM_RSRC2:TGID_Z_EN: 0
; COMPUTE_PGM_RSRC2:TIDIG_COMP_CNT: 0
	.section	.text._ZL33csrmvn_symm_large_adaptive_kernelIiiDF16_DF16_ffEvbT_PKS0_N9rocsparse24const_host_device_scalarIT4_EES2_PKT0_PKT1_PKT2_S6_PT3_21rocsparse_index_base_b,"axG",@progbits,_ZL33csrmvn_symm_large_adaptive_kernelIiiDF16_DF16_ffEvbT_PKS0_N9rocsparse24const_host_device_scalarIT4_EES2_PKT0_PKT1_PKT2_S6_PT3_21rocsparse_index_base_b,comdat
	.globl	_ZL33csrmvn_symm_large_adaptive_kernelIiiDF16_DF16_ffEvbT_PKS0_N9rocsparse24const_host_device_scalarIT4_EES2_PKT0_PKT1_PKT2_S6_PT3_21rocsparse_index_base_b ; -- Begin function _ZL33csrmvn_symm_large_adaptive_kernelIiiDF16_DF16_ffEvbT_PKS0_N9rocsparse24const_host_device_scalarIT4_EES2_PKT0_PKT1_PKT2_S6_PT3_21rocsparse_index_base_b
	.p2align	8
	.type	_ZL33csrmvn_symm_large_adaptive_kernelIiiDF16_DF16_ffEvbT_PKS0_N9rocsparse24const_host_device_scalarIT4_EES2_PKT0_PKT1_PKT2_S6_PT3_21rocsparse_index_base_b,@function
_ZL33csrmvn_symm_large_adaptive_kernelIiiDF16_DF16_ffEvbT_PKS0_N9rocsparse24const_host_device_scalarIT4_EES2_PKT0_PKT1_PKT2_S6_PT3_21rocsparse_index_base_b: ; @_ZL33csrmvn_symm_large_adaptive_kernelIiiDF16_DF16_ffEvbT_PKS0_N9rocsparse24const_host_device_scalarIT4_EES2_PKT0_PKT1_PKT2_S6_PT3_21rocsparse_index_base_b
; %bb.0:
	s_clause 0x2
	s_load_b64 s[6:7], s[0:1], 0x48
	s_load_b64 s[16:17], s[0:1], 0x10
	;; [unrolled: 1-line block ×3, first 2 shown]
	s_mov_b32 s2, s15
	s_waitcnt lgkmcnt(0)
	s_bitcmp1_b32 s7, 0
	s_cselect_b32 s3, -1, 0
	s_delay_alu instid0(SALU_CYCLE_1)
	s_and_b32 vcc_lo, exec_lo, s3
	s_xor_b32 s3, s3, -1
	s_cbranch_vccnz .LBB66_2
; %bb.1:
	s_load_b32 s16, s[16:17], 0x0
.LBB66_2:
	s_and_not1_b32 vcc_lo, exec_lo, s3
	s_cbranch_vccnz .LBB66_4
; %bb.3:
	s_load_b32 s4, s[4:5], 0x0
.LBB66_4:
	s_waitcnt lgkmcnt(0)
	v_cmp_neq_f32_e64 s3, s16, 0
	v_cmp_neq_f32_e64 s4, s4, 1.0
	s_delay_alu instid0(VALU_DEP_1) | instskip(NEXT) | instid1(SALU_CYCLE_1)
	s_or_b32 s3, s3, s4
	s_and_not1_b32 vcc_lo, exec_lo, s3
	s_cbranch_vccnz .LBB66_38
; %bb.5:
	s_load_b64 s[4:5], s[0:1], 0x8
	s_ashr_i32 s3, s2, 31
	v_lshlrev_b32_e32 v5, 2, v0
	v_mov_b32_e32 v1, 0
	s_lshl_b64 s[2:3], s[2:3], 2
	ds_store_2addr_stride64_b32 v5, v1, v1 offset1:4
	ds_store_2addr_stride64_b32 v5, v1, v1 offset0:8 offset1:12
	s_waitcnt lgkmcnt(0)
	s_barrier
	buffer_gl0_inv
	s_add_u32 s2, s4, s2
	s_addc_u32 s3, s5, s3
	s_load_b64 s[18:19], s[2:3], 0x0
	s_clause 0x1
	s_load_b256 s[8:15], s[0:1], 0x18
	s_load_b64 s[20:21], s[0:1], 0x40
	s_waitcnt lgkmcnt(0)
	s_cmp_lt_i32 s18, s19
	s_cbranch_scc1 .LBB66_7
; %bb.6:
	s_ashr_i32 s1, s18, 31
	s_mov_b32 s0, s18
	s_delay_alu instid0(SALU_CYCLE_1) | instskip(NEXT) | instid1(SALU_CYCLE_1)
	s_lshl_b64 s[0:1], s[0:1], 2
	s_add_u32 s0, s8, s0
	s_addc_u32 s1, s9, s1
	s_load_b32 s7, s[0:1], 0x0
	v_subrev_nc_u32_e32 v6, s6, v0
	s_cbranch_execz .LBB66_8
	s_branch .LBB66_28
.LBB66_7:
                                        ; implicit-def: $sgpr7
	v_subrev_nc_u32_e32 v6, s6, v0
.LBB66_8:
	s_ashr_i32 s1, s18, 31
	s_mov_b32 s0, s18
	v_cmp_gt_u32_e32 vcc_lo, 0x100, v0
	s_lshl_b64 s[0:1], s[0:1], 2
	v_cmp_gt_u32_e64 s2, 4, v0
	s_add_u32 s0, s8, s0
	s_addc_u32 s1, s9, s1
	v_cmp_eq_u32_e64 s3, 0, v0
	s_waitcnt lgkmcnt(0)
	s_load_b32 s7, s[0:1], 0x0
	v_cmp_gt_u32_e64 s0, 64, v0
	v_cmp_gt_u32_e64 s1, 16, v0
	v_mov_b32_e32 v7, 0
	s_add_u32 s17, s8, 4
	s_addc_u32 s26, s9, 0
	s_mov_b32 s22, s18
	s_waitcnt lgkmcnt(0)
	s_mov_b32 s27, s7
	s_branch .LBB66_10
.LBB66_9:                               ;   in Loop: Header=BB66_10 Depth=1
	s_or_b32 exec_lo, exec_lo, s5
	s_add_i32 s22, s22, 1
	s_delay_alu instid0(SALU_CYCLE_1)
	s_cmp_ge_i32 s22, s19
	s_cbranch_scc1 .LBB66_28
.LBB66_10:                              ; =>This Loop Header: Depth=1
                                        ;     Child Loop BB66_12 Depth 2
                                        ;     Child Loop BB66_27 Depth 2
	s_ashr_i32 s23, s22, 31
	v_mov_b32_e32 v8, 0
	s_lshl_b64 s[24:25], s[22:23], 2
	s_mov_b32 s23, s27
	s_add_u32 s4, s17, s24
	s_addc_u32 s5, s26, s25
	v_add_nc_u32_e32 v0, s23, v6
	s_load_b32 s27, s[4:5], 0x0
	s_mov_b32 s23, exec_lo
	s_waitcnt lgkmcnt(0)
	s_sub_i32 s28, s27, s6
	s_delay_alu instid0(SALU_CYCLE_1)
	v_cmpx_gt_i32_e64 s28, v0
	s_cbranch_execz .LBB66_14
; %bb.11:                               ;   in Loop: Header=BB66_10 Depth=1
	v_ashrrev_i32_e32 v1, 31, v0
	s_mov_b32 s29, 0
	s_delay_alu instid0(VALU_DEP_1) | instskip(SKIP_1) | instid1(VALU_DEP_2)
	v_lshlrev_b64 v[2:3], 2, v[0:1]
	v_lshlrev_b64 v[8:9], 1, v[0:1]
	v_add_co_u32 v1, s4, s10, v2
	s_delay_alu instid0(VALU_DEP_1) | instskip(NEXT) | instid1(VALU_DEP_3)
	v_add_co_ci_u32_e64 v2, s4, s11, v3, s4
	v_add_co_u32 v3, s4, s12, v8
	s_delay_alu instid0(VALU_DEP_1)
	v_add_co_ci_u32_e64 v4, s4, s13, v9, s4
	v_mov_b32_e32 v8, 0
	s_set_inst_prefetch_distance 0x1
	.p2align	6
.LBB66_12:                              ;   Parent Loop BB66_10 Depth=1
                                        ; =>  This Inner Loop Header: Depth=2
	global_load_b32 v9, v[1:2], off
	v_add_nc_u32_e32 v0, 0x100, v0
	s_delay_alu instid0(VALU_DEP_1) | instskip(NEXT) | instid1(VALU_DEP_1)
	v_cmp_le_i32_e64 s5, s28, v0
	s_or_b32 s29, s5, s29
	s_waitcnt vmcnt(0)
	v_subrev_nc_u32_e32 v9, s6, v9
	s_delay_alu instid0(VALU_DEP_1) | instskip(NEXT) | instid1(VALU_DEP_1)
	v_ashrrev_i32_e32 v10, 31, v9
	v_lshlrev_b64 v[9:10], 1, v[9:10]
	s_delay_alu instid0(VALU_DEP_1) | instskip(NEXT) | instid1(VALU_DEP_1)
	v_add_co_u32 v9, s4, s14, v9
	v_add_co_ci_u32_e64 v10, s4, s15, v10, s4
	v_add_co_u32 v1, s4, 0x400, v1
	global_load_u16 v11, v[3:4], off
	global_load_u16 v9, v[9:10], off
	v_add_co_ci_u32_e64 v2, s4, 0, v2, s4
	v_add_co_u32 v3, s4, 0x200, v3
	s_delay_alu instid0(VALU_DEP_1)
	v_add_co_ci_u32_e64 v4, s4, 0, v4, s4
	s_waitcnt vmcnt(0)
	v_fma_mix_f32 v8, v11, v9, v8 op_sel_hi:[1,1,0]
	s_and_not1_b32 exec_lo, exec_lo, s29
	s_cbranch_execnz .LBB66_12
; %bb.13:                               ;   in Loop: Header=BB66_10 Depth=1
	s_set_inst_prefetch_distance 0x2
	s_or_b32 exec_lo, exec_lo, s29
.LBB66_14:                              ;   in Loop: Header=BB66_10 Depth=1
	s_delay_alu instid0(SALU_CYCLE_1)
	s_or_b32 exec_lo, exec_lo, s23
	ds_store_b32 v5, v8
	s_waitcnt lgkmcnt(0)
	s_barrier
	buffer_gl0_inv
	s_and_saveexec_b32 s4, vcc_lo
	s_cbranch_execz .LBB66_16
; %bb.15:                               ;   in Loop: Header=BB66_10 Depth=1
	ds_load_2addr_stride64_b32 v[0:1], v5 offset1:4
	ds_load_2addr_stride64_b32 v[2:3], v5 offset0:8 offset1:12
	s_waitcnt lgkmcnt(0)
	v_add_f32_e32 v1, v1, v2
	s_delay_alu instid0(VALU_DEP_1) | instskip(NEXT) | instid1(VALU_DEP_1)
	v_add_f32_e32 v1, v1, v3
	v_add_f32_e32 v0, v0, v1
	ds_store_b32 v5, v0
.LBB66_16:                              ;   in Loop: Header=BB66_10 Depth=1
	s_or_b32 exec_lo, exec_lo, s4
	s_waitcnt lgkmcnt(0)
	s_barrier
	buffer_gl0_inv
	s_and_saveexec_b32 s4, s0
	s_cbranch_execz .LBB66_18
; %bb.17:                               ;   in Loop: Header=BB66_10 Depth=1
	ds_load_2addr_stride64_b32 v[0:1], v5 offset1:1
	ds_load_2addr_stride64_b32 v[2:3], v5 offset0:2 offset1:3
	s_waitcnt lgkmcnt(0)
	v_add_f32_e32 v1, v1, v2
	s_delay_alu instid0(VALU_DEP_1) | instskip(NEXT) | instid1(VALU_DEP_1)
	v_add_f32_e32 v1, v1, v3
	v_add_f32_e32 v0, v0, v1
	ds_store_b32 v5, v0
.LBB66_18:                              ;   in Loop: Header=BB66_10 Depth=1
	s_or_b32 exec_lo, exec_lo, s4
	s_waitcnt lgkmcnt(0)
	s_barrier
	buffer_gl0_inv
	s_and_saveexec_b32 s4, s1
	s_cbranch_execz .LBB66_20
; %bb.19:                               ;   in Loop: Header=BB66_10 Depth=1
	ds_load_2addr_b32 v[0:1], v5 offset1:16
	ds_load_2addr_b32 v[2:3], v5 offset0:32 offset1:48
	s_waitcnt lgkmcnt(0)
	v_add_f32_e32 v1, v1, v2
	s_delay_alu instid0(VALU_DEP_1) | instskip(NEXT) | instid1(VALU_DEP_1)
	v_add_f32_e32 v1, v1, v3
	v_add_f32_e32 v0, v0, v1
	ds_store_b32 v5, v0
.LBB66_20:                              ;   in Loop: Header=BB66_10 Depth=1
	s_or_b32 exec_lo, exec_lo, s4
	s_waitcnt lgkmcnt(0)
	s_barrier
	buffer_gl0_inv
	s_and_saveexec_b32 s4, s2
	s_cbranch_execz .LBB66_22
; %bb.21:                               ;   in Loop: Header=BB66_10 Depth=1
	ds_load_2addr_b32 v[0:1], v5 offset1:4
	ds_load_2addr_b32 v[2:3], v5 offset0:8 offset1:12
	s_waitcnt lgkmcnt(0)
	v_add_f32_e32 v1, v1, v2
	s_delay_alu instid0(VALU_DEP_1) | instskip(NEXT) | instid1(VALU_DEP_1)
	v_add_f32_e32 v1, v1, v3
	v_add_f32_e32 v0, v0, v1
	ds_store_b32 v5, v0
.LBB66_22:                              ;   in Loop: Header=BB66_10 Depth=1
	s_or_b32 exec_lo, exec_lo, s4
	s_waitcnt lgkmcnt(0)
	s_barrier
	buffer_gl0_inv
	s_and_saveexec_b32 s4, s3
	s_cbranch_execz .LBB66_24
; %bb.23:                               ;   in Loop: Header=BB66_10 Depth=1
	ds_load_2addr_b32 v[0:1], v7 offset0:1 offset1:2
	ds_load_b32 v2, v7 offset:12
	ds_load_b32 v3, v5
	s_waitcnt lgkmcnt(2)
	v_add_f32_e32 v0, v0, v1
	s_waitcnt lgkmcnt(1)
	s_delay_alu instid0(VALU_DEP_1) | instskip(SKIP_1) | instid1(VALU_DEP_1)
	v_add_f32_e32 v0, v0, v2
	s_waitcnt lgkmcnt(0)
	v_add_f32_e32 v0, v3, v0
	ds_store_b32 v5, v0
.LBB66_24:                              ;   in Loop: Header=BB66_10 Depth=1
	s_or_b32 exec_lo, exec_lo, s4
	s_waitcnt lgkmcnt(0)
	s_barrier
	buffer_gl0_inv
	s_and_saveexec_b32 s5, s3
	s_cbranch_execz .LBB66_9
; %bb.25:                               ;   in Loop: Header=BB66_10 Depth=1
	s_mov_b32 s23, exec_lo
	s_delay_alu instid0(SALU_CYCLE_1) | instskip(NEXT) | instid1(VALU_DEP_1)
	v_mbcnt_lo_u32_b32 v0, s23, 0
	v_cmp_eq_u32_e64 s4, 0, v0
	s_delay_alu instid0(VALU_DEP_1) | instskip(NEXT) | instid1(SALU_CYCLE_1)
	s_and_b32 s4, exec_lo, s4
	s_mov_b32 exec_lo, s4
	s_cbranch_execz .LBB66_9
; %bb.26:                               ;   in Loop: Header=BB66_10 Depth=1
	s_add_u32 s24, s20, s24
	s_addc_u32 s25, s21, s25
	s_bcnt1_i32_b32 s4, s23
	global_load_b32 v1, v7, s[24:25]
	ds_load_b32 v0, v7
	v_cvt_f32_ubyte0_e32 v2, s4
	s_mov_b32 s23, 0
	s_waitcnt lgkmcnt(0)
	v_mul_f32_e32 v0, s16, v0
	s_delay_alu instid0(VALU_DEP_1)
	v_mul_f32_e32 v2, v0, v2
.LBB66_27:                              ;   Parent Loop BB66_10 Depth=1
                                        ; =>  This Inner Loop Header: Depth=2
	s_waitcnt vmcnt(0)
	s_delay_alu instid0(VALU_DEP_1) | instskip(SKIP_4) | instid1(VALU_DEP_2)
	v_add_f32_e32 v0, v1, v2
	global_atomic_cmpswap_b32 v0, v7, v[0:1], s[24:25] glc
	s_waitcnt vmcnt(0)
	v_cmp_eq_u32_e64 s4, v0, v1
	v_mov_b32_e32 v1, v0
	s_or_b32 s23, s4, s23
	s_delay_alu instid0(SALU_CYCLE_1)
	s_and_not1_b32 exec_lo, exec_lo, s23
	s_cbranch_execnz .LBB66_27
	s_branch .LBB66_9
.LBB66_28:
	s_ashr_i32 s1, s19, 31
	s_mov_b32 s0, s19
	s_waitcnt lgkmcnt(0)
	v_add_nc_u32_e32 v0, s7, v6
	s_lshl_b64 s[0:1], s[0:1], 2
	s_delay_alu instid0(SALU_CYCLE_1)
	s_add_u32 s0, s8, s0
	s_addc_u32 s1, s9, s1
	s_load_b32 s0, s[0:1], 0x0
	s_waitcnt lgkmcnt(0)
	s_sub_i32 s1, s0, s6
	s_mov_b32 s0, exec_lo
	v_cmpx_gt_i32_e64 s1, v0
	s_cbranch_execz .LBB66_38
; %bb.29:
	s_add_i32 s2, s19, -1
	s_mov_b32 s4, 0
	s_cmp_gt_i32 s2, s18
	s_cselect_b32 s0, -1, 0
	s_add_i32 s3, s19, -2
	s_delay_alu instid0(SALU_CYCLE_1) | instskip(SKIP_1) | instid1(SALU_CYCLE_1)
	s_cmp_lg_u32 s3, s18
	s_cselect_b32 s3, -1, 0
	s_and_b32 s3, s0, s3
	s_branch .LBB66_31
.LBB66_30:                              ;   in Loop: Header=BB66_31 Depth=1
	s_or_b32 exec_lo, exec_lo, s0
	v_add_nc_u32_e32 v0, 0x100, v0
	s_delay_alu instid0(VALU_DEP_1) | instskip(SKIP_1) | instid1(SALU_CYCLE_1)
	v_cmp_le_i32_e32 vcc_lo, s1, v0
	s_or_b32 s4, vcc_lo, s4
	s_and_not1_b32 exec_lo, exec_lo, s4
	s_cbranch_execz .LBB66_38
.LBB66_31:                              ; =>This Loop Header: Depth=1
                                        ;     Child Loop BB66_33 Depth 2
                                        ;     Child Loop BB66_37 Depth 2
	v_mov_b32_e32 v4, s18
	v_mov_b32_e32 v2, s2
	s_and_not1_b32 vcc_lo, exec_lo, s3
	s_cbranch_vccnz .LBB66_35
; %bb.32:                               ;   in Loop: Header=BB66_31 Depth=1
	v_mov_b32_e32 v4, s18
	v_mov_b32_e32 v2, s2
	s_mov_b32 s5, 0
	.p2align	6
.LBB66_33:                              ;   Parent Loop BB66_31 Depth=1
                                        ; =>  This Inner Loop Header: Depth=2
	s_delay_alu instid0(VALU_DEP_1) | instskip(NEXT) | instid1(VALU_DEP_1)
	v_add_nc_u32_e32 v1, v2, v4
	v_lshrrev_b32_e32 v3, 31, v1
	s_delay_alu instid0(VALU_DEP_1) | instskip(NEXT) | instid1(VALU_DEP_1)
	v_add_nc_u32_e32 v1, v1, v3
	v_ashrrev_i32_e32 v5, 1, v1
	s_delay_alu instid0(VALU_DEP_1) | instskip(NEXT) | instid1(VALU_DEP_1)
	v_ashrrev_i32_e32 v6, 31, v5
	v_lshlrev_b64 v[6:7], 2, v[5:6]
	s_delay_alu instid0(VALU_DEP_1) | instskip(NEXT) | instid1(VALU_DEP_2)
	v_add_co_u32 v6, vcc_lo, s8, v6
	v_add_co_ci_u32_e32 v7, vcc_lo, s9, v7, vcc_lo
	global_load_b32 v1, v[6:7], off
	s_waitcnt vmcnt(0)
	v_subrev_nc_u32_e32 v1, s6, v1
	s_delay_alu instid0(VALU_DEP_1) | instskip(SKIP_1) | instid1(VALU_DEP_1)
	v_cmp_gt_i32_e32 vcc_lo, v1, v0
	v_cndmask_b32_e32 v2, v2, v5, vcc_lo
	v_dual_cndmask_b32 v4, v5, v4 :: v_dual_add_nc_u32 v1, -1, v2
	s_delay_alu instid0(VALU_DEP_1) | instskip(NEXT) | instid1(VALU_DEP_2)
	v_cmp_ge_i32_e32 vcc_lo, v4, v2
	v_cmp_eq_u32_e64 s0, v4, v1
	s_delay_alu instid0(VALU_DEP_1) | instskip(NEXT) | instid1(SALU_CYCLE_1)
	s_or_b32 s0, vcc_lo, s0
	s_and_b32 s0, exec_lo, s0
	s_delay_alu instid0(SALU_CYCLE_1) | instskip(NEXT) | instid1(SALU_CYCLE_1)
	s_or_b32 s5, s0, s5
	s_and_not1_b32 exec_lo, exec_lo, s5
	s_cbranch_execnz .LBB66_33
; %bb.34:                               ;   in Loop: Header=BB66_31 Depth=1
	s_or_b32 exec_lo, exec_lo, s5
.LBB66_35:                              ;   in Loop: Header=BB66_31 Depth=1
	s_delay_alu instid0(VALU_DEP_1) | instskip(SKIP_2) | instid1(VALU_DEP_2)
	v_ashrrev_i32_e32 v3, 31, v2
	v_ashrrev_i32_e32 v1, 31, v0
	s_mov_b32 s0, exec_lo
	v_lshlrev_b64 v[5:6], 2, v[2:3]
	s_delay_alu instid0(VALU_DEP_2) | instskip(NEXT) | instid1(VALU_DEP_2)
	v_lshlrev_b64 v[7:8], 2, v[0:1]
	v_add_co_u32 v5, vcc_lo, s8, v5
	s_delay_alu instid0(VALU_DEP_3)
	v_add_co_ci_u32_e32 v6, vcc_lo, s9, v6, vcc_lo
	global_load_b32 v3, v[5:6], off
	v_add_co_u32 v5, vcc_lo, s10, v7
	v_add_co_ci_u32_e32 v6, vcc_lo, s11, v8, vcc_lo
	global_load_b32 v5, v[5:6], off
	s_waitcnt vmcnt(1)
	v_subrev_nc_u32_e32 v3, s6, v3
	s_delay_alu instid0(VALU_DEP_1) | instskip(SKIP_3) | instid1(VALU_DEP_1)
	v_cmp_gt_i32_e32 vcc_lo, v3, v0
	v_cndmask_b32_e32 v3, v2, v4, vcc_lo
	s_waitcnt vmcnt(0)
	v_subrev_nc_u32_e32 v2, s6, v5
	v_cmpx_ne_u32_e64 v2, v3
	s_cbranch_execz .LBB66_30
; %bb.36:                               ;   in Loop: Header=BB66_31 Depth=1
	v_lshlrev_b64 v[5:6], 1, v[0:1]
	v_ashrrev_i32_e32 v4, 31, v3
	s_mov_b32 s5, 0
	s_delay_alu instid0(VALU_DEP_1) | instskip(NEXT) | instid1(VALU_DEP_3)
	v_lshlrev_b64 v[7:8], 1, v[3:4]
	v_add_co_u32 v5, vcc_lo, s12, v5
	s_delay_alu instid0(VALU_DEP_4) | instskip(SKIP_1) | instid1(VALU_DEP_4)
	v_add_co_ci_u32_e32 v6, vcc_lo, s13, v6, vcc_lo
	v_ashrrev_i32_e32 v3, 31, v2
	v_add_co_u32 v4, vcc_lo, s14, v7
	global_load_u16 v6, v[5:6], off
	v_add_co_ci_u32_e32 v5, vcc_lo, s15, v8, vcc_lo
	v_lshlrev_b64 v[1:2], 2, v[2:3]
	global_load_u16 v3, v[4:5], off
	v_add_co_u32 v1, vcc_lo, s20, v1
	v_add_co_ci_u32_e32 v2, vcc_lo, s21, v2, vcc_lo
	global_load_b32 v4, v[1:2], off
	s_waitcnt vmcnt(2)
	v_cvt_f32_f16_e32 v5, v6
	s_delay_alu instid0(VALU_DEP_1) | instskip(SKIP_2) | instid1(VALU_DEP_1)
	v_mul_f32_e32 v5, s16, v5
	s_waitcnt vmcnt(1)
	v_cvt_f32_f16_e32 v3, v3
	v_mul_f32_e32 v5, v5, v3
.LBB66_37:                              ;   Parent Loop BB66_31 Depth=1
                                        ; =>  This Inner Loop Header: Depth=2
	s_waitcnt vmcnt(0)
	s_delay_alu instid0(VALU_DEP_1)
	v_add_f32_e32 v3, v4, v5
	global_atomic_cmpswap_b32 v3, v[1:2], v[3:4], off glc
	s_waitcnt vmcnt(0)
	v_cmp_eq_u32_e32 vcc_lo, v3, v4
	v_mov_b32_e32 v4, v3
	s_or_b32 s5, vcc_lo, s5
	s_delay_alu instid0(SALU_CYCLE_1)
	s_and_not1_b32 exec_lo, exec_lo, s5
	s_cbranch_execnz .LBB66_37
	s_branch .LBB66_30
.LBB66_38:
	s_endpgm
	.section	.rodata,"a",@progbits
	.p2align	6, 0x0
	.amdhsa_kernel _ZL33csrmvn_symm_large_adaptive_kernelIiiDF16_DF16_ffEvbT_PKS0_N9rocsparse24const_host_device_scalarIT4_EES2_PKT0_PKT1_PKT2_S6_PT3_21rocsparse_index_base_b
		.amdhsa_group_segment_fixed_size 4096
		.amdhsa_private_segment_fixed_size 0
		.amdhsa_kernarg_size 80
		.amdhsa_user_sgpr_count 15
		.amdhsa_user_sgpr_dispatch_ptr 0
		.amdhsa_user_sgpr_queue_ptr 0
		.amdhsa_user_sgpr_kernarg_segment_ptr 1
		.amdhsa_user_sgpr_dispatch_id 0
		.amdhsa_user_sgpr_private_segment_size 0
		.amdhsa_wavefront_size32 1
		.amdhsa_uses_dynamic_stack 0
		.amdhsa_enable_private_segment 0
		.amdhsa_system_sgpr_workgroup_id_x 1
		.amdhsa_system_sgpr_workgroup_id_y 0
		.amdhsa_system_sgpr_workgroup_id_z 0
		.amdhsa_system_sgpr_workgroup_info 0
		.amdhsa_system_vgpr_workitem_id 0
		.amdhsa_next_free_vgpr 12
		.amdhsa_next_free_sgpr 30
		.amdhsa_reserve_vcc 1
		.amdhsa_float_round_mode_32 0
		.amdhsa_float_round_mode_16_64 0
		.amdhsa_float_denorm_mode_32 3
		.amdhsa_float_denorm_mode_16_64 3
		.amdhsa_dx10_clamp 1
		.amdhsa_ieee_mode 1
		.amdhsa_fp16_overflow 0
		.amdhsa_workgroup_processor_mode 1
		.amdhsa_memory_ordered 1
		.amdhsa_forward_progress 0
		.amdhsa_shared_vgpr_count 0
		.amdhsa_exception_fp_ieee_invalid_op 0
		.amdhsa_exception_fp_denorm_src 0
		.amdhsa_exception_fp_ieee_div_zero 0
		.amdhsa_exception_fp_ieee_overflow 0
		.amdhsa_exception_fp_ieee_underflow 0
		.amdhsa_exception_fp_ieee_inexact 0
		.amdhsa_exception_int_div_zero 0
	.end_amdhsa_kernel
	.section	.text._ZL33csrmvn_symm_large_adaptive_kernelIiiDF16_DF16_ffEvbT_PKS0_N9rocsparse24const_host_device_scalarIT4_EES2_PKT0_PKT1_PKT2_S6_PT3_21rocsparse_index_base_b,"axG",@progbits,_ZL33csrmvn_symm_large_adaptive_kernelIiiDF16_DF16_ffEvbT_PKS0_N9rocsparse24const_host_device_scalarIT4_EES2_PKT0_PKT1_PKT2_S6_PT3_21rocsparse_index_base_b,comdat
.Lfunc_end66:
	.size	_ZL33csrmvn_symm_large_adaptive_kernelIiiDF16_DF16_ffEvbT_PKS0_N9rocsparse24const_host_device_scalarIT4_EES2_PKT0_PKT1_PKT2_S6_PT3_21rocsparse_index_base_b, .Lfunc_end66-_ZL33csrmvn_symm_large_adaptive_kernelIiiDF16_DF16_ffEvbT_PKS0_N9rocsparse24const_host_device_scalarIT4_EES2_PKT0_PKT1_PKT2_S6_PT3_21rocsparse_index_base_b
                                        ; -- End function
	.section	.AMDGPU.csdata,"",@progbits
; Kernel info:
; codeLenInByte = 1872
; NumSgprs: 32
; NumVgprs: 12
; ScratchSize: 0
; MemoryBound: 0
; FloatMode: 240
; IeeeMode: 1
; LDSByteSize: 4096 bytes/workgroup (compile time only)
; SGPRBlocks: 3
; VGPRBlocks: 1
; NumSGPRsForWavesPerEU: 32
; NumVGPRsForWavesPerEU: 12
; Occupancy: 16
; WaveLimiterHint : 1
; COMPUTE_PGM_RSRC2:SCRATCH_EN: 0
; COMPUTE_PGM_RSRC2:USER_SGPR: 15
; COMPUTE_PGM_RSRC2:TRAP_HANDLER: 0
; COMPUTE_PGM_RSRC2:TGID_X_EN: 1
; COMPUTE_PGM_RSRC2:TGID_Y_EN: 0
; COMPUTE_PGM_RSRC2:TGID_Z_EN: 0
; COMPUTE_PGM_RSRC2:TIDIG_COMP_CNT: 0
	.section	.text._ZN9rocsparseL22csrmvn_adaptive_kernelIliDF16_DF16_ffEEvbT_PKS1_PjPKT0_NS_24const_host_device_scalarIT4_EES3_S7_PKT1_PKT2_SA_PT3_21rocsparse_index_base_b,"axG",@progbits,_ZN9rocsparseL22csrmvn_adaptive_kernelIliDF16_DF16_ffEEvbT_PKS1_PjPKT0_NS_24const_host_device_scalarIT4_EES3_S7_PKT1_PKT2_SA_PT3_21rocsparse_index_base_b,comdat
	.globl	_ZN9rocsparseL22csrmvn_adaptive_kernelIliDF16_DF16_ffEEvbT_PKS1_PjPKT0_NS_24const_host_device_scalarIT4_EES3_S7_PKT1_PKT2_SA_PT3_21rocsparse_index_base_b ; -- Begin function _ZN9rocsparseL22csrmvn_adaptive_kernelIliDF16_DF16_ffEEvbT_PKS1_PjPKT0_NS_24const_host_device_scalarIT4_EES3_S7_PKT1_PKT2_SA_PT3_21rocsparse_index_base_b
	.p2align	8
	.type	_ZN9rocsparseL22csrmvn_adaptive_kernelIliDF16_DF16_ffEEvbT_PKS1_PjPKT0_NS_24const_host_device_scalarIT4_EES3_S7_PKT1_PKT2_SA_PT3_21rocsparse_index_base_b,@function
_ZN9rocsparseL22csrmvn_adaptive_kernelIliDF16_DF16_ffEEvbT_PKS1_PjPKT0_NS_24const_host_device_scalarIT4_EES3_S7_PKT1_PKT2_SA_PT3_21rocsparse_index_base_b: ; @_ZN9rocsparseL22csrmvn_adaptive_kernelIliDF16_DF16_ffEEvbT_PKS1_PjPKT0_NS_24const_host_device_scalarIT4_EES3_S7_PKT1_PKT2_SA_PT3_21rocsparse_index_base_b
; %bb.0:
	s_clause 0x2
	s_load_b64 s[36:37], s[0:1], 0x60
	s_load_b64 s[34:35], s[0:1], 0x28
	;; [unrolled: 1-line block ×3, first 2 shown]
	s_mov_b32 s38, s15
	s_waitcnt lgkmcnt(0)
	s_bitcmp1_b32 s37, 0
	s_cselect_b32 s2, -1, 0
	s_delay_alu instid0(SALU_CYCLE_1)
	s_and_b32 vcc_lo, exec_lo, s2
	s_xor_b32 s2, s2, -1
	s_cbranch_vccnz .LBB67_2
; %bb.1:
	s_load_b32 s34, s[34:35], 0x0
.LBB67_2:
	s_and_not1_b32 vcc_lo, exec_lo, s2
	s_cbranch_vccnz .LBB67_4
; %bb.3:
	s_load_b32 s24, s[24:25], 0x0
.LBB67_4:
	s_waitcnt lgkmcnt(0)
	v_cmp_neq_f32_e64 s2, s34, 0
	v_cmp_neq_f32_e64 s3, s24, 1.0
	s_delay_alu instid0(VALU_DEP_1) | instskip(NEXT) | instid1(SALU_CYCLE_1)
	s_or_b32 s2, s2, s3
	s_and_not1_b32 vcc_lo, exec_lo, s2
	s_cbranch_vccnz .LBB67_116
; %bb.5:
	s_clause 0x2
	s_load_b64 s[2:3], s[0:1], 0x10
	s_load_b64 s[6:7], s[0:1], 0x20
	;; [unrolled: 1-line block ×3, first 2 shown]
	s_ashr_i32 s39, s38, 31
	s_delay_alu instid0(SALU_CYCLE_1)
	s_lshl_b64 s[4:5], s[38:39], 3
	s_waitcnt lgkmcnt(0)
	s_add_u32 s2, s2, s4
	s_addc_u32 s3, s3, s5
	s_lshl_b64 s[40:41], s[38:39], 2
	s_load_b128 s[20:23], s[2:3], 0x0
	s_load_b256 s[12:19], s[0:1], 0x30
	s_mov_b32 s3, -1
	s_waitcnt lgkmcnt(0)
	s_sub_i32 s2, s22, s20
	s_add_u32 s4, s6, s40
	s_addc_u32 s5, s7, s41
	s_lshl_b64 s[6:7], s[20:21], 3
	s_delay_alu instid0(SALU_CYCLE_1)
	s_add_u32 s28, s12, s6
	s_addc_u32 s29, s13, s7
	s_load_b32 s25, s[4:5], 0x0
	s_load_b64 s[30:31], s[28:29], 0x0
	s_cmp_lt_i32 s2, 2
	s_cbranch_scc0 .LBB67_72
; %bb.6:
	s_cmp_lg_u32 s2, 1
	s_cselect_b32 s2, -1, 0
	s_waitcnt lgkmcnt(0)
	s_cmp_lg_u32 s25, 0
	s_cselect_b32 s3, -1, 0
	s_delay_alu instid0(SALU_CYCLE_1) | instskip(NEXT) | instid1(SALU_CYCLE_1)
	s_or_b32 s2, s2, s3
	s_and_b32 vcc_lo, exec_lo, s2
	s_mov_b32 s2, -1
	s_cbranch_vccnz .LBB67_35
; %bb.7:
	v_cmp_le_i64_e64 s2, s[22:23], s[20:21]
	s_delay_alu instid0(VALU_DEP_1)
	s_and_b32 vcc_lo, exec_lo, s2
	s_cbranch_vccnz .LBB67_34
; %bb.8:
	v_sub_co_u32 v7, s2, v0, s36
	s_delay_alu instid0(VALU_DEP_1)
	v_sub_co_ci_u32_e64 v8, null, 0, 0, s2
	v_dual_mov_b32 v10, 0 :: v_dual_lshlrev_b32 v9, 2, v0
	v_cmp_gt_u32_e64 s2, 0x80, v0
	v_cmp_gt_u32_e64 s3, 64, v0
	;; [unrolled: 1-line block ×7, first 2 shown]
	v_cmp_eq_u32_e64 s9, 0, v0
	v_cmp_neq_f32_e64 s33, s24, 0
	s_add_u32 s11, s12, 8
	s_addc_u32 s35, s13, 0
	s_mov_b64 s[44:45], s[30:31]
	s_mov_b64 s[42:43], s[20:21]
	s_branch .LBB67_11
.LBB67_9:                               ;   in Loop: Header=BB67_11 Depth=1
	s_lshl_b64 s[46:47], s[42:43], 2
	s_delay_alu instid0(SALU_CYCLE_1)
	s_add_u32 s46, s26, s46
	s_addc_u32 s47, s27, s47
	s_waitcnt lgkmcnt(0)
	global_store_b32 v10, v1, s[46:47]
.LBB67_10:                              ;   in Loop: Header=BB67_11 Depth=1
	s_or_b32 exec_lo, exec_lo, s10
	s_add_u32 s42, s42, 1
	s_addc_u32 s43, s43, 0
	s_delay_alu instid0(SALU_CYCLE_1) | instskip(NEXT) | instid1(VALU_DEP_1)
	v_cmp_ge_i64_e64 s10, s[42:43], s[22:23]
	s_and_b32 vcc_lo, exec_lo, s10
	s_cbranch_vccnz .LBB67_34
.LBB67_11:                              ; =>This Loop Header: Depth=1
                                        ;     Child Loop BB67_13 Depth 2
	s_lshl_b64 s[46:47], s[42:43], 3
	s_mov_b64 s[48:49], s[44:45]
	s_add_u32 s46, s11, s46
	s_addc_u32 s47, s35, s47
	v_add_co_u32 v1, vcc_lo, s48, v7
	s_load_b64 s[44:45], s[46:47], 0x0
	v_add_co_ci_u32_e32 v2, vcc_lo, s49, v8, vcc_lo
	v_mov_b32_e32 v11, 0
	s_mov_b32 s37, exec_lo
	s_waitcnt lgkmcnt(0)
	s_sub_u32 s46, s44, s36
	s_subb_u32 s47, s45, 0
	s_delay_alu instid0(SALU_CYCLE_1)
	v_cmpx_gt_i64_e64 s[46:47], v[1:2]
	s_cbranch_execz .LBB67_15
; %bb.12:                               ;   in Loop: Header=BB67_11 Depth=1
	v_lshlrev_b64 v[3:4], 1, v[1:2]
	v_lshlrev_b64 v[5:6], 2, v[1:2]
	v_mov_b32_e32 v11, 0
	s_mov_b32 s39, 0
	s_delay_alu instid0(VALU_DEP_3) | instskip(NEXT) | instid1(VALU_DEP_4)
	v_add_co_u32 v3, vcc_lo, s16, v3
	v_add_co_ci_u32_e32 v4, vcc_lo, s17, v4, vcc_lo
	s_delay_alu instid0(VALU_DEP_4)
	v_add_co_u32 v5, vcc_lo, s14, v5
	v_add_co_ci_u32_e32 v6, vcc_lo, s15, v6, vcc_lo
	s_set_inst_prefetch_distance 0x1
	.p2align	6
.LBB67_13:                              ;   Parent Loop BB67_11 Depth=1
                                        ; =>  This Inner Loop Header: Depth=2
	global_load_b32 v12, v[5:6], off
	global_load_u16 v14, v[3:4], off
	v_add_co_u32 v5, s10, 0x400, v5
	s_delay_alu instid0(VALU_DEP_1) | instskip(SKIP_2) | instid1(VALU_DEP_1)
	v_add_co_ci_u32_e64 v6, s10, 0, v6, s10
	s_waitcnt vmcnt(1)
	v_subrev_nc_u32_e32 v12, s36, v12
	v_ashrrev_i32_e32 v13, 31, v12
	s_delay_alu instid0(VALU_DEP_1) | instskip(NEXT) | instid1(VALU_DEP_1)
	v_lshlrev_b64 v[12:13], 1, v[12:13]
	v_add_co_u32 v12, vcc_lo, s18, v12
	s_delay_alu instid0(VALU_DEP_2)
	v_add_co_ci_u32_e32 v13, vcc_lo, s19, v13, vcc_lo
	v_add_co_u32 v1, vcc_lo, 0x100, v1
	v_add_co_ci_u32_e32 v2, vcc_lo, 0, v2, vcc_lo
	global_load_u16 v12, v[12:13], off
	s_waitcnt vmcnt(1)
	v_cvt_f32_f16_e32 v13, v14
	v_add_co_u32 v3, vcc_lo, 0x200, v3
	v_add_co_ci_u32_e32 v4, vcc_lo, 0, v4, vcc_lo
	s_delay_alu instid0(VALU_DEP_3) | instskip(SKIP_3) | instid1(VALU_DEP_2)
	v_mul_f32_e32 v13, s34, v13
	v_cmp_le_i64_e32 vcc_lo, s[46:47], v[1:2]
	s_or_b32 s39, vcc_lo, s39
	s_waitcnt vmcnt(0)
	v_fma_mix_f32 v11, v13, v12, v11 op_sel_hi:[0,1,0]
	s_and_not1_b32 exec_lo, exec_lo, s39
	s_cbranch_execnz .LBB67_13
; %bb.14:                               ;   in Loop: Header=BB67_11 Depth=1
	s_set_inst_prefetch_distance 0x2
	s_or_b32 exec_lo, exec_lo, s39
.LBB67_15:                              ;   in Loop: Header=BB67_11 Depth=1
	s_delay_alu instid0(SALU_CYCLE_1)
	s_or_b32 exec_lo, exec_lo, s37
	ds_store_b32 v9, v11
	s_waitcnt lgkmcnt(0)
	s_waitcnt_vscnt null, 0x0
	s_barrier
	buffer_gl0_inv
	s_and_saveexec_b32 s10, s2
	s_cbranch_execz .LBB67_17
; %bb.16:                               ;   in Loop: Header=BB67_11 Depth=1
	ds_load_2addr_stride64_b32 v[1:2], v9 offset1:2
	s_waitcnt lgkmcnt(0)
	v_add_f32_e32 v1, v1, v2
	ds_store_b32 v9, v1
.LBB67_17:                              ;   in Loop: Header=BB67_11 Depth=1
	s_or_b32 exec_lo, exec_lo, s10
	s_waitcnt lgkmcnt(0)
	s_barrier
	buffer_gl0_inv
	s_and_saveexec_b32 s10, s3
	s_cbranch_execz .LBB67_19
; %bb.18:                               ;   in Loop: Header=BB67_11 Depth=1
	ds_load_2addr_stride64_b32 v[1:2], v9 offset1:1
	s_waitcnt lgkmcnt(0)
	v_add_f32_e32 v1, v1, v2
	ds_store_b32 v9, v1
.LBB67_19:                              ;   in Loop: Header=BB67_11 Depth=1
	s_or_b32 exec_lo, exec_lo, s10
	s_waitcnt lgkmcnt(0)
	s_barrier
	buffer_gl0_inv
	s_and_saveexec_b32 s10, s4
	s_cbranch_execz .LBB67_21
; %bb.20:                               ;   in Loop: Header=BB67_11 Depth=1
	ds_load_2addr_b32 v[1:2], v9 offset1:32
	s_waitcnt lgkmcnt(0)
	v_add_f32_e32 v1, v1, v2
	ds_store_b32 v9, v1
.LBB67_21:                              ;   in Loop: Header=BB67_11 Depth=1
	s_or_b32 exec_lo, exec_lo, s10
	s_waitcnt lgkmcnt(0)
	s_barrier
	buffer_gl0_inv
	s_and_saveexec_b32 s10, s5
	s_cbranch_execz .LBB67_23
; %bb.22:                               ;   in Loop: Header=BB67_11 Depth=1
	ds_load_2addr_b32 v[1:2], v9 offset1:16
	s_waitcnt lgkmcnt(0)
	v_add_f32_e32 v1, v1, v2
	ds_store_b32 v9, v1
.LBB67_23:                              ;   in Loop: Header=BB67_11 Depth=1
	;; [unrolled: 12-line block ×5, first 2 shown]
	s_or_b32 exec_lo, exec_lo, s10
	s_waitcnt lgkmcnt(0)
	s_barrier
	buffer_gl0_inv
	s_and_saveexec_b32 s10, s9
	s_cbranch_execz .LBB67_31
; %bb.30:                               ;   in Loop: Header=BB67_11 Depth=1
	ds_load_b64 v[1:2], v10
	s_waitcnt lgkmcnt(0)
	v_add_f32_e32 v1, v1, v2
	ds_store_b32 v10, v1
.LBB67_31:                              ;   in Loop: Header=BB67_11 Depth=1
	s_or_b32 exec_lo, exec_lo, s10
	s_waitcnt lgkmcnt(0)
	s_barrier
	buffer_gl0_inv
	s_and_saveexec_b32 s10, s9
	s_cbranch_execz .LBB67_10
; %bb.32:                               ;   in Loop: Header=BB67_11 Depth=1
	ds_load_b32 v1, v10
	s_and_not1_b32 vcc_lo, exec_lo, s33
	s_cbranch_vccnz .LBB67_9
; %bb.33:                               ;   in Loop: Header=BB67_11 Depth=1
	s_lshl_b64 s[46:47], s[42:43], 2
	s_delay_alu instid0(SALU_CYCLE_1)
	s_add_u32 s46, s26, s46
	s_addc_u32 s47, s27, s47
	global_load_b32 v2, v10, s[46:47]
	s_waitcnt vmcnt(0) lgkmcnt(0)
	v_fmac_f32_e32 v1, s24, v2
	s_branch .LBB67_9
.LBB67_34:
	s_mov_b32 s2, 0
.LBB67_35:
	s_delay_alu instid0(SALU_CYCLE_1)
	s_and_not1_b32 vcc_lo, exec_lo, s2
	s_cbranch_vccnz .LBB67_71
; %bb.36:
	s_load_b64 s[6:7], s[0:1], 0x18
	s_sub_i32 s8, s38, s25
	v_or_b32_e32 v1, s25, v0
	v_mov_b32_e32 v7, 0
	s_mov_b32 s2, exec_lo
	s_waitcnt lgkmcnt(0)
	s_add_u32 s4, s6, s40
	s_addc_u32 s5, s7, s41
	s_load_b32 s33, s[4:5], 0x0
	v_cmpx_eq_u32_e32 0, v1
	s_cbranch_execz .LBB67_40
; %bb.37:
	s_lshl_b64 s[38:39], s[20:21], 2
	s_mov_b32 s10, exec_lo
	s_add_u32 s38, s26, s38
	s_addc_u32 s39, s27, s39
	v_mbcnt_lo_u32_b32 v2, s10, 0
	s_load_b32 s3, s[38:39], 0x0
	v_add_f32_e64 v1, s24, -1.0
	s_mov_b32 s11, exec_lo
	s_waitcnt vmcnt(0) expcnt(0) lgkmcnt(0)
	s_waitcnt_vscnt null, 0x0
	v_cmpx_eq_u32_e32 0, v2
	s_cbranch_execz .LBB67_39
; %bb.38:
	s_ashr_i32 s9, s8, 31
	s_delay_alu instid0(SALU_CYCLE_1) | instskip(NEXT) | instid1(SALU_CYCLE_1)
	s_lshl_b64 s[38:39], s[8:9], 2
	s_add_u32 s38, s6, s38
	s_addc_u32 s39, s7, s39
	s_bcnt1_i32_b32 s9, s10
	s_delay_alu instid0(SALU_CYCLE_1) | instskip(NEXT) | instid1(SALU_CYCLE_1)
	s_and_b32 s9, s9, 1
	v_dual_mov_b32 v2, 0 :: v_dual_mov_b32 v3, s9
	global_atomic_xor_b32 v2, v3, s[38:39]
.LBB67_39:
	s_or_b32 exec_lo, exec_lo, s11
	v_mul_f32_e32 v7, s3, v1
.LBB67_40:
	s_or_b32 exec_lo, exec_lo, s2
	s_load_b64 s[2:3], s[28:29], 0x8
	s_mul_i32 s10, s25, 0xc00
	s_sub_u32 s11, s30, s36
	s_subb_u32 s35, s31, 0
	s_mul_hi_i32 s9, s25, 0xc00
	s_add_u32 s11, s11, s10
	s_addc_u32 s10, s35, s9
	v_add_co_u32 v1, s9, s11, v0
	s_delay_alu instid0(VALU_DEP_1) | instskip(SKIP_4) | instid1(SALU_CYCLE_1)
	v_add_co_ci_u32_e64 v2, null, s10, 0, s9
	s_mov_b32 s9, exec_lo
	s_waitcnt lgkmcnt(0)
	s_sub_u32 s2, s2, s36
	s_subb_u32 s3, s3, 0
	v_cmpx_gt_i64_e64 s[2:3], v[1:2]
	s_cbranch_execz .LBB67_44
; %bb.41:
	v_lshlrev_b64 v[3:4], 1, v[1:2]
	v_lshlrev_b64 v[5:6], 2, v[1:2]
	s_add_u32 s38, s11, 0xc00
	s_addc_u32 s39, s10, 0
	s_delay_alu instid0(SALU_CYCLE_1) | instskip(NEXT) | instid1(VALU_DEP_3)
	v_cmp_lt_i64_e64 s10, s[38:39], s[2:3]
	v_add_co_u32 v3, vcc_lo, s16, v3
	v_add_co_ci_u32_e32 v4, vcc_lo, s17, v4, vcc_lo
	v_add_co_u32 v5, vcc_lo, s14, v5
	v_add_co_ci_u32_e32 v6, vcc_lo, s15, v6, vcc_lo
	s_and_b32 s10, s10, exec_lo
	s_cselect_b32 s11, s39, s3
	s_cselect_b32 s10, s38, s2
	s_mov_b32 s3, 0
	s_set_inst_prefetch_distance 0x1
	.p2align	6
.LBB67_42:                              ; =>This Inner Loop Header: Depth=1
	global_load_b32 v8, v[5:6], off
	global_load_u16 v10, v[3:4], off
	v_add_co_u32 v5, s2, 0x400, v5
	s_delay_alu instid0(VALU_DEP_1) | instskip(SKIP_2) | instid1(VALU_DEP_1)
	v_add_co_ci_u32_e64 v6, s2, 0, v6, s2
	s_waitcnt vmcnt(1)
	v_subrev_nc_u32_e32 v8, s36, v8
	v_ashrrev_i32_e32 v9, 31, v8
	s_delay_alu instid0(VALU_DEP_1) | instskip(NEXT) | instid1(VALU_DEP_1)
	v_lshlrev_b64 v[8:9], 1, v[8:9]
	v_add_co_u32 v8, vcc_lo, s18, v8
	s_delay_alu instid0(VALU_DEP_2)
	v_add_co_ci_u32_e32 v9, vcc_lo, s19, v9, vcc_lo
	v_add_co_u32 v1, vcc_lo, 0x100, v1
	v_add_co_ci_u32_e32 v2, vcc_lo, 0, v2, vcc_lo
	global_load_u16 v8, v[8:9], off
	s_waitcnt vmcnt(1)
	v_cvt_f32_f16_e32 v9, v10
	v_add_co_u32 v3, vcc_lo, 0x200, v3
	v_add_co_ci_u32_e32 v4, vcc_lo, 0, v4, vcc_lo
	s_delay_alu instid0(VALU_DEP_3) | instskip(SKIP_3) | instid1(VALU_DEP_2)
	v_mul_f32_e32 v9, s34, v9
	v_cmp_le_i64_e32 vcc_lo, s[10:11], v[1:2]
	s_or_b32 s3, vcc_lo, s3
	s_waitcnt vmcnt(0)
	v_fma_mix_f32 v7, v9, v8, v7 op_sel_hi:[0,1,0]
	s_and_not1_b32 exec_lo, exec_lo, s3
	s_cbranch_execnz .LBB67_42
; %bb.43:
	s_set_inst_prefetch_distance 0x2
	s_or_b32 exec_lo, exec_lo, s3
.LBB67_44:
	s_delay_alu instid0(SALU_CYCLE_1)
	s_or_b32 exec_lo, exec_lo, s9
	v_lshlrev_b32_e32 v1, 2, v0
	s_mov_b32 s2, exec_lo
	ds_store_b32 v1, v7
	s_waitcnt lgkmcnt(0)
	s_waitcnt_vscnt null, 0x0
	s_barrier
	buffer_gl0_inv
	v_cmpx_gt_u32_e32 0x80, v0
	s_cbranch_execz .LBB67_46
; %bb.45:
	ds_load_2addr_stride64_b32 v[2:3], v1 offset1:2
	s_waitcnt lgkmcnt(0)
	v_add_f32_e32 v2, v2, v3
	ds_store_b32 v1, v2
.LBB67_46:
	s_or_b32 exec_lo, exec_lo, s2
	s_delay_alu instid0(SALU_CYCLE_1)
	s_mov_b32 s2, exec_lo
	s_waitcnt lgkmcnt(0)
	s_barrier
	buffer_gl0_inv
	v_cmpx_gt_u32_e32 64, v0
	s_cbranch_execz .LBB67_48
; %bb.47:
	ds_load_2addr_stride64_b32 v[2:3], v1 offset1:1
	s_waitcnt lgkmcnt(0)
	v_add_f32_e32 v2, v2, v3
	ds_store_b32 v1, v2
.LBB67_48:
	s_or_b32 exec_lo, exec_lo, s2
	s_delay_alu instid0(SALU_CYCLE_1)
	s_mov_b32 s2, exec_lo
	s_waitcnt lgkmcnt(0)
	s_barrier
	buffer_gl0_inv
	v_cmpx_gt_u32_e32 32, v0
	s_cbranch_execz .LBB67_50
; %bb.49:
	ds_load_2addr_b32 v[2:3], v1 offset1:32
	s_waitcnt lgkmcnt(0)
	v_add_f32_e32 v2, v2, v3
	ds_store_b32 v1, v2
.LBB67_50:
	s_or_b32 exec_lo, exec_lo, s2
	s_delay_alu instid0(SALU_CYCLE_1)
	s_mov_b32 s2, exec_lo
	s_waitcnt lgkmcnt(0)
	s_barrier
	buffer_gl0_inv
	v_cmpx_gt_u32_e32 16, v0
	s_cbranch_execz .LBB67_52
; %bb.51:
	ds_load_2addr_b32 v[2:3], v1 offset1:16
	s_waitcnt lgkmcnt(0)
	v_add_f32_e32 v2, v2, v3
	ds_store_b32 v1, v2
.LBB67_52:
	;; [unrolled: 14-line block ×5, first 2 shown]
	s_or_b32 exec_lo, exec_lo, s2
	v_cmp_eq_u32_e32 vcc_lo, 0, v0
	s_waitcnt lgkmcnt(0)
	s_barrier
	buffer_gl0_inv
	s_and_saveexec_b32 s2, vcc_lo
	s_cbranch_execz .LBB67_60
; %bb.59:
	v_mov_b32_e32 v3, 0
	ds_load_b64 v[1:2], v3
	s_waitcnt lgkmcnt(0)
	v_add_f32_e32 v1, v1, v2
	ds_store_b32 v3, v1
.LBB67_60:
	s_or_b32 exec_lo, exec_lo, s2
	s_waitcnt lgkmcnt(0)
	s_barrier
	buffer_gl0_inv
	s_and_saveexec_b32 s10, vcc_lo
	s_cbranch_execz .LBB67_70
; %bb.61:
	s_cmp_eq_u32 s25, 0
	s_cbranch_scc1 .LBB67_67
; %bb.62:
	s_ashr_i32 s9, s8, 31
	v_mov_b32_e32 v1, 0
	s_lshl_b64 s[2:3], s[8:9], 2
	s_delay_alu instid0(SALU_CYCLE_1)
	s_add_u32 s2, s6, s2
	s_addc_u32 s3, s7, s3
	s_branch .LBB67_64
.LBB67_63:                              ;   in Loop: Header=BB67_64 Depth=1
	s_or_b32 exec_lo, exec_lo, s6
	s_waitcnt vmcnt(0)
	v_readfirstlane_b32 s6, v2
	s_delay_alu instid0(VALU_DEP_1)
	s_cmp_eq_u32 s6, s33
	s_cbranch_scc0 .LBB67_66
.LBB67_64:                              ; =>This Inner Loop Header: Depth=1
	v_mbcnt_lo_u32_b32 v2, exec_lo, 0
	s_delay_alu instid0(VALU_DEP_1)
	v_cmp_eq_u32_e32 vcc_lo, 0, v2
                                        ; implicit-def: $vgpr2
	s_and_saveexec_b32 s6, vcc_lo
	s_cbranch_execz .LBB67_63
; %bb.65:                               ;   in Loop: Header=BB67_64 Depth=1
	global_load_b32 v2, v1, s[2:3] glc
	s_branch .LBB67_63
.LBB67_66:
	v_mov_b32_e32 v1, 0
	global_load_b32 v2, v1, s[4:5]
	s_waitcnt vmcnt(0)
	v_xor_b32_e32 v2, 1, v2
	global_store_b32 v1, v2, s[4:5]
.LBB67_67:
	s_mov_b32 s4, exec_lo
	s_delay_alu instid0(SALU_CYCLE_1) | instskip(NEXT) | instid1(VALU_DEP_1)
	v_mbcnt_lo_u32_b32 v1, s4, 0
	v_cmp_eq_u32_e32 vcc_lo, 0, v1
	s_and_b32 s2, exec_lo, vcc_lo
	s_delay_alu instid0(SALU_CYCLE_1)
	s_mov_b32 exec_lo, s2
	s_cbranch_execz .LBB67_70
; %bb.68:
	s_lshl_b64 s[2:3], s[20:21], 2
	s_delay_alu instid0(SALU_CYCLE_1) | instskip(SKIP_2) | instid1(SALU_CYCLE_1)
	s_add_u32 s2, s26, s2
	s_addc_u32 s3, s27, s3
	s_bcnt1_i32_b32 s4, s4
	v_cvt_f32_ubyte0_e32 v4, s4
	v_mov_b32_e32 v3, 0
	s_mov_b32 s4, 0
	global_load_b32 v2, v3, s[2:3]
	ds_load_b32 v1, v3
	s_waitcnt lgkmcnt(0)
	v_mul_f32_e32 v4, v1, v4
.LBB67_69:                              ; =>This Inner Loop Header: Depth=1
	s_waitcnt vmcnt(0)
	s_delay_alu instid0(VALU_DEP_1)
	v_add_f32_e32 v1, v2, v4
	global_atomic_cmpswap_b32 v1, v3, v[1:2], s[2:3] glc
	s_waitcnt vmcnt(0)
	v_cmp_eq_u32_e32 vcc_lo, v1, v2
	v_mov_b32_e32 v2, v1
	s_or_b32 s4, vcc_lo, s4
	s_delay_alu instid0(SALU_CYCLE_1)
	s_and_not1_b32 exec_lo, exec_lo, s4
	s_cbranch_execnz .LBB67_69
.LBB67_70:
	s_or_b32 exec_lo, exec_lo, s10
.LBB67_71:
	s_mov_b32 s3, 0
.LBB67_72:
	s_delay_alu instid0(SALU_CYCLE_1)
	s_and_not1_b32 vcc_lo, exec_lo, s3
	s_cbranch_vccnz .LBB67_116
; %bb.73:
	s_load_b64 s[0:1], s[0:1], 0x8
	v_sub_co_u32 v1, s2, v0, s36
	s_delay_alu instid0(VALU_DEP_1) | instskip(SKIP_1) | instid1(VALU_DEP_2)
	v_sub_co_ci_u32_e64 v2, null, 0, 0, s2
	s_waitcnt lgkmcnt(0)
	v_add_co_u32 v1, vcc_lo, s30, v1
	s_delay_alu instid0(VALU_DEP_2) | instskip(NEXT) | instid1(VALU_DEP_2)
	v_add_co_ci_u32_e32 v2, vcc_lo, s31, v2, vcc_lo
	v_add_co_u32 v3, vcc_lo, 0x300, v1
	s_delay_alu instid0(VALU_DEP_2) | instskip(NEXT) | instid1(VALU_DEP_1)
	v_add_co_ci_u32_e32 v4, vcc_lo, 0, v2, vcc_lo
	v_cmp_le_i64_e32 vcc_lo, s[0:1], v[3:4]
	s_and_saveexec_b32 s0, vcc_lo
	s_delay_alu instid0(SALU_CYCLE_1)
	s_xor_b32 s1, exec_lo, s0
	s_cbranch_execz .LBB67_78
; %bb.74:
	s_lshl_b64 s[2:3], s[22:23], 3
	s_mov_b32 s4, exec_lo
	s_add_u32 s2, s12, s2
	s_addc_u32 s3, s13, s3
	s_load_b64 s[2:3], s[2:3], 0x0
	s_waitcnt lgkmcnt(0)
	s_sub_u32 s2, s2, s36
	s_subb_u32 s3, s3, 0
	s_delay_alu instid0(SALU_CYCLE_1)
	v_cmpx_gt_i64_e64 s[2:3], v[1:2]
	s_cbranch_execz .LBB67_77
; %bb.75:
	v_lshlrev_b64 v[3:4], 1, v[1:2]
	v_lshlrev_b64 v[5:6], 2, v[1:2]
	v_lshlrev_b32_e32 v7, 2, v0
	s_mov_b32 s5, 0
	s_delay_alu instid0(VALU_DEP_3) | instskip(NEXT) | instid1(VALU_DEP_4)
	v_add_co_u32 v3, vcc_lo, s16, v3
	v_add_co_ci_u32_e32 v4, vcc_lo, s17, v4, vcc_lo
	s_delay_alu instid0(VALU_DEP_4)
	v_add_co_u32 v5, vcc_lo, s14, v5
	v_add_co_ci_u32_e32 v6, vcc_lo, s15, v6, vcc_lo
	s_set_inst_prefetch_distance 0x1
	.p2align	6
.LBB67_76:                              ; =>This Inner Loop Header: Depth=1
	global_load_b32 v8, v[5:6], off
	global_load_u16 v10, v[3:4], off
	s_waitcnt vmcnt(1)
	v_subrev_nc_u32_e32 v8, s36, v8
	s_delay_alu instid0(VALU_DEP_1) | instskip(NEXT) | instid1(VALU_DEP_1)
	v_ashrrev_i32_e32 v9, 31, v8
	v_lshlrev_b64 v[8:9], 1, v[8:9]
	s_delay_alu instid0(VALU_DEP_1) | instskip(NEXT) | instid1(VALU_DEP_2)
	v_add_co_u32 v8, vcc_lo, s18, v8
	v_add_co_ci_u32_e32 v9, vcc_lo, s19, v9, vcc_lo
	v_add_co_u32 v1, vcc_lo, 0x100, v1
	v_add_co_ci_u32_e32 v2, vcc_lo, 0, v2, vcc_lo
	global_load_u16 v8, v[8:9], off
	s_waitcnt vmcnt(1)
	v_cvt_f32_f16_e32 v9, v10
	v_add_co_u32 v3, vcc_lo, 0x200, v3
	v_add_co_ci_u32_e32 v4, vcc_lo, 0, v4, vcc_lo
	s_delay_alu instid0(VALU_DEP_3) | instskip(SKIP_3) | instid1(VALU_DEP_3)
	v_mul_f32_e32 v9, s34, v9
	v_cmp_le_i64_e64 s0, s[2:3], v[1:2]
	v_add_co_u32 v5, vcc_lo, 0x400, v5
	v_add_co_ci_u32_e32 v6, vcc_lo, 0, v6, vcc_lo
	s_or_b32 s5, s0, s5
	s_waitcnt vmcnt(0)
	v_cvt_f32_f16_e32 v8, v8
	s_delay_alu instid0(VALU_DEP_1)
	v_mul_f32_e32 v8, v9, v8
	ds_store_b32 v7, v8
	v_add_nc_u32_e32 v7, 0x400, v7
	s_and_not1_b32 exec_lo, exec_lo, s5
	s_cbranch_execnz .LBB67_76
.LBB67_77:
	s_set_inst_prefetch_distance 0x2
	s_or_b32 exec_lo, exec_lo, s4
                                        ; implicit-def: $vgpr1_vgpr2
.LBB67_78:
	s_or_saveexec_b32 s0, s1
	v_lshlrev_b32_e32 v7, 2, v0
	s_xor_b32 exec_lo, exec_lo, s0
	s_cbranch_execz .LBB67_80
; %bb.79:
	v_lshlrev_b64 v[3:4], 2, v[1:2]
	v_lshlrev_b64 v[1:2], 1, v[1:2]
	s_delay_alu instid0(VALU_DEP_2) | instskip(NEXT) | instid1(VALU_DEP_3)
	v_add_co_u32 v3, vcc_lo, s14, v3
	v_add_co_ci_u32_e32 v4, vcc_lo, s15, v4, vcc_lo
	s_delay_alu instid0(VALU_DEP_3) | instskip(NEXT) | instid1(VALU_DEP_4)
	v_add_co_u32 v1, vcc_lo, s16, v1
	v_add_co_ci_u32_e32 v2, vcc_lo, s17, v2, vcc_lo
	s_clause 0x3
	global_load_b32 v5, v[3:4], off
	global_load_b32 v6, v[3:4], off offset:1024
	global_load_b32 v8, v[3:4], off offset:2048
	;; [unrolled: 1-line block ×3, first 2 shown]
	s_clause 0x3
	global_load_u16 v12, v[1:2], off
	global_load_u16 v13, v[1:2], off offset:512
	global_load_u16 v14, v[1:2], off offset:1024
	;; [unrolled: 1-line block ×3, first 2 shown]
	s_waitcnt vmcnt(7)
	v_subrev_nc_u32_e32 v3, s36, v5
	s_waitcnt vmcnt(6)
	v_subrev_nc_u32_e32 v5, s36, v6
	;; [unrolled: 2-line block ×4, first 2 shown]
	v_ashrrev_i32_e32 v4, 31, v3
	v_ashrrev_i32_e32 v6, 31, v5
	;; [unrolled: 1-line block ×3, first 2 shown]
	s_delay_alu instid0(VALU_DEP_4) | instskip(NEXT) | instid1(VALU_DEP_4)
	v_ashrrev_i32_e32 v11, 31, v10
	v_lshlrev_b64 v[3:4], 1, v[3:4]
	s_delay_alu instid0(VALU_DEP_4) | instskip(NEXT) | instid1(VALU_DEP_4)
	v_lshlrev_b64 v[1:2], 1, v[5:6]
	v_lshlrev_b64 v[5:6], 1, v[8:9]
	s_delay_alu instid0(VALU_DEP_4) | instskip(NEXT) | instid1(VALU_DEP_4)
	v_lshlrev_b64 v[8:9], 1, v[10:11]
	v_add_co_u32 v3, vcc_lo, s18, v3
	v_add_co_ci_u32_e32 v4, vcc_lo, s19, v4, vcc_lo
	v_add_co_u32 v1, vcc_lo, s18, v1
	v_add_co_ci_u32_e32 v2, vcc_lo, s19, v2, vcc_lo
	;; [unrolled: 2-line block ×4, first 2 shown]
	s_clause 0x3
	global_load_u16 v3, v[3:4], off
	global_load_u16 v1, v[1:2], off
	;; [unrolled: 1-line block ×4, first 2 shown]
	s_waitcnt vmcnt(7)
	v_cvt_f32_f16_e32 v5, v12
	s_waitcnt vmcnt(6)
	v_cvt_f32_f16_e32 v6, v13
	s_waitcnt vmcnt(5)
	v_cvt_f32_f16_e32 v8, v14
	s_waitcnt vmcnt(4)
	v_cvt_f32_f16_e32 v9, v15
	v_dual_mul_f32 v5, s34, v5 :: v_dual_mul_f32 v6, s34, v6
	s_delay_alu instid0(VALU_DEP_2)
	v_dual_mul_f32 v8, s34, v8 :: v_dual_mul_f32 v9, s34, v9
	s_waitcnt vmcnt(3)
	v_cvt_f32_f16_e32 v3, v3
	s_waitcnt vmcnt(2)
	v_cvt_f32_f16_e32 v1, v1
	;; [unrolled: 2-line block ×4, first 2 shown]
	v_mul_f32_e32 v3, v5, v3
	s_delay_alu instid0(VALU_DEP_3) | instskip(NEXT) | instid1(VALU_DEP_3)
	v_dual_mul_f32 v1, v6, v1 :: v_dual_mul_f32 v2, v8, v2
	v_mul_f32_e32 v4, v9, v4
	ds_store_2addr_stride64_b32 v7, v3, v1 offset1:4
	ds_store_2addr_stride64_b32 v7, v2, v4 offset0:8 offset1:12
.LBB67_80:
	s_or_b32 exec_lo, exec_lo, s0
	s_cmp_lt_i32 s25, 2
	s_mov_b32 s0, -1
	s_waitcnt lgkmcnt(0)
	s_waitcnt_vscnt null, 0x0
	s_barrier
	buffer_gl0_inv
	s_cbranch_scc0 .LBB67_91
; %bb.81:
	v_add_co_u32 v5, s0, s20, v0
	s_delay_alu instid0(VALU_DEP_1) | instskip(SKIP_1) | instid1(VALU_DEP_1)
	v_add_co_ci_u32_e64 v6, null, s21, 0, s0
	s_mov_b32 s1, exec_lo
	v_cmpx_gt_i64_e64 s[22:23], v[5:6]
	s_cbranch_execz .LBB67_90
; %bb.82:
	v_cmp_neq_f32_e64 s2, s24, 0
	s_lshl_b32 s0, s30, 2
	s_mov_b32 s3, 0
	s_sub_i32 s4, 0, s0
	s_branch .LBB67_84
.LBB67_83:                              ;   in Loop: Header=BB67_84 Depth=1
	v_add_co_u32 v5, vcc_lo, 0x100, v5
	v_add_co_ci_u32_e32 v6, vcc_lo, 0, v6, vcc_lo
	s_delay_alu instid0(VALU_DEP_3) | instskip(NEXT) | instid1(VALU_DEP_1)
	v_add_co_u32 v1, s0, s26, v1
	v_add_co_ci_u32_e64 v2, s0, s27, v2, s0
	s_delay_alu instid0(VALU_DEP_3) | instskip(SKIP_2) | instid1(SALU_CYCLE_1)
	v_cmp_le_i64_e32 vcc_lo, s[22:23], v[5:6]
	global_store_b32 v[1:2], v3, off
	s_or_b32 s3, vcc_lo, s3
	s_and_not1_b32 exec_lo, exec_lo, s3
	s_cbranch_execz .LBB67_90
.LBB67_84:                              ; =>This Loop Header: Depth=1
                                        ;     Child Loop BB67_86 Depth 2
	v_lshlrev_b64 v[1:2], 3, v[5:6]
	s_mov_b32 s0, exec_lo
	s_delay_alu instid0(VALU_DEP_1) | instskip(NEXT) | instid1(VALU_DEP_2)
	v_add_co_u32 v1, vcc_lo, s12, v1
	v_add_co_ci_u32_e32 v2, vcc_lo, s13, v2, vcc_lo
	global_load_b128 v[1:4], v[1:2], off
	s_waitcnt vmcnt(0)
	v_subrev_nc_u32_e32 v2, s30, v1
	v_subrev_nc_u32_e32 v4, s30, v3
	v_mov_b32_e32 v3, 0
	s_delay_alu instid0(VALU_DEP_2)
	v_cmpx_lt_i32_e64 v2, v4
	s_cbranch_execz .LBB67_88
; %bb.85:                               ;   in Loop: Header=BB67_84 Depth=1
	v_lshl_add_u32 v1, v1, 2, s4
	v_mov_b32_e32 v3, 0
	s_mov_b32 s5, 0
.LBB67_86:                              ;   Parent Loop BB67_84 Depth=1
                                        ; =>  This Inner Loop Header: Depth=2
	ds_load_b32 v8, v1
	v_add_nc_u32_e32 v2, 1, v2
	v_add_nc_u32_e32 v1, 4, v1
	s_waitcnt lgkmcnt(0)
	v_add_f32_e32 v3, v3, v8
	s_delay_alu instid0(VALU_DEP_3) | instskip(SKIP_1) | instid1(SALU_CYCLE_1)
	v_cmp_ge_i32_e32 vcc_lo, v2, v4
	s_or_b32 s5, vcc_lo, s5
	s_and_not1_b32 exec_lo, exec_lo, s5
	s_cbranch_execnz .LBB67_86
; %bb.87:                               ;   in Loop: Header=BB67_84 Depth=1
	s_or_b32 exec_lo, exec_lo, s5
.LBB67_88:                              ;   in Loop: Header=BB67_84 Depth=1
	s_delay_alu instid0(SALU_CYCLE_1)
	s_or_b32 exec_lo, exec_lo, s0
	v_lshlrev_b64 v[1:2], 2, v[5:6]
	s_and_b32 vcc_lo, exec_lo, s2
	s_cbranch_vccz .LBB67_83
; %bb.89:                               ;   in Loop: Header=BB67_84 Depth=1
	s_delay_alu instid0(VALU_DEP_1) | instskip(NEXT) | instid1(VALU_DEP_2)
	v_add_co_u32 v8, vcc_lo, s26, v1
	v_add_co_ci_u32_e32 v9, vcc_lo, s27, v2, vcc_lo
	global_load_b32 v4, v[8:9], off
	s_waitcnt vmcnt(0)
	v_fmac_f32_e32 v3, s24, v4
	s_branch .LBB67_83
.LBB67_90:
	s_or_b32 exec_lo, exec_lo, s1
	s_mov_b32 s0, 0
.LBB67_91:
	s_delay_alu instid0(SALU_CYCLE_1)
	s_and_not1_b32 vcc_lo, exec_lo, s0
	s_cbranch_vccnz .LBB67_116
; %bb.92:
	s_clz_i32_u32 s0, s25
	s_add_i32 s1, s25, -1
	s_xor_b32 s0, s0, 31
	v_mov_b32_e32 v3, 0
	v_lshrrev_b32_e32 v4, s0, v0
	v_and_b32_e32 v0, s1, v0
	s_mov_b32 s1, exec_lo
	s_delay_alu instid0(VALU_DEP_2) | instskip(NEXT) | instid1(VALU_DEP_1)
	v_add_co_u32 v1, s0, s20, v4
	v_add_co_ci_u32_e64 v2, null, s21, 0, s0
	s_delay_alu instid0(VALU_DEP_1)
	v_cmp_le_i64_e32 vcc_lo, s[22:23], v[1:2]
	v_cmpx_gt_i64_e64 s[22:23], v[1:2]
	s_cbranch_execz .LBB67_98
; %bb.93:
	v_lshlrev_b32_e32 v3, 3, v4
	s_mov_b32 s2, exec_lo
	s_clause 0x1
	global_load_b32 v4, v3, s[28:29]
	global_load_b32 v3, v3, s[28:29] offset:8
	s_waitcnt vmcnt(1)
	v_subrev_nc_u32_e32 v5, s30, v4
	s_waitcnt vmcnt(0)
	v_subrev_nc_u32_e32 v4, s30, v3
	v_mov_b32_e32 v3, 0
	s_delay_alu instid0(VALU_DEP_3) | instskip(NEXT) | instid1(VALU_DEP_1)
	v_add_nc_u32_e32 v5, v0, v5
	v_cmpx_lt_i32_e64 v5, v4
	s_cbranch_execz .LBB67_97
; %bb.94:
	v_dual_mov_b32 v3, 0 :: v_dual_lshlrev_b32 v6, 2, v5
	s_lshl_b32 s4, s25, 2
	s_mov_b32 s3, 0
.LBB67_95:                              ; =>This Inner Loop Header: Depth=1
	ds_load_b32 v8, v6
	v_add_nc_u32_e32 v5, s25, v5
	v_add_nc_u32_e32 v6, s4, v6
	s_delay_alu instid0(VALU_DEP_2) | instskip(NEXT) | instid1(VALU_DEP_1)
	v_cmp_ge_i32_e64 s0, v5, v4
	s_or_b32 s3, s0, s3
	s_waitcnt lgkmcnt(0)
	v_add_f32_e32 v3, v3, v8
	s_and_not1_b32 exec_lo, exec_lo, s3
	s_cbranch_execnz .LBB67_95
; %bb.96:
	s_or_b32 exec_lo, exec_lo, s3
.LBB67_97:
	s_delay_alu instid0(SALU_CYCLE_1)
	s_or_b32 exec_lo, exec_lo, s2
.LBB67_98:
	s_delay_alu instid0(SALU_CYCLE_1)
	s_or_b32 exec_lo, exec_lo, s1
	s_cmpk_lt_i32 s25, 0x81
	s_waitcnt_vscnt null, 0x0
	s_barrier
	buffer_gl0_inv
	ds_store_b32 v7, v3
	s_waitcnt lgkmcnt(0)
	s_barrier
	buffer_gl0_inv
	s_cbranch_scc1 .LBB67_100
; %bb.99:
	ds_load_b32 v4, v7 offset:512
	s_waitcnt lgkmcnt(0)
	s_barrier
	buffer_gl0_inv
	v_add_f32_e32 v3, v3, v4
	ds_store_b32 v7, v3
.LBB67_100:
	s_cmpk_lt_i32 s25, 0x41
	s_waitcnt lgkmcnt(0)
	s_barrier
	buffer_gl0_inv
	s_cbranch_scc1 .LBB67_102
; %bb.101:
	ds_load_b32 v4, v7 offset:256
	s_waitcnt lgkmcnt(0)
	s_barrier
	buffer_gl0_inv
	v_add_f32_e32 v3, v3, v4
	ds_store_b32 v7, v3
.LBB67_102:
	s_cmp_lt_i32 s25, 33
	s_waitcnt lgkmcnt(0)
	s_barrier
	buffer_gl0_inv
	s_cbranch_scc1 .LBB67_104
; %bb.103:
	ds_load_b32 v4, v7 offset:128
	s_waitcnt lgkmcnt(0)
	s_barrier
	buffer_gl0_inv
	v_add_f32_e32 v3, v3, v4
	ds_store_b32 v7, v3
.LBB67_104:
	s_cmp_lt_i32 s25, 17
	;; [unrolled: 13-line block ×4, first 2 shown]
	s_waitcnt lgkmcnt(0)
	s_barrier
	buffer_gl0_inv
	s_cbranch_scc1 .LBB67_110
; %bb.109:
	ds_load_b32 v4, v7 offset:16
	s_waitcnt lgkmcnt(0)
	s_barrier
	buffer_gl0_inv
	v_add_f32_e32 v3, v3, v4
	ds_store_b32 v7, v3
.LBB67_110:
	s_cmp_eq_u32 s25, 2
	s_waitcnt lgkmcnt(0)
	s_barrier
	buffer_gl0_inv
	s_cbranch_scc1 .LBB67_112
; %bb.111:
	ds_load_b32 v4, v7 offset:8
	s_waitcnt lgkmcnt(0)
	s_barrier
	buffer_gl0_inv
	v_add_f32_e32 v3, v3, v4
	ds_store_b32 v7, v3
.LBB67_112:
	s_waitcnt lgkmcnt(0)
	s_barrier
	buffer_gl0_inv
	ds_load_b32 v4, v7 offset:4
	v_cmp_eq_u32_e64 s0, 0, v0
	s_xor_b32 s1, vcc_lo, -1
	s_waitcnt lgkmcnt(0)
	s_barrier
	buffer_gl0_inv
	s_and_b32 s0, s0, s1
	v_add_f32_e32 v3, v3, v4
	ds_store_b32 v7, v3
	s_and_saveexec_b32 s1, s0
	s_cbranch_execz .LBB67_116
; %bb.113:
	v_cmp_eq_f32_e64 s0, s24, 0
	v_lshlrev_b64 v[0:1], 2, v[1:2]
	s_delay_alu instid0(VALU_DEP_2)
	s_and_b32 vcc_lo, exec_lo, s0
	s_cbranch_vccnz .LBB67_115
; %bb.114:
	s_delay_alu instid0(VALU_DEP_1) | instskip(NEXT) | instid1(VALU_DEP_2)
	v_add_co_u32 v4, vcc_lo, s26, v0
	v_add_co_ci_u32_e32 v5, vcc_lo, s27, v1, vcc_lo
	global_load_b32 v2, v[4:5], off
	s_waitcnt vmcnt(0)
	v_fmac_f32_e32 v3, s24, v2
.LBB67_115:
	s_delay_alu instid0(VALU_DEP_1) | instskip(NEXT) | instid1(VALU_DEP_2)
	v_add_co_u32 v0, vcc_lo, s26, v0
	v_add_co_ci_u32_e32 v1, vcc_lo, s27, v1, vcc_lo
	global_store_b32 v[0:1], v3, off
.LBB67_116:
	s_nop 0
	s_sendmsg sendmsg(MSG_DEALLOC_VGPRS)
	s_endpgm
	.section	.rodata,"a",@progbits
	.p2align	6, 0x0
	.amdhsa_kernel _ZN9rocsparseL22csrmvn_adaptive_kernelIliDF16_DF16_ffEEvbT_PKS1_PjPKT0_NS_24const_host_device_scalarIT4_EES3_S7_PKT1_PKT2_SA_PT3_21rocsparse_index_base_b
		.amdhsa_group_segment_fixed_size 4096
		.amdhsa_private_segment_fixed_size 0
		.amdhsa_kernarg_size 104
		.amdhsa_user_sgpr_count 15
		.amdhsa_user_sgpr_dispatch_ptr 0
		.amdhsa_user_sgpr_queue_ptr 0
		.amdhsa_user_sgpr_kernarg_segment_ptr 1
		.amdhsa_user_sgpr_dispatch_id 0
		.amdhsa_user_sgpr_private_segment_size 0
		.amdhsa_wavefront_size32 1
		.amdhsa_uses_dynamic_stack 0
		.amdhsa_enable_private_segment 0
		.amdhsa_system_sgpr_workgroup_id_x 1
		.amdhsa_system_sgpr_workgroup_id_y 0
		.amdhsa_system_sgpr_workgroup_id_z 0
		.amdhsa_system_sgpr_workgroup_info 0
		.amdhsa_system_vgpr_workitem_id 0
		.amdhsa_next_free_vgpr 16
		.amdhsa_next_free_sgpr 50
		.amdhsa_reserve_vcc 1
		.amdhsa_float_round_mode_32 0
		.amdhsa_float_round_mode_16_64 0
		.amdhsa_float_denorm_mode_32 3
		.amdhsa_float_denorm_mode_16_64 3
		.amdhsa_dx10_clamp 1
		.amdhsa_ieee_mode 1
		.amdhsa_fp16_overflow 0
		.amdhsa_workgroup_processor_mode 1
		.amdhsa_memory_ordered 1
		.amdhsa_forward_progress 0
		.amdhsa_shared_vgpr_count 0
		.amdhsa_exception_fp_ieee_invalid_op 0
		.amdhsa_exception_fp_denorm_src 0
		.amdhsa_exception_fp_ieee_div_zero 0
		.amdhsa_exception_fp_ieee_overflow 0
		.amdhsa_exception_fp_ieee_underflow 0
		.amdhsa_exception_fp_ieee_inexact 0
		.amdhsa_exception_int_div_zero 0
	.end_amdhsa_kernel
	.section	.text._ZN9rocsparseL22csrmvn_adaptive_kernelIliDF16_DF16_ffEEvbT_PKS1_PjPKT0_NS_24const_host_device_scalarIT4_EES3_S7_PKT1_PKT2_SA_PT3_21rocsparse_index_base_b,"axG",@progbits,_ZN9rocsparseL22csrmvn_adaptive_kernelIliDF16_DF16_ffEEvbT_PKS1_PjPKT0_NS_24const_host_device_scalarIT4_EES3_S7_PKT1_PKT2_SA_PT3_21rocsparse_index_base_b,comdat
.Lfunc_end67:
	.size	_ZN9rocsparseL22csrmvn_adaptive_kernelIliDF16_DF16_ffEEvbT_PKS1_PjPKT0_NS_24const_host_device_scalarIT4_EES3_S7_PKT1_PKT2_SA_PT3_21rocsparse_index_base_b, .Lfunc_end67-_ZN9rocsparseL22csrmvn_adaptive_kernelIliDF16_DF16_ffEEvbT_PKS1_PjPKT0_NS_24const_host_device_scalarIT4_EES3_S7_PKT1_PKT2_SA_PT3_21rocsparse_index_base_b
                                        ; -- End function
	.section	.AMDGPU.csdata,"",@progbits
; Kernel info:
; codeLenInByte = 4684
; NumSgprs: 52
; NumVgprs: 16
; ScratchSize: 0
; MemoryBound: 0
; FloatMode: 240
; IeeeMode: 1
; LDSByteSize: 4096 bytes/workgroup (compile time only)
; SGPRBlocks: 6
; VGPRBlocks: 1
; NumSGPRsForWavesPerEU: 52
; NumVGPRsForWavesPerEU: 16
; Occupancy: 16
; WaveLimiterHint : 1
; COMPUTE_PGM_RSRC2:SCRATCH_EN: 0
; COMPUTE_PGM_RSRC2:USER_SGPR: 15
; COMPUTE_PGM_RSRC2:TRAP_HANDLER: 0
; COMPUTE_PGM_RSRC2:TGID_X_EN: 1
; COMPUTE_PGM_RSRC2:TGID_Y_EN: 0
; COMPUTE_PGM_RSRC2:TGID_Z_EN: 0
; COMPUTE_PGM_RSRC2:TIDIG_COMP_CNT: 0
	.section	.text._ZN9rocsparseL27csrmvn_symm_adaptive_kernelIliDF16_DF16_ffEEvbT_S1_PKS1_NS_24const_host_device_scalarIT4_EES3_PKT0_PKT1_PKT2_S6_PT3_21rocsparse_index_base_b,"axG",@progbits,_ZN9rocsparseL27csrmvn_symm_adaptive_kernelIliDF16_DF16_ffEEvbT_S1_PKS1_NS_24const_host_device_scalarIT4_EES3_PKT0_PKT1_PKT2_S6_PT3_21rocsparse_index_base_b,comdat
	.globl	_ZN9rocsparseL27csrmvn_symm_adaptive_kernelIliDF16_DF16_ffEEvbT_S1_PKS1_NS_24const_host_device_scalarIT4_EES3_PKT0_PKT1_PKT2_S6_PT3_21rocsparse_index_base_b ; -- Begin function _ZN9rocsparseL27csrmvn_symm_adaptive_kernelIliDF16_DF16_ffEEvbT_S1_PKS1_NS_24const_host_device_scalarIT4_EES3_PKT0_PKT1_PKT2_S6_PT3_21rocsparse_index_base_b
	.p2align	8
	.type	_ZN9rocsparseL27csrmvn_symm_adaptive_kernelIliDF16_DF16_ffEEvbT_S1_PKS1_NS_24const_host_device_scalarIT4_EES3_PKT0_PKT1_PKT2_S6_PT3_21rocsparse_index_base_b,@function
_ZN9rocsparseL27csrmvn_symm_adaptive_kernelIliDF16_DF16_ffEEvbT_S1_PKS1_NS_24const_host_device_scalarIT4_EES3_PKT0_PKT1_PKT2_S6_PT3_21rocsparse_index_base_b: ; @_ZN9rocsparseL27csrmvn_symm_adaptive_kernelIliDF16_DF16_ffEEvbT_S1_PKS1_NS_24const_host_device_scalarIT4_EES3_PKT0_PKT1_PKT2_S6_PT3_21rocsparse_index_base_b
; %bb.0:
	s_clause 0x2
	s_load_b64 s[24:25], s[0:1], 0x58
	s_load_b64 s[30:31], s[0:1], 0x20
	s_load_b64 s[4:5], s[0:1], 0x48
	s_mov_b32 s2, s15
	s_waitcnt lgkmcnt(0)
	s_bitcmp1_b32 s25, 0
	s_cselect_b32 s3, -1, 0
	s_delay_alu instid0(SALU_CYCLE_1)
	s_and_b32 vcc_lo, exec_lo, s3
	s_xor_b32 s3, s3, -1
	s_cbranch_vccnz .LBB68_2
; %bb.1:
	s_load_b32 s30, s[30:31], 0x0
.LBB68_2:
	s_and_not1_b32 vcc_lo, exec_lo, s3
	s_cbranch_vccnz .LBB68_4
; %bb.3:
	s_load_b32 s4, s[4:5], 0x0
.LBB68_4:
	s_waitcnt lgkmcnt(0)
	v_cmp_neq_f32_e64 s3, s30, 0
	v_cmp_neq_f32_e64 s4, s4, 1.0
	s_delay_alu instid0(VALU_DEP_1) | instskip(NEXT) | instid1(SALU_CYCLE_1)
	s_or_b32 s3, s3, s4
	s_and_not1_b32 vcc_lo, exec_lo, s3
	s_cbranch_vccnz .LBB68_167
; %bb.5:
	s_load_b64 s[4:5], s[0:1], 0x18
	s_ashr_i32 s3, s2, 31
	v_lshlrev_b32_e32 v15, 2, v0
	v_mov_b32_e32 v1, 0
	s_lshl_b64 s[2:3], s[2:3], 3
	ds_store_2addr_stride64_b32 v15, v1, v1 offset1:4
	ds_store_2addr_stride64_b32 v15, v1, v1 offset0:8 offset1:12
	s_waitcnt lgkmcnt(0)
	s_barrier
	buffer_gl0_inv
	s_add_u32 s2, s4, s2
	s_addc_u32 s3, s5, s3
	s_load_b128 s[16:19], s[2:3], 0x0
	s_clause 0x1
	s_load_b256 s[8:15], s[0:1], 0x28
	s_load_b64 s[20:21], s[0:1], 0x50
	s_waitcnt lgkmcnt(0)
	s_sub_u32 s22, s18, s16
	s_subb_u32 s23, s19, s17
	s_delay_alu instid0(SALU_CYCLE_1) | instskip(NEXT) | instid1(VALU_DEP_1)
	v_cmp_gt_i64_e64 s2, s[22:23], 2
	s_and_b32 vcc_lo, exec_lo, s2
	s_mov_b32 s2, -1
	s_cbranch_vccnz .LBB68_40
; %bb.6:
	v_cmp_gt_i64_e64 s2, s[18:19], s[16:17]
	v_sub_co_u32 v7, s3, v0, s24
	s_delay_alu instid0(VALU_DEP_1) | instskip(NEXT) | instid1(VALU_DEP_3)
	v_sub_co_ci_u32_e64 v8, null, 0, 0, s3
	s_and_b32 vcc_lo, exec_lo, s2
	s_mov_b32 s2, 0
	s_cbranch_vccnz .LBB68_8
; %bb.7:
	s_lshl_b64 s[4:5], s[16:17], 3
	s_delay_alu instid0(SALU_CYCLE_1)
	s_add_u32 s4, s8, s4
	s_addc_u32 s5, s9, s5
	s_load_b64 s[26:27], s[4:5], 0x0
	s_and_not1_b32 vcc_lo, exec_lo, s2
	s_cbranch_vccz .LBB68_9
	s_branch .LBB68_29
.LBB68_8:
                                        ; implicit-def: $sgpr26_sgpr27
.LBB68_9:
	s_lshl_b64 s[2:3], s[16:17], 3
	v_cmp_gt_u32_e64 s4, 16, v0
	s_add_u32 s2, s8, s2
	s_addc_u32 s3, s9, s3
	v_cmp_gt_u32_e64 s5, 4, v0
	s_waitcnt lgkmcnt(0)
	s_load_b64 s[26:27], s[2:3], 0x0
	v_cmp_gt_u32_e64 s2, 0x100, v0
	v_cmp_gt_u32_e64 s3, 64, v0
	v_cmp_eq_u32_e64 s6, 0, v0
	v_mov_b32_e32 v9, 0
	s_add_u32 s25, s8, 8
	s_addc_u32 s31, s9, 0
	s_mov_b64 s[28:29], s[16:17]
	s_waitcnt lgkmcnt(0)
	s_mov_b64 s[34:35], s[26:27]
	s_branch .LBB68_11
.LBB68_10:                              ;   in Loop: Header=BB68_11 Depth=1
	s_or_b32 exec_lo, exec_lo, s7
	s_add_u32 s28, s28, 1
	s_addc_u32 s29, s29, 0
	s_delay_alu instid0(SALU_CYCLE_1) | instskip(NEXT) | instid1(VALU_DEP_1)
	v_cmp_ge_i64_e64 s7, s[28:29], s[18:19]
	s_and_b32 vcc_lo, exec_lo, s7
	s_cbranch_vccnz .LBB68_29
.LBB68_11:                              ; =>This Loop Header: Depth=1
                                        ;     Child Loop BB68_13 Depth 2
                                        ;     Child Loop BB68_28 Depth 2
	s_lshl_b64 s[36:37], s[28:29], 3
	s_mov_b64 s[38:39], s[34:35]
	s_add_u32 s36, s25, s36
	s_addc_u32 s37, s31, s37
	v_add_co_u32 v1, vcc_lo, s38, v7
	s_load_b64 s[34:35], s[36:37], 0x0
	v_add_co_ci_u32_e32 v2, vcc_lo, s39, v8, vcc_lo
	v_mov_b32_e32 v10, 0
	s_mov_b32 s33, exec_lo
	s_waitcnt lgkmcnt(0)
	s_sub_u32 s36, s34, s24
	s_subb_u32 s37, s35, 0
	s_delay_alu instid0(SALU_CYCLE_1)
	v_cmpx_gt_i64_e64 s[36:37], v[1:2]
	s_cbranch_execz .LBB68_15
; %bb.12:                               ;   in Loop: Header=BB68_11 Depth=1
	v_lshlrev_b64 v[3:4], 2, v[1:2]
	v_lshlrev_b64 v[5:6], 1, v[1:2]
	v_mov_b32_e32 v10, 0
	s_mov_b32 s38, 0
	s_delay_alu instid0(VALU_DEP_3) | instskip(NEXT) | instid1(VALU_DEP_4)
	v_add_co_u32 v3, vcc_lo, s10, v3
	v_add_co_ci_u32_e32 v4, vcc_lo, s11, v4, vcc_lo
	s_delay_alu instid0(VALU_DEP_4)
	v_add_co_u32 v5, vcc_lo, s12, v5
	v_add_co_ci_u32_e32 v6, vcc_lo, s13, v6, vcc_lo
	.p2align	6
.LBB68_13:                              ;   Parent Loop BB68_11 Depth=1
                                        ; =>  This Inner Loop Header: Depth=2
	global_load_b32 v11, v[3:4], off
	s_waitcnt vmcnt(0)
	v_subrev_nc_u32_e32 v11, s24, v11
	s_delay_alu instid0(VALU_DEP_1) | instskip(NEXT) | instid1(VALU_DEP_1)
	v_ashrrev_i32_e32 v12, 31, v11
	v_lshlrev_b64 v[11:12], 1, v[11:12]
	s_delay_alu instid0(VALU_DEP_1) | instskip(NEXT) | instid1(VALU_DEP_2)
	v_add_co_u32 v11, vcc_lo, s14, v11
	v_add_co_ci_u32_e32 v12, vcc_lo, s15, v12, vcc_lo
	v_add_co_u32 v1, vcc_lo, 0x100, v1
	global_load_u16 v13, v[5:6], off
	global_load_u16 v11, v[11:12], off
	v_add_co_ci_u32_e32 v2, vcc_lo, 0, v2, vcc_lo
	v_add_co_u32 v3, vcc_lo, 0x400, v3
	v_add_co_ci_u32_e32 v4, vcc_lo, 0, v4, vcc_lo
	s_delay_alu instid0(VALU_DEP_3) | instskip(SKIP_1) | instid1(VALU_DEP_1)
	v_cmp_le_i64_e32 vcc_lo, s[36:37], v[1:2]
	v_add_co_u32 v5, s7, 0x200, v5
	v_add_co_ci_u32_e64 v6, s7, 0, v6, s7
	s_or_b32 s38, vcc_lo, s38
	s_waitcnt vmcnt(0)
	v_fma_mix_f32 v10, v13, v11, v10 op_sel_hi:[1,1,0]
	s_and_not1_b32 exec_lo, exec_lo, s38
	s_cbranch_execnz .LBB68_13
; %bb.14:                               ;   in Loop: Header=BB68_11 Depth=1
	s_or_b32 exec_lo, exec_lo, s38
.LBB68_15:                              ;   in Loop: Header=BB68_11 Depth=1
	s_delay_alu instid0(SALU_CYCLE_1)
	s_or_b32 exec_lo, exec_lo, s33
	ds_store_b32 v15, v10
	s_waitcnt lgkmcnt(0)
	s_barrier
	buffer_gl0_inv
	s_and_saveexec_b32 s7, s2
	s_cbranch_execz .LBB68_17
; %bb.16:                               ;   in Loop: Header=BB68_11 Depth=1
	ds_load_2addr_stride64_b32 v[1:2], v15 offset1:4
	ds_load_2addr_stride64_b32 v[3:4], v15 offset0:8 offset1:12
	s_waitcnt lgkmcnt(0)
	v_add_f32_e32 v2, v2, v3
	s_delay_alu instid0(VALU_DEP_1) | instskip(NEXT) | instid1(VALU_DEP_1)
	v_add_f32_e32 v2, v2, v4
	v_add_f32_e32 v1, v1, v2
	ds_store_b32 v15, v1
.LBB68_17:                              ;   in Loop: Header=BB68_11 Depth=1
	s_or_b32 exec_lo, exec_lo, s7
	s_waitcnt lgkmcnt(0)
	s_barrier
	buffer_gl0_inv
	s_and_saveexec_b32 s7, s3
	s_cbranch_execz .LBB68_19
; %bb.18:                               ;   in Loop: Header=BB68_11 Depth=1
	ds_load_2addr_stride64_b32 v[1:2], v15 offset1:1
	ds_load_2addr_stride64_b32 v[3:4], v15 offset0:2 offset1:3
	s_waitcnt lgkmcnt(0)
	v_add_f32_e32 v2, v2, v3
	s_delay_alu instid0(VALU_DEP_1) | instskip(NEXT) | instid1(VALU_DEP_1)
	v_add_f32_e32 v2, v2, v4
	v_add_f32_e32 v1, v1, v2
	ds_store_b32 v15, v1
.LBB68_19:                              ;   in Loop: Header=BB68_11 Depth=1
	s_or_b32 exec_lo, exec_lo, s7
	s_waitcnt lgkmcnt(0)
	s_barrier
	buffer_gl0_inv
	s_and_saveexec_b32 s7, s4
	s_cbranch_execz .LBB68_21
; %bb.20:                               ;   in Loop: Header=BB68_11 Depth=1
	ds_load_2addr_b32 v[1:2], v15 offset1:16
	ds_load_2addr_b32 v[3:4], v15 offset0:32 offset1:48
	s_waitcnt lgkmcnt(0)
	v_add_f32_e32 v2, v2, v3
	s_delay_alu instid0(VALU_DEP_1) | instskip(NEXT) | instid1(VALU_DEP_1)
	v_add_f32_e32 v2, v2, v4
	v_add_f32_e32 v1, v1, v2
	ds_store_b32 v15, v1
.LBB68_21:                              ;   in Loop: Header=BB68_11 Depth=1
	s_or_b32 exec_lo, exec_lo, s7
	s_waitcnt lgkmcnt(0)
	s_barrier
	buffer_gl0_inv
	s_and_saveexec_b32 s7, s5
	s_cbranch_execz .LBB68_23
; %bb.22:                               ;   in Loop: Header=BB68_11 Depth=1
	ds_load_2addr_b32 v[1:2], v15 offset1:4
	ds_load_2addr_b32 v[3:4], v15 offset0:8 offset1:12
	s_waitcnt lgkmcnt(0)
	v_add_f32_e32 v2, v2, v3
	s_delay_alu instid0(VALU_DEP_1) | instskip(NEXT) | instid1(VALU_DEP_1)
	v_add_f32_e32 v2, v2, v4
	v_add_f32_e32 v1, v1, v2
	ds_store_b32 v15, v1
.LBB68_23:                              ;   in Loop: Header=BB68_11 Depth=1
	s_or_b32 exec_lo, exec_lo, s7
	s_waitcnt lgkmcnt(0)
	s_barrier
	buffer_gl0_inv
	s_and_saveexec_b32 s7, s6
	s_cbranch_execz .LBB68_25
; %bb.24:                               ;   in Loop: Header=BB68_11 Depth=1
	ds_load_2addr_b32 v[1:2], v9 offset0:1 offset1:2
	ds_load_b32 v3, v9 offset:12
	ds_load_b32 v4, v15
	s_waitcnt lgkmcnt(2)
	v_add_f32_e32 v1, v1, v2
	s_waitcnt lgkmcnt(1)
	s_delay_alu instid0(VALU_DEP_1) | instskip(SKIP_1) | instid1(VALU_DEP_1)
	v_add_f32_e32 v1, v1, v3
	s_waitcnt lgkmcnt(0)
	v_add_f32_e32 v1, v4, v1
	ds_store_b32 v15, v1
.LBB68_25:                              ;   in Loop: Header=BB68_11 Depth=1
	s_or_b32 exec_lo, exec_lo, s7
	s_waitcnt lgkmcnt(0)
	s_barrier
	buffer_gl0_inv
	s_and_saveexec_b32 s7, s6
	s_cbranch_execz .LBB68_10
; %bb.26:                               ;   in Loop: Header=BB68_11 Depth=1
	s_mov_b32 s33, exec_lo
	s_delay_alu instid0(SALU_CYCLE_1) | instskip(NEXT) | instid1(VALU_DEP_1)
	v_mbcnt_lo_u32_b32 v1, s33, 0
	v_cmp_eq_u32_e32 vcc_lo, 0, v1
	s_and_b32 s36, exec_lo, vcc_lo
	s_delay_alu instid0(SALU_CYCLE_1)
	s_mov_b32 exec_lo, s36
	s_cbranch_execz .LBB68_10
; %bb.27:                               ;   in Loop: Header=BB68_11 Depth=1
	s_lshl_b64 s[36:37], s[28:29], 2
	ds_load_b32 v1, v9
	s_add_u32 s36, s20, s36
	s_addc_u32 s37, s21, s37
	s_bcnt1_i32_b32 s33, s33
	global_load_b32 v2, v9, s[36:37]
	v_cvt_f32_ubyte0_e32 v3, s33
	s_mov_b32 s33, 0
	s_waitcnt lgkmcnt(0)
	v_mul_f32_e32 v1, s30, v1
	s_delay_alu instid0(VALU_DEP_1)
	v_mul_f32_e32 v3, v1, v3
.LBB68_28:                              ;   Parent Loop BB68_11 Depth=1
                                        ; =>  This Inner Loop Header: Depth=2
	s_waitcnt vmcnt(0)
	s_delay_alu instid0(VALU_DEP_1)
	v_add_f32_e32 v1, v2, v3
	global_atomic_cmpswap_b32 v1, v9, v[1:2], s[36:37] glc
	s_waitcnt vmcnt(0)
	v_cmp_eq_u32_e32 vcc_lo, v1, v2
	v_mov_b32_e32 v2, v1
	s_or_b32 s33, vcc_lo, s33
	s_delay_alu instid0(SALU_CYCLE_1)
	s_and_not1_b32 exec_lo, exec_lo, s33
	s_cbranch_execnz .LBB68_28
	s_branch .LBB68_10
.LBB68_29:
	s_lshl_b64 s[2:3], s[18:19], 3
	s_waitcnt lgkmcnt(0)
	v_add_co_u32 v1, vcc_lo, s26, v7
	s_add_u32 s2, s8, s2
	s_addc_u32 s3, s9, s3
	v_add_co_ci_u32_e32 v2, vcc_lo, s27, v8, vcc_lo
	s_load_b64 s[2:3], s[2:3], 0x0
	s_waitcnt lgkmcnt(0)
	s_sub_u32 s4, s2, s24
	s_subb_u32 s5, s3, 0
	s_mov_b32 s3, exec_lo
	v_cmpx_gt_i64_e64 s[4:5], v[1:2]
	s_cbranch_execz .LBB68_39
; %bb.30:
	s_add_u32 s6, s18, -1
	s_addc_u32 s7, s19, -1
	s_add_u32 s26, s18, -2
	v_cmp_gt_i64_e64 s2, s[6:7], s[16:17]
	s_addc_u32 s27, s19, -1
	s_delay_alu instid0(SALU_CYCLE_1)
	s_cmp_lg_u64 s[26:27], s[16:17]
	s_mov_b32 s26, 0
	s_cselect_b32 s25, -1, 0
	s_delay_alu instid0(VALU_DEP_1) | instid1(SALU_CYCLE_1)
	s_and_b32 s25, s2, s25
	s_branch .LBB68_32
.LBB68_31:                              ;   in Loop: Header=BB68_32 Depth=1
	s_or_b32 exec_lo, exec_lo, s2
	v_add_co_u32 v1, vcc_lo, 0x100, v1
	v_add_co_ci_u32_e32 v2, vcc_lo, 0, v2, vcc_lo
	s_delay_alu instid0(VALU_DEP_1) | instskip(SKIP_1) | instid1(SALU_CYCLE_1)
	v_cmp_le_i64_e32 vcc_lo, s[4:5], v[1:2]
	s_or_b32 s26, vcc_lo, s26
	s_and_not1_b32 exec_lo, exec_lo, s26
	s_cbranch_execz .LBB68_39
.LBB68_32:                              ; =>This Loop Header: Depth=1
                                        ;     Child Loop BB68_34 Depth 2
                                        ;     Child Loop BB68_38 Depth 2
	v_dual_mov_b32 v3, s16 :: v_dual_mov_b32 v4, s17
	v_dual_mov_b32 v5, s6 :: v_dual_mov_b32 v6, s7
	s_and_not1_b32 vcc_lo, exec_lo, s25
	s_cbranch_vccnz .LBB68_36
; %bb.33:                               ;   in Loop: Header=BB68_32 Depth=1
	v_dual_mov_b32 v3, s16 :: v_dual_mov_b32 v4, s17
	v_dual_mov_b32 v5, s6 :: v_dual_mov_b32 v6, s7
	s_mov_b32 s27, 0
	s_set_inst_prefetch_distance 0x1
	.p2align	6
.LBB68_34:                              ;   Parent Loop BB68_32 Depth=1
                                        ; =>  This Inner Loop Header: Depth=2
	s_delay_alu instid0(VALU_DEP_1) | instskip(NEXT) | instid1(VALU_DEP_2)
	v_add_co_u32 v7, vcc_lo, v5, v3
	v_add_co_ci_u32_e32 v8, vcc_lo, v6, v4, vcc_lo
	s_delay_alu instid0(VALU_DEP_1) | instskip(NEXT) | instid1(VALU_DEP_1)
	v_lshrrev_b32_e32 v9, 31, v8
	v_add_co_u32 v7, vcc_lo, v7, v9
	v_add_co_ci_u32_e32 v8, vcc_lo, 0, v8, vcc_lo
	s_delay_alu instid0(VALU_DEP_1) | instskip(NEXT) | instid1(VALU_DEP_1)
	v_ashrrev_i64 v[7:8], 1, v[7:8]
	v_lshlrev_b64 v[9:10], 3, v[7:8]
	s_delay_alu instid0(VALU_DEP_1) | instskip(NEXT) | instid1(VALU_DEP_2)
	v_add_co_u32 v9, vcc_lo, s8, v9
	v_add_co_ci_u32_e32 v10, vcc_lo, s9, v10, vcc_lo
	global_load_b64 v[9:10], v[9:10], off
	s_waitcnt vmcnt(0)
	v_sub_co_u32 v9, vcc_lo, v9, s24
	v_subrev_co_ci_u32_e32 v10, vcc_lo, 0, v10, vcc_lo
	s_delay_alu instid0(VALU_DEP_1) | instskip(SKIP_2) | instid1(VALU_DEP_2)
	v_cmp_gt_i64_e32 vcc_lo, v[9:10], v[1:2]
	v_dual_cndmask_b32 v6, v6, v8 :: v_dual_cndmask_b32 v5, v5, v7
	v_dual_cndmask_b32 v4, v8, v4 :: v_dual_cndmask_b32 v3, v7, v3
	v_add_co_u32 v7, vcc_lo, v5, -1
	s_delay_alu instid0(VALU_DEP_3) | instskip(NEXT) | instid1(VALU_DEP_3)
	v_add_co_ci_u32_e32 v8, vcc_lo, -1, v6, vcc_lo
	v_cmp_ge_i64_e32 vcc_lo, v[3:4], v[5:6]
	s_delay_alu instid0(VALU_DEP_2) | instskip(NEXT) | instid1(VALU_DEP_1)
	v_cmp_eq_u64_e64 s2, v[3:4], v[7:8]
	s_or_b32 s2, vcc_lo, s2
	s_delay_alu instid0(SALU_CYCLE_1) | instskip(NEXT) | instid1(SALU_CYCLE_1)
	s_and_b32 s2, exec_lo, s2
	s_or_b32 s27, s2, s27
	s_delay_alu instid0(SALU_CYCLE_1)
	s_and_not1_b32 exec_lo, exec_lo, s27
	s_cbranch_execnz .LBB68_34
; %bb.35:                               ;   in Loop: Header=BB68_32 Depth=1
	s_set_inst_prefetch_distance 0x2
	s_or_b32 exec_lo, exec_lo, s27
.LBB68_36:                              ;   in Loop: Header=BB68_32 Depth=1
	s_delay_alu instid0(VALU_DEP_1) | instskip(SKIP_2) | instid1(VALU_DEP_2)
	v_lshlrev_b64 v[7:8], 3, v[5:6]
	v_lshlrev_b64 v[9:10], 2, v[1:2]
	s_mov_b32 s2, exec_lo
	v_add_co_u32 v7, vcc_lo, s8, v7
	s_delay_alu instid0(VALU_DEP_3) | instskip(NEXT) | instid1(VALU_DEP_3)
	v_add_co_ci_u32_e32 v8, vcc_lo, s9, v8, vcc_lo
	v_add_co_u32 v9, vcc_lo, s10, v9
	s_delay_alu instid0(VALU_DEP_4)
	v_add_co_ci_u32_e32 v10, vcc_lo, s11, v10, vcc_lo
	global_load_b64 v[7:8], v[7:8], off
	global_load_b32 v9, v[9:10], off
	s_waitcnt vmcnt(1)
	v_sub_co_u32 v7, vcc_lo, v7, s24
	v_subrev_co_ci_u32_e32 v8, vcc_lo, 0, v8, vcc_lo
	s_delay_alu instid0(VALU_DEP_1) | instskip(SKIP_2) | instid1(VALU_DEP_1)
	v_cmp_gt_i64_e32 vcc_lo, v[7:8], v[1:2]
	s_waitcnt vmcnt(0)
	v_subrev_nc_u32_e32 v7, s24, v9
	v_ashrrev_i32_e32 v8, 31, v7
	v_dual_cndmask_b32 v4, v6, v4 :: v_dual_cndmask_b32 v3, v5, v3
	s_delay_alu instid0(VALU_DEP_1)
	v_cmpx_ne_u64_e64 v[3:4], v[7:8]
	s_cbranch_execz .LBB68_31
; %bb.37:                               ;   in Loop: Header=BB68_32 Depth=1
	v_lshlrev_b64 v[5:6], 1, v[1:2]
	v_lshlrev_b64 v[3:4], 1, v[3:4]
	s_mov_b32 s27, 0
	s_delay_alu instid0(VALU_DEP_2) | instskip(NEXT) | instid1(VALU_DEP_3)
	v_add_co_u32 v5, vcc_lo, s12, v5
	v_add_co_ci_u32_e32 v6, vcc_lo, s13, v6, vcc_lo
	s_delay_alu instid0(VALU_DEP_3) | instskip(NEXT) | instid1(VALU_DEP_4)
	v_add_co_u32 v3, vcc_lo, s14, v3
	v_add_co_ci_u32_e32 v4, vcc_lo, s15, v4, vcc_lo
	global_load_u16 v9, v[5:6], off
	v_lshlrev_b64 v[5:6], 2, v[7:8]
	global_load_u16 v7, v[3:4], off
	v_add_co_u32 v3, vcc_lo, s20, v5
	v_add_co_ci_u32_e32 v4, vcc_lo, s21, v6, vcc_lo
	global_load_b32 v6, v[3:4], off
	s_waitcnt vmcnt(2)
	v_cvt_f32_f16_e32 v5, v9
	s_waitcnt vmcnt(1)
	v_cvt_f32_f16_e32 v7, v7
	s_delay_alu instid0(VALU_DEP_2) | instskip(NEXT) | instid1(VALU_DEP_1)
	v_mul_f32_e32 v5, s30, v5
	v_mul_f32_e32 v7, v5, v7
.LBB68_38:                              ;   Parent Loop BB68_32 Depth=1
                                        ; =>  This Inner Loop Header: Depth=2
	s_waitcnt vmcnt(0)
	s_delay_alu instid0(VALU_DEP_1)
	v_add_f32_e32 v5, v6, v7
	global_atomic_cmpswap_b32 v5, v[3:4], v[5:6], off glc
	s_waitcnt vmcnt(0)
	v_cmp_eq_u32_e32 vcc_lo, v5, v6
	v_mov_b32_e32 v6, v5
	s_or_b32 s27, vcc_lo, s27
	s_delay_alu instid0(SALU_CYCLE_1)
	s_and_not1_b32 exec_lo, exec_lo, s27
	s_cbranch_execnz .LBB68_38
	s_branch .LBB68_31
.LBB68_39:
	s_or_b32 exec_lo, exec_lo, s3
	s_mov_b32 s2, 0
.LBB68_40:
	s_delay_alu instid0(SALU_CYCLE_1)
	s_and_b32 vcc_lo, exec_lo, s2
	s_cbranch_vccz .LBB68_167
; %bb.41:
	s_load_b32 s2, s[0:1], 0x6c
	s_mov_b32 s7, 0
	s_mov_b64 s[28:29], 0
	s_waitcnt lgkmcnt(0)
	s_and_b32 s6, s2, 0xffff
	s_delay_alu instid0(SALU_CYCLE_1) | instskip(NEXT) | instid1(VALU_DEP_1)
	v_cmp_lt_u64_e64 s2, s[6:7], s[22:23]
	s_and_b32 vcc_lo, exec_lo, s2
	s_cbranch_vccnz .LBB68_43
; %bb.42:
	v_cvt_f32_u32_e32 v1, s22
	s_sub_i32 s3, 0, s22
	s_delay_alu instid0(VALU_DEP_1) | instskip(SKIP_2) | instid1(VALU_DEP_1)
	v_rcp_iflag_f32_e32 v1, v1
	s_waitcnt_depctr 0xfff
	v_mul_f32_e32 v1, 0x4f7ffffe, v1
	v_cvt_u32_f32_e32 v1, v1
	s_delay_alu instid0(VALU_DEP_1) | instskip(NEXT) | instid1(VALU_DEP_1)
	v_readfirstlane_b32 s2, v1
	s_mul_i32 s3, s3, s2
	s_delay_alu instid0(SALU_CYCLE_1) | instskip(NEXT) | instid1(SALU_CYCLE_1)
	s_mul_hi_u32 s3, s2, s3
	s_add_i32 s2, s2, s3
	s_delay_alu instid0(SALU_CYCLE_1) | instskip(NEXT) | instid1(SALU_CYCLE_1)
	s_mul_hi_u32 s2, s6, s2
	s_mul_i32 s3, s2, s22
	s_add_i32 s4, s2, 1
	s_sub_i32 s3, s6, s3
	s_delay_alu instid0(SALU_CYCLE_1)
	s_sub_i32 s5, s3, s22
	s_cmp_ge_u32 s3, s22
	s_cselect_b32 s2, s4, s2
	s_cselect_b32 s3, s5, s3
	s_add_i32 s4, s2, 1
	s_cmp_ge_u32 s3, s22
	s_cselect_b32 s28, s4, s2
.LBB68_43:
	s_lshl_b64 s[2:3], s[16:17], 3
	v_sub_co_u32 v1, s7, v0, s24
	s_add_u32 s26, s8, s2
	s_addc_u32 s27, s9, s3
	s_load_b64 s[4:5], s[26:27], 0x0
	s_load_b128 s[0:3], s[0:1], 0x8
	v_sub_co_ci_u32_e64 v3, null, 0, 0, s7
	s_waitcnt lgkmcnt(0)
	v_add_co_u32 v2, vcc_lo, s4, v1
	s_delay_alu instid0(VALU_DEP_2) | instskip(SKIP_1) | instid1(VALU_DEP_3)
	v_add_co_ci_u32_e32 v3, vcc_lo, s5, v3, vcc_lo
	v_mov_b32_e32 v1, 0
	v_add_co_u32 v4, vcc_lo, 0x300, v2
	s_delay_alu instid0(VALU_DEP_3) | instskip(NEXT) | instid1(VALU_DEP_1)
	v_add_co_ci_u32_e32 v5, vcc_lo, 0, v3, vcc_lo
	v_cmp_le_i64_e32 vcc_lo, s[0:1], v[4:5]
	s_and_saveexec_b32 s0, vcc_lo
	s_delay_alu instid0(SALU_CYCLE_1)
	s_xor_b32 s7, exec_lo, s0
	s_cbranch_execnz .LBB68_46
; %bb.44:
	s_and_not1_saveexec_b32 s1, s7
	s_cbranch_execnz .LBB68_50
.LBB68_45:
	s_or_b32 exec_lo, exec_lo, s1
	s_delay_alu instid0(SALU_CYCLE_1)
	s_mov_b32 s1, exec_lo
	v_cmpx_gt_i64_e64 s[2:3], v[0:1]
	s_cbranch_execnz .LBB68_51
	s_branch .LBB68_53
.LBB68_46:
	s_lshl_b64 s[0:1], s[18:19], 3
	s_mov_b32 s25, exec_lo
	s_add_u32 s0, s8, s0
	s_addc_u32 s1, s9, s1
	s_load_b64 s[0:1], s[0:1], 0x0
	s_waitcnt lgkmcnt(0)
	s_sub_u32 s34, s0, s4
	s_subb_u32 s35, s1, s5
	s_delay_alu instid0(SALU_CYCLE_1)
	v_cmpx_gt_i64_e64 s[34:35], v[0:1]
	s_cbranch_execz .LBB68_49
; %bb.47:
	v_lshlrev_b64 v[6:7], 1, v[2:3]
	v_dual_mov_b32 v10, v15 :: v_dual_mov_b32 v9, v1
	v_mov_b32_e32 v8, v0
	s_mov_b32 s29, 0
	s_delay_alu instid0(VALU_DEP_3) | instskip(NEXT) | instid1(VALU_DEP_1)
	v_add_co_u32 v6, s0, s12, v6
	v_add_co_ci_u32_e64 v7, s0, s13, v7, s0
	.p2align	6
.LBB68_48:                              ; =>This Inner Loop Header: Depth=1
	global_load_u16 v11, v[6:7], off
	v_add_co_u32 v8, s0, 0x100, v8
	s_delay_alu instid0(VALU_DEP_1) | instskip(SKIP_1) | instid1(VALU_DEP_1)
	v_add_co_ci_u32_e64 v9, s0, 0, v9, s0
	v_add_co_u32 v6, s0, 0x200, v6
	v_add_co_ci_u32_e64 v7, s0, 0, v7, s0
	s_delay_alu instid0(VALU_DEP_3) | instskip(NEXT) | instid1(VALU_DEP_1)
	v_cmp_le_i64_e64 s1, s[34:35], v[8:9]
	s_or_b32 s29, s1, s29
	s_waitcnt vmcnt(0)
	v_cvt_f32_f16_e32 v11, v11
	s_delay_alu instid0(VALU_DEP_1)
	v_mul_f32_e32 v11, s30, v11
	ds_store_b32 v10, v11
	v_add_nc_u32_e32 v10, 0x400, v10
	s_and_not1_b32 exec_lo, exec_lo, s29
	s_cbranch_execnz .LBB68_48
.LBB68_49:
	s_or_b32 exec_lo, exec_lo, s25
	s_and_not1_saveexec_b32 s1, s7
	s_cbranch_execz .LBB68_45
.LBB68_50:
	v_lshlrev_b64 v[6:7], 1, v[2:3]
	s_delay_alu instid0(VALU_DEP_1) | instskip(NEXT) | instid1(VALU_DEP_1)
	v_add_co_u32 v6, s0, s12, v6
	v_add_co_ci_u32_e64 v7, s0, s13, v7, s0
	s_clause 0x3
	global_load_u16 v8, v[6:7], off
	global_load_u16 v9, v[6:7], off offset:512
	global_load_u16 v10, v[6:7], off offset:1024
	;; [unrolled: 1-line block ×3, first 2 shown]
	s_waitcnt vmcnt(3)
	v_cvt_f32_f16_e32 v7, v8
	s_waitcnt vmcnt(2)
	v_cvt_f32_f16_e32 v8, v9
	;; [unrolled: 2-line block ×4, first 2 shown]
	v_dual_mul_f32 v7, s30, v7 :: v_dual_mul_f32 v8, s30, v8
	s_delay_alu instid0(VALU_DEP_2) | instskip(SKIP_3) | instid1(SALU_CYCLE_1)
	v_dual_mul_f32 v9, s30, v9 :: v_dual_mul_f32 v6, s30, v6
	ds_store_2addr_stride64_b32 v15, v7, v8 offset1:4
	ds_store_2addr_stride64_b32 v15, v9, v6 offset0:8 offset1:12
	s_or_b32 exec_lo, exec_lo, s1
	s_mov_b32 s1, exec_lo
	v_cmpx_gt_i64_e64 s[2:3], v[0:1]
	s_cbranch_execz .LBB68_53
.LBB68_51:
	v_mov_b32_e32 v7, v1
	v_lshl_add_u32 v8, v0, 2, 0x1000
	v_dual_mov_b32 v9, 0 :: v_dual_mov_b32 v6, v0
	s_mov_b32 s7, 0
.LBB68_52:                              ; =>This Inner Loop Header: Depth=1
	s_delay_alu instid0(VALU_DEP_1) | instskip(NEXT) | instid1(VALU_DEP_1)
	v_add_co_u32 v6, s0, 0x100, v6
	v_add_co_ci_u32_e64 v7, s0, 0, v7, s0
	ds_store_b32 v8, v9
	v_add_nc_u32_e32 v8, 0x400, v8
	v_cmp_le_i64_e64 s0, s[2:3], v[6:7]
	s_delay_alu instid0(VALU_DEP_1) | instskip(NEXT) | instid1(SALU_CYCLE_1)
	s_or_b32 s7, s0, s7
	s_and_not1_b32 exec_lo, exec_lo, s7
	s_cbranch_execnz .LBB68_52
.LBB68_53:
	s_or_b32 exec_lo, exec_lo, s1
	v_cmp_ge_i64_e64 s0, s[18:19], s[2:3]
	s_sub_u32 s1, s18, s2
	s_subb_u32 s7, s19, s3
	s_waitcnt lgkmcnt(0)
	s_barrier
	buffer_gl0_inv
	s_and_b32 s0, s0, exec_lo
	s_cselect_b32 s13, s7, 0
	s_cselect_b32 s12, s1, 0
	s_and_saveexec_b32 s0, vcc_lo
	s_delay_alu instid0(SALU_CYCLE_1)
	s_xor_b32 s7, exec_lo, s0
	s_cbranch_execz .LBB68_72
; %bb.54:
	s_lshl_b64 s[0:1], s[18:19], 3
	s_mov_b32 s25, exec_lo
	s_add_u32 s0, s8, s0
	s_addc_u32 s1, s9, s1
	s_load_b64 s[0:1], s[0:1], 0x0
	s_waitcnt lgkmcnt(0)
	s_sub_u32 s30, s0, s4
	s_subb_u32 s31, s1, s5
	s_delay_alu instid0(SALU_CYCLE_1)
	v_cmpx_gt_i64_e64 s[30:31], v[0:1]
	s_cbranch_execz .LBB68_71
; %bb.55:
	s_add_u32 s34, s18, -1
	s_addc_u32 s35, s19, -1
	s_add_u32 s36, s18, -2
	v_cmp_gt_i64_e64 s29, s[34:35], s[16:17]
	s_addc_u32 s37, s19, -1
	s_mov_b64 s[38:39], 0
	s_cmp_lg_u64 s[36:37], s[16:17]
	s_cselect_b32 s33, -1, 0
	s_delay_alu instid0(VALU_DEP_1) | instid1(SALU_CYCLE_1)
	s_and_b32 s29, s29, s33
	s_sub_u32 s36, s0, s24
	s_subb_u32 s37, s1, 0
	s_mov_b32 s1, 0
	s_branch .LBB68_58
.LBB68_56:                              ;   in Loop: Header=BB68_58 Depth=1
	s_or_b32 exec_lo, exec_lo, s0
.LBB68_57:                              ;   in Loop: Header=BB68_58 Depth=1
	s_delay_alu instid0(SALU_CYCLE_1) | instskip(SKIP_3) | instid1(VALU_DEP_1)
	s_or_b32 exec_lo, exec_lo, s33
	v_lshlrev_b64 v[4:5], 1, v[4:5]
	s_add_u32 s38, s38, 0x100
	s_addc_u32 s39, s39, 0
	v_add_co_u32 v4, vcc_lo, s14, v4
	s_delay_alu instid0(VALU_DEP_2) | instskip(SKIP_2) | instid1(VALU_DEP_1)
	v_add_co_ci_u32_e32 v5, vcc_lo, s15, v5, vcc_lo
	global_load_u16 v6, v[4:5], off
	v_add_co_u32 v4, s0, s38, v0
	v_add_co_ci_u32_e64 v5, null, s39, 0, s0
	s_delay_alu instid0(VALU_DEP_1)
	v_cmp_le_i64_e32 vcc_lo, s[30:31], v[4:5]
	v_lshlrev_b32_e32 v4, 2, v10
	s_or_b32 s1, vcc_lo, s1
	s_waitcnt vmcnt(0)
	v_cvt_f32_f16_e32 v6, v6
	s_waitcnt lgkmcnt(0)
	s_delay_alu instid0(VALU_DEP_1)
	v_mul_f32_e32 v5, v11, v6
	ds_store_b32 v4, v5
	s_and_not1_b32 exec_lo, exec_lo, s1
	s_cbranch_execz .LBB68_71
.LBB68_58:                              ; =>This Loop Header: Depth=1
                                        ;     Child Loop BB68_60 Depth 2
                                        ;     Child Loop BB68_67 Depth 2
	v_add_co_u32 v6, vcc_lo, s38, v2
	v_add_co_ci_u32_e32 v7, vcc_lo, s39, v3, vcc_lo
	v_dual_mov_b32 v8, s16 :: v_dual_mov_b32 v9, s17
	v_dual_mov_b32 v10, s34 :: v_dual_mov_b32 v11, s35
	s_and_not1_b32 vcc_lo, exec_lo, s29
	s_cbranch_vccnz .LBB68_62
; %bb.59:                               ;   in Loop: Header=BB68_58 Depth=1
	v_dual_mov_b32 v8, s16 :: v_dual_mov_b32 v9, s17
	v_dual_mov_b32 v10, s34 :: v_dual_mov_b32 v11, s35
	s_mov_b32 s33, 0
	s_set_inst_prefetch_distance 0x1
	.p2align	6
.LBB68_60:                              ;   Parent Loop BB68_58 Depth=1
                                        ; =>  This Inner Loop Header: Depth=2
	s_delay_alu instid0(VALU_DEP_1) | instskip(NEXT) | instid1(VALU_DEP_2)
	v_add_co_u32 v4, vcc_lo, v10, v8
	v_add_co_ci_u32_e32 v5, vcc_lo, v11, v9, vcc_lo
	s_delay_alu instid0(VALU_DEP_1) | instskip(NEXT) | instid1(VALU_DEP_1)
	v_lshrrev_b32_e32 v12, 31, v5
	v_add_co_u32 v4, vcc_lo, v4, v12
	v_add_co_ci_u32_e32 v5, vcc_lo, 0, v5, vcc_lo
	s_delay_alu instid0(VALU_DEP_1) | instskip(NEXT) | instid1(VALU_DEP_1)
	v_ashrrev_i64 v[4:5], 1, v[4:5]
	v_lshlrev_b64 v[12:13], 3, v[4:5]
	s_delay_alu instid0(VALU_DEP_1) | instskip(NEXT) | instid1(VALU_DEP_2)
	v_add_co_u32 v12, vcc_lo, s8, v12
	v_add_co_ci_u32_e32 v13, vcc_lo, s9, v13, vcc_lo
	global_load_b64 v[12:13], v[12:13], off
	s_waitcnt vmcnt(0)
	v_sub_co_u32 v12, vcc_lo, v12, s24
	v_subrev_co_ci_u32_e32 v13, vcc_lo, 0, v13, vcc_lo
	s_delay_alu instid0(VALU_DEP_1) | instskip(SKIP_2) | instid1(VALU_DEP_2)
	v_cmp_gt_i64_e32 vcc_lo, v[12:13], v[6:7]
	v_dual_cndmask_b32 v11, v11, v5 :: v_dual_cndmask_b32 v10, v10, v4
	v_dual_cndmask_b32 v9, v5, v9 :: v_dual_cndmask_b32 v8, v4, v8
	v_add_co_u32 v4, vcc_lo, v10, -1
	s_delay_alu instid0(VALU_DEP_3) | instskip(NEXT) | instid1(VALU_DEP_3)
	v_add_co_ci_u32_e32 v5, vcc_lo, -1, v11, vcc_lo
	v_cmp_ge_i64_e32 vcc_lo, v[8:9], v[10:11]
	s_delay_alu instid0(VALU_DEP_2) | instskip(NEXT) | instid1(VALU_DEP_1)
	v_cmp_eq_u64_e64 s0, v[8:9], v[4:5]
	s_or_b32 s0, vcc_lo, s0
	s_delay_alu instid0(SALU_CYCLE_1) | instskip(NEXT) | instid1(SALU_CYCLE_1)
	s_and_b32 s0, exec_lo, s0
	s_or_b32 s33, s0, s33
	s_delay_alu instid0(SALU_CYCLE_1)
	s_and_not1_b32 exec_lo, exec_lo, s33
	s_cbranch_execnz .LBB68_60
; %bb.61:                               ;   in Loop: Header=BB68_58 Depth=1
	s_set_inst_prefetch_distance 0x2
	s_or_b32 exec_lo, exec_lo, s33
.LBB68_62:                              ;   in Loop: Header=BB68_58 Depth=1
	s_delay_alu instid0(VALU_DEP_1) | instskip(SKIP_2) | instid1(VALU_DEP_3)
	v_lshlrev_b64 v[4:5], 3, v[10:11]
	v_lshlrev_b64 v[12:13], 2, v[6:7]
	v_cmp_le_i64_e64 s0, s[36:37], v[6:7]
	v_add_co_u32 v4, vcc_lo, s8, v4
	s_delay_alu instid0(VALU_DEP_4) | instskip(NEXT) | instid1(VALU_DEP_4)
	v_add_co_ci_u32_e32 v5, vcc_lo, s9, v5, vcc_lo
	v_add_co_u32 v12, vcc_lo, s10, v12
	v_add_co_ci_u32_e32 v13, vcc_lo, s11, v13, vcc_lo
	global_load_b64 v[4:5], v[4:5], off
	global_load_b32 v14, v[12:13], off
	s_waitcnt vmcnt(1)
	v_sub_co_u32 v12, vcc_lo, v4, s24
	v_subrev_co_ci_u32_e32 v13, vcc_lo, 0, v5, vcc_lo
	s_waitcnt vmcnt(0)
	v_subrev_nc_u32_e32 v4, s24, v14
	s_delay_alu instid0(VALU_DEP_2) | instskip(NEXT) | instid1(VALU_DEP_2)
	v_cmp_gt_i64_e32 vcc_lo, v[12:13], v[6:7]
	v_ashrrev_i32_e32 v5, 31, v4
	v_dual_cndmask_b32 v9, v11, v9 :: v_dual_cndmask_b32 v8, v10, v8
	v_add_co_u32 v10, null, s38, v0
                                        ; implicit-def: $vgpr11
	s_delay_alu instid0(VALU_DEP_2) | instskip(NEXT) | instid1(VALU_DEP_2)
	v_cmp_eq_u64_e32 vcc_lo, v[8:9], v[4:5]
	v_lshlrev_b32_e32 v12, 2, v10
	s_or_b32 s0, vcc_lo, s0
	s_delay_alu instid0(SALU_CYCLE_1) | instskip(NEXT) | instid1(SALU_CYCLE_1)
	s_and_saveexec_b32 s33, s0
	s_xor_b32 s0, exec_lo, s33
	s_cbranch_execz .LBB68_64
; %bb.63:                               ;   in Loop: Header=BB68_58 Depth=1
	ds_load_b32 v11, v12
                                        ; implicit-def: $vgpr12
                                        ; implicit-def: $vgpr8_vgpr9
.LBB68_64:                              ;   in Loop: Header=BB68_58 Depth=1
	s_and_not1_saveexec_b32 s33, s0
	s_cbranch_execz .LBB68_57
; %bb.65:                               ;   in Loop: Header=BB68_58 Depth=1
	v_cmp_gt_i64_e32 vcc_lo, s[12:13], v[4:5]
	v_cmp_le_i64_e64 s0, s[18:19], v[4:5]
	v_lshlrev_b64 v[6:7], 1, v[8:9]
                                        ; implicit-def: $vgpr11
	s_delay_alu instid0(VALU_DEP_2) | instskip(NEXT) | instid1(SALU_CYCLE_1)
	s_or_b32 s0, vcc_lo, s0
	s_and_saveexec_b32 s40, s0
	s_delay_alu instid0(SALU_CYCLE_1)
	s_xor_b32 s0, exec_lo, s40
	s_cbranch_execz .LBB68_69
; %bb.66:                               ;   in Loop: Header=BB68_58 Depth=1
	s_delay_alu instid0(VALU_DEP_1)
	v_add_co_u32 v6, vcc_lo, s14, v6
	v_add_co_ci_u32_e32 v7, vcc_lo, s15, v7, vcc_lo
	v_lshlrev_b64 v[8:9], 2, v[4:5]
	s_waitcnt lgkmcnt(0)
	ds_load_b32 v11, v12
	s_mov_b32 s40, 0
	global_load_u16 v13, v[6:7], off
	v_add_co_u32 v6, vcc_lo, s20, v8
	v_add_co_ci_u32_e32 v7, vcc_lo, s21, v9, vcc_lo
	global_load_b32 v9, v[6:7], off
	s_waitcnt vmcnt(1)
	v_cvt_f32_f16_e32 v8, v13
	s_waitcnt lgkmcnt(0)
	s_delay_alu instid0(VALU_DEP_1)
	v_mul_f32_e32 v12, v11, v8
.LBB68_67:                              ;   Parent Loop BB68_58 Depth=1
                                        ; =>  This Inner Loop Header: Depth=2
	s_waitcnt vmcnt(0)
	s_delay_alu instid0(VALU_DEP_1)
	v_add_f32_e32 v8, v9, v12
	global_atomic_cmpswap_b32 v8, v[6:7], v[8:9], off glc
	s_waitcnt vmcnt(0)
	v_cmp_eq_u32_e32 vcc_lo, v8, v9
	v_mov_b32_e32 v9, v8
	s_or_b32 s40, vcc_lo, s40
	s_delay_alu instid0(SALU_CYCLE_1)
	s_and_not1_b32 exec_lo, exec_lo, s40
	s_cbranch_execnz .LBB68_67
; %bb.68:                               ;   in Loop: Header=BB68_58 Depth=1
	s_or_b32 exec_lo, exec_lo, s40
                                        ; implicit-def: $vgpr12
                                        ; implicit-def: $vgpr6_vgpr7
.LBB68_69:                              ;   in Loop: Header=BB68_58 Depth=1
	s_and_not1_saveexec_b32 s0, s0
	s_cbranch_execz .LBB68_56
; %bb.70:                               ;   in Loop: Header=BB68_58 Depth=1
	v_add_co_u32 v6, vcc_lo, s14, v6
	v_add_co_ci_u32_e32 v7, vcc_lo, s15, v7, vcc_lo
	s_waitcnt lgkmcnt(0)
	ds_load_b32 v11, v12
	global_load_u16 v6, v[6:7], off
	v_subrev_nc_u32_e32 v7, s12, v4
	s_delay_alu instid0(VALU_DEP_1) | instskip(SKIP_3) | instid1(VALU_DEP_1)
	v_lshl_add_u32 v7, v7, 2, 0x1000
	s_waitcnt vmcnt(0)
	v_cvt_f32_f16_e32 v6, v6
	s_waitcnt lgkmcnt(0)
	v_mul_f32_e32 v6, v11, v6
	ds_add_f32 v7, v6
	s_branch .LBB68_56
.LBB68_71:
	s_or_b32 exec_lo, exec_lo, s25
                                        ; implicit-def: $vgpr4_vgpr5
                                        ; implicit-def: $vgpr2
.LBB68_72:
	s_and_not1_saveexec_b32 s1, s7
	s_cbranch_execz .LBB68_122
; %bb.73:
	s_add_u32 s30, s18, -1
	s_addc_u32 s31, s19, -1
	s_add_u32 s34, s18, -2
	v_cmp_le_i64_e64 s0, s[30:31], s[16:17]
	s_addc_u32 s35, s19, -1
	v_dual_mov_b32 v9, s16 :: v_dual_mov_b32 v10, s17
	s_cmp_eq_u64 s[34:35], s[16:17]
	v_dual_mov_b32 v11, s30 :: v_dual_mov_b32 v12, s31
	s_cselect_b32 s7, -1, 0
	s_delay_alu instid0(SALU_CYCLE_1) | instskip(NEXT) | instid1(SALU_CYCLE_1)
	s_or_b32 s7, s0, s7
	s_and_b32 vcc_lo, exec_lo, s7
	s_cbranch_vccnz .LBB68_77
; %bb.74:
	v_dual_mov_b32 v9, s16 :: v_dual_mov_b32 v10, s17
	v_dual_mov_b32 v11, s30 :: v_dual_mov_b32 v12, s31
	s_mov_b32 s25, 0
	s_set_inst_prefetch_distance 0x1
	.p2align	6
.LBB68_75:                              ; =>This Inner Loop Header: Depth=1
	s_delay_alu instid0(VALU_DEP_1) | instskip(NEXT) | instid1(VALU_DEP_2)
	v_add_co_u32 v6, vcc_lo, v11, v9
	v_add_co_ci_u32_e32 v7, vcc_lo, v12, v10, vcc_lo
	s_delay_alu instid0(VALU_DEP_1) | instskip(NEXT) | instid1(VALU_DEP_1)
	v_lshrrev_b32_e32 v8, 31, v7
	v_add_co_u32 v6, vcc_lo, v6, v8
	v_add_co_ci_u32_e32 v7, vcc_lo, 0, v7, vcc_lo
	s_delay_alu instid0(VALU_DEP_1) | instskip(NEXT) | instid1(VALU_DEP_1)
	v_ashrrev_i64 v[6:7], 1, v[6:7]
	v_lshlrev_b64 v[13:14], 3, v[6:7]
	s_delay_alu instid0(VALU_DEP_1) | instskip(NEXT) | instid1(VALU_DEP_2)
	v_add_co_u32 v13, vcc_lo, s8, v13
	v_add_co_ci_u32_e32 v14, vcc_lo, s9, v14, vcc_lo
	global_load_b64 v[13:14], v[13:14], off
	s_waitcnt vmcnt(0)
	v_sub_co_u32 v13, vcc_lo, v13, s24
	v_subrev_co_ci_u32_e32 v14, vcc_lo, 0, v14, vcc_lo
	s_delay_alu instid0(VALU_DEP_1) | instskip(SKIP_2) | instid1(VALU_DEP_2)
	v_cmp_gt_i64_e32 vcc_lo, v[13:14], v[2:3]
	v_dual_cndmask_b32 v12, v12, v7 :: v_dual_cndmask_b32 v11, v11, v6
	v_dual_cndmask_b32 v10, v7, v10 :: v_dual_cndmask_b32 v9, v6, v9
	v_add_co_u32 v6, vcc_lo, v11, -1
	s_delay_alu instid0(VALU_DEP_3) | instskip(NEXT) | instid1(VALU_DEP_3)
	v_add_co_ci_u32_e32 v7, vcc_lo, -1, v12, vcc_lo
	v_cmp_ge_i64_e32 vcc_lo, v[9:10], v[11:12]
	s_delay_alu instid0(VALU_DEP_2) | instskip(NEXT) | instid1(VALU_DEP_1)
	v_cmp_eq_u64_e64 s0, v[9:10], v[6:7]
	s_or_b32 s0, vcc_lo, s0
	s_delay_alu instid0(SALU_CYCLE_1) | instskip(NEXT) | instid1(SALU_CYCLE_1)
	s_and_b32 s0, exec_lo, s0
	s_or_b32 s25, s0, s25
	s_delay_alu instid0(SALU_CYCLE_1)
	s_and_not1_b32 exec_lo, exec_lo, s25
	s_cbranch_execnz .LBB68_75
; %bb.76:
	s_set_inst_prefetch_distance 0x2
	s_or_b32 exec_lo, exec_lo, s25
.LBB68_77:
	v_lshlrev_b64 v[6:7], 3, v[11:12]
	v_lshlrev_b64 v[13:14], 2, v[2:3]
	s_xor_b32 s7, s7, -1
	s_mov_b32 s25, exec_lo
	s_delay_alu instid0(VALU_DEP_2) | instskip(NEXT) | instid1(VALU_DEP_3)
	v_add_co_u32 v6, vcc_lo, s8, v6
	v_add_co_ci_u32_e32 v7, vcc_lo, s9, v7, vcc_lo
	global_load_b64 v[16:17], v[6:7], off
	v_add_co_u32 v6, vcc_lo, s10, v13
	v_add_co_ci_u32_e32 v7, vcc_lo, s11, v14, vcc_lo
	s_lshl_b64 s[10:11], s[18:19], 3
	s_delay_alu instid0(SALU_CYCLE_1)
	s_add_u32 s10, s8, s10
	global_load_b32 v8, v[6:7], off
	s_addc_u32 s11, s9, s11
	s_waitcnt vmcnt(1)
	v_sub_co_u32 v13, vcc_lo, v16, s24
	v_subrev_co_ci_u32_e32 v14, vcc_lo, 0, v17, vcc_lo
	s_delay_alu instid0(VALU_DEP_1) | instskip(SKIP_3) | instid1(VALU_DEP_2)
	v_cmp_gt_i64_e32 vcc_lo, v[13:14], v[2:3]
	s_waitcnt vmcnt(0)
	v_subrev_nc_u32_e32 v8, s24, v8
	v_dual_cndmask_b32 v12, v12, v10 :: v_dual_cndmask_b32 v11, v11, v9
	v_ashrrev_i32_e32 v9, 31, v8
	s_delay_alu instid0(VALU_DEP_1)
	v_cmpx_ne_u64_e64 v[11:12], v[8:9]
	s_cbranch_execz .LBB68_85
; %bb.78:
	s_load_b64 s[34:35], s[10:11], 0x0
	s_waitcnt lgkmcnt(0)
	s_sub_u32 s34, s34, s24
	s_subb_u32 s35, s35, 0
	s_delay_alu instid0(SALU_CYCLE_1)
	v_cmp_gt_i64_e32 vcc_lo, s[34:35], v[2:3]
	s_and_b32 exec_lo, exec_lo, vcc_lo
	s_cbranch_execz .LBB68_85
; %bb.79:
	v_cmp_gt_i64_e32 vcc_lo, s[12:13], v[8:9]
	v_cmp_le_i64_e64 s0, s[18:19], v[8:9]
	v_lshlrev_b64 v[10:11], 1, v[11:12]
	s_delay_alu instid0(VALU_DEP_2) | instskip(NEXT) | instid1(SALU_CYCLE_1)
	s_or_b32 s0, vcc_lo, s0
	s_and_saveexec_b32 s29, s0
	s_delay_alu instid0(SALU_CYCLE_1)
	s_xor_b32 s0, exec_lo, s29
	s_cbranch_execz .LBB68_83
; %bb.80:
	s_delay_alu instid0(VALU_DEP_1)
	v_add_co_u32 v10, vcc_lo, s14, v10
	v_add_co_ci_u32_e32 v11, vcc_lo, s15, v11, vcc_lo
	v_lshlrev_b64 v[12:13], 2, v[8:9]
	s_mov_b32 s29, 0
	global_load_u16 v14, v[10:11], off
	v_add_co_u32 v10, vcc_lo, s20, v12
	v_add_co_ci_u32_e32 v11, vcc_lo, s21, v13, vcc_lo
	ds_load_b32 v12, v15
	global_load_b32 v13, v[10:11], off
	s_waitcnt vmcnt(1)
	v_cvt_f32_f16_e32 v14, v14
	s_waitcnt lgkmcnt(0)
	s_delay_alu instid0(VALU_DEP_1)
	v_mul_f32_e32 v14, v12, v14
.LBB68_81:                              ; =>This Inner Loop Header: Depth=1
	s_waitcnt vmcnt(0)
	s_delay_alu instid0(VALU_DEP_1)
	v_add_f32_e32 v12, v13, v14
	global_atomic_cmpswap_b32 v12, v[10:11], v[12:13], off glc
	s_waitcnt vmcnt(0)
	v_cmp_eq_u32_e32 vcc_lo, v12, v13
	v_mov_b32_e32 v13, v12
	s_or_b32 s29, vcc_lo, s29
	s_delay_alu instid0(SALU_CYCLE_1)
	s_and_not1_b32 exec_lo, exec_lo, s29
	s_cbranch_execnz .LBB68_81
; %bb.82:
	s_or_b32 exec_lo, exec_lo, s29
                                        ; implicit-def: $vgpr10_vgpr11
.LBB68_83:
	s_and_not1_saveexec_b32 s0, s0
	s_cbranch_execz .LBB68_85
; %bb.84:
	v_add_co_u32 v10, vcc_lo, s14, v10
	v_add_co_ci_u32_e32 v11, vcc_lo, s15, v11, vcc_lo
	v_subrev_nc_u32_e32 v12, s12, v8
	global_load_u16 v10, v[10:11], off
	ds_load_b32 v11, v15
	v_lshl_add_u32 v12, v12, 2, 0x1000
	s_waitcnt vmcnt(0)
	v_cvt_f32_f16_e32 v10, v10
	s_waitcnt lgkmcnt(0)
	s_delay_alu instid0(VALU_DEP_1)
	v_mul_f32_e32 v10, v11, v10
	ds_add_f32 v12, v10
.LBB68_85:
	s_or_b32 exec_lo, exec_lo, s25
	v_lshlrev_b64 v[8:9], 1, v[8:9]
	ds_load_b32 v10, v15
	v_cndmask_b32_e64 v16, 0, 1, s7
	v_dual_mov_b32 v13, s30 :: v_dual_mov_b32 v14, s31
	v_add_co_u32 v8, vcc_lo, s14, v8
	v_add_co_ci_u32_e32 v9, vcc_lo, s15, v9, vcc_lo
	global_load_u16 v8, v[8:9], off
	s_waitcnt vmcnt(0)
	v_cvt_f32_f16_e32 v11, v8
	v_add_co_u32 v8, vcc_lo, 0x100, v2
	v_add_co_ci_u32_e32 v9, vcc_lo, 0, v3, vcc_lo
	s_waitcnt lgkmcnt(0)
	s_delay_alu instid0(VALU_DEP_3)
	v_dual_mul_f32 v10, v10, v11 :: v_dual_mov_b32 v11, s16
	v_mov_b32_e32 v12, s17
	s_and_not1_b32 vcc_lo, exec_lo, s7
	ds_store_b32 v15, v10
	s_cbranch_vccnz .LBB68_89
; %bb.86:
	v_dual_mov_b32 v11, s16 :: v_dual_mov_b32 v12, s17
	v_dual_mov_b32 v13, s30 :: v_dual_mov_b32 v14, s31
	s_mov_b32 s7, 0
	s_set_inst_prefetch_distance 0x1
	.p2align	6
.LBB68_87:                              ; =>This Inner Loop Header: Depth=1
	s_delay_alu instid0(VALU_DEP_1) | instskip(NEXT) | instid1(VALU_DEP_2)
	v_add_co_u32 v10, vcc_lo, v13, v11
	v_add_co_ci_u32_e32 v18, vcc_lo, v14, v12, vcc_lo
	s_delay_alu instid0(VALU_DEP_1) | instskip(NEXT) | instid1(VALU_DEP_1)
	v_lshrrev_b32_e32 v17, 31, v18
	v_add_co_u32 v17, vcc_lo, v10, v17
	v_add_co_ci_u32_e32 v18, vcc_lo, 0, v18, vcc_lo
	s_delay_alu instid0(VALU_DEP_1) | instskip(NEXT) | instid1(VALU_DEP_1)
	v_ashrrev_i64 v[17:18], 1, v[17:18]
	v_lshlrev_b64 v[19:20], 3, v[17:18]
	s_delay_alu instid0(VALU_DEP_1) | instskip(NEXT) | instid1(VALU_DEP_2)
	v_add_co_u32 v19, vcc_lo, s8, v19
	v_add_co_ci_u32_e32 v20, vcc_lo, s9, v20, vcc_lo
	global_load_b64 v[19:20], v[19:20], off
	s_waitcnt vmcnt(0)
	v_sub_co_u32 v19, vcc_lo, v19, s24
	v_subrev_co_ci_u32_e32 v20, vcc_lo, 0, v20, vcc_lo
	s_delay_alu instid0(VALU_DEP_1) | instskip(SKIP_2) | instid1(VALU_DEP_2)
	v_cmp_gt_i64_e32 vcc_lo, v[19:20], v[8:9]
	v_dual_cndmask_b32 v14, v14, v18 :: v_dual_cndmask_b32 v13, v13, v17
	v_dual_cndmask_b32 v12, v18, v12 :: v_dual_cndmask_b32 v11, v17, v11
	v_add_co_u32 v17, vcc_lo, v13, -1
	s_delay_alu instid0(VALU_DEP_3) | instskip(NEXT) | instid1(VALU_DEP_3)
	v_add_co_ci_u32_e32 v18, vcc_lo, -1, v14, vcc_lo
	v_cmp_ge_i64_e32 vcc_lo, v[11:12], v[13:14]
	s_delay_alu instid0(VALU_DEP_2) | instskip(NEXT) | instid1(VALU_DEP_1)
	v_cmp_eq_u64_e64 s0, v[11:12], v[17:18]
	s_or_b32 s0, vcc_lo, s0
	s_delay_alu instid0(SALU_CYCLE_1) | instskip(NEXT) | instid1(SALU_CYCLE_1)
	s_and_b32 s0, exec_lo, s0
	s_or_b32 s7, s0, s7
	s_delay_alu instid0(SALU_CYCLE_1)
	s_and_not1_b32 exec_lo, exec_lo, s7
	s_cbranch_execnz .LBB68_87
; %bb.88:
	s_set_inst_prefetch_distance 0x2
	s_or_b32 exec_lo, exec_lo, s7
.LBB68_89:
	v_lshlrev_b64 v[17:18], 3, v[13:14]
	s_mov_b32 s7, exec_lo
	s_delay_alu instid0(VALU_DEP_1) | instskip(NEXT) | instid1(VALU_DEP_2)
	v_add_co_u32 v17, vcc_lo, s8, v17
	v_add_co_ci_u32_e32 v18, vcc_lo, s9, v18, vcc_lo
	global_load_b64 v[17:18], v[17:18], off
	global_load_b32 v10, v[6:7], off offset:1024
	s_waitcnt vmcnt(1)
	v_sub_co_u32 v17, vcc_lo, v17, s24
	v_subrev_co_ci_u32_e32 v18, vcc_lo, 0, v18, vcc_lo
	s_waitcnt vmcnt(0)
	v_subrev_nc_u32_e32 v10, s24, v10
	s_delay_alu instid0(VALU_DEP_2) | instskip(SKIP_1) | instid1(VALU_DEP_3)
	v_cmp_gt_i64_e32 vcc_lo, v[17:18], v[8:9]
	v_dual_cndmask_b32 v14, v14, v12 :: v_dual_cndmask_b32 v13, v13, v11
	v_ashrrev_i32_e32 v11, 31, v10
	s_delay_alu instid0(VALU_DEP_1)
	v_cmpx_ne_u64_e64 v[13:14], v[10:11]
	s_cbranch_execz .LBB68_97
; %bb.90:
	s_load_b64 s[34:35], s[10:11], 0x0
	s_waitcnt lgkmcnt(0)
	s_sub_u32 s34, s34, s24
	s_subb_u32 s35, s35, 0
	s_delay_alu instid0(SALU_CYCLE_1)
	v_cmp_gt_i64_e32 vcc_lo, s[34:35], v[8:9]
	s_and_b32 exec_lo, exec_lo, vcc_lo
	s_cbranch_execz .LBB68_97
; %bb.91:
	v_cmp_gt_i64_e32 vcc_lo, s[12:13], v[10:11]
	v_cmp_le_i64_e64 s0, s[18:19], v[10:11]
	v_lshlrev_b64 v[8:9], 1, v[13:14]
	s_delay_alu instid0(VALU_DEP_2) | instskip(NEXT) | instid1(SALU_CYCLE_1)
	s_or_b32 s0, vcc_lo, s0
	s_and_saveexec_b32 s25, s0
	s_delay_alu instid0(SALU_CYCLE_1)
	s_xor_b32 s0, exec_lo, s25
	s_cbranch_execz .LBB68_95
; %bb.92:
	s_delay_alu instid0(VALU_DEP_1)
	v_add_co_u32 v8, vcc_lo, s14, v8
	v_add_co_ci_u32_e32 v9, vcc_lo, s15, v9, vcc_lo
	v_lshlrev_b64 v[12:13], 2, v[10:11]
	s_mov_b32 s25, 0
	global_load_u16 v14, v[8:9], off
	v_add_co_u32 v8, vcc_lo, s20, v12
	v_add_co_ci_u32_e32 v9, vcc_lo, s21, v13, vcc_lo
	ds_load_b32 v12, v15 offset:1024
	global_load_b32 v13, v[8:9], off
	s_waitcnt vmcnt(1)
	v_cvt_f32_f16_e32 v14, v14
	s_waitcnt lgkmcnt(0)
	s_delay_alu instid0(VALU_DEP_1)
	v_mul_f32_e32 v14, v12, v14
.LBB68_93:                              ; =>This Inner Loop Header: Depth=1
	s_waitcnt vmcnt(0)
	s_delay_alu instid0(VALU_DEP_1)
	v_add_f32_e32 v12, v13, v14
	global_atomic_cmpswap_b32 v12, v[8:9], v[12:13], off glc
	s_waitcnt vmcnt(0)
	v_cmp_eq_u32_e32 vcc_lo, v12, v13
	v_mov_b32_e32 v13, v12
	s_or_b32 s25, vcc_lo, s25
	s_delay_alu instid0(SALU_CYCLE_1)
	s_and_not1_b32 exec_lo, exec_lo, s25
	s_cbranch_execnz .LBB68_93
; %bb.94:
	s_or_b32 exec_lo, exec_lo, s25
                                        ; implicit-def: $vgpr8_vgpr9
.LBB68_95:
	s_and_not1_saveexec_b32 s0, s0
	s_cbranch_execz .LBB68_97
; %bb.96:
	v_add_co_u32 v8, vcc_lo, s14, v8
	v_add_co_ci_u32_e32 v9, vcc_lo, s15, v9, vcc_lo
	v_subrev_nc_u32_e32 v12, s12, v10
	global_load_u16 v8, v[8:9], off
	ds_load_b32 v9, v15 offset:1024
	v_lshl_add_u32 v12, v12, 2, 0x1000
	s_waitcnt vmcnt(0)
	v_cvt_f32_f16_e32 v8, v8
	s_waitcnt lgkmcnt(0)
	s_delay_alu instid0(VALU_DEP_1)
	v_mul_f32_e32 v8, v9, v8
	ds_add_f32 v12, v8
.LBB68_97:
	s_or_b32 exec_lo, exec_lo, s7
	v_lshlrev_b64 v[8:9], 1, v[10:11]
	v_dual_mov_b32 v11, s30 :: v_dual_mov_b32 v12, s31
	s_delay_alu instid0(VALU_DEP_2) | instskip(NEXT) | instid1(VALU_DEP_3)
	v_add_co_u32 v8, vcc_lo, s14, v8
	v_add_co_ci_u32_e32 v9, vcc_lo, s15, v9, vcc_lo
	v_add_co_u32 v2, vcc_lo, 0x200, v2
	v_add_co_ci_u32_e32 v3, vcc_lo, 0, v3, vcc_lo
	global_load_u16 v8, v[8:9], off
	ds_load_b32 v9, v15 offset:1024
	v_cmp_ne_u32_e32 vcc_lo, 1, v16
	s_and_b32 vcc_lo, exec_lo, vcc_lo
	s_waitcnt vmcnt(0)
	v_cvt_f32_f16_e32 v8, v8
	s_waitcnt lgkmcnt(0)
	s_delay_alu instid0(VALU_DEP_1)
	v_dual_mul_f32 v8, v9, v8 :: v_dual_mov_b32 v9, s16
	v_mov_b32_e32 v10, s17
	ds_store_b32 v15, v8 offset:1024
	s_cbranch_vccnz .LBB68_101
; %bb.98:
	v_dual_mov_b32 v9, s16 :: v_dual_mov_b32 v10, s17
	v_dual_mov_b32 v11, s30 :: v_dual_mov_b32 v12, s31
	s_mov_b32 s7, 0
	s_set_inst_prefetch_distance 0x1
	.p2align	6
.LBB68_99:                              ; =>This Inner Loop Header: Depth=1
	s_delay_alu instid0(VALU_DEP_1) | instskip(NEXT) | instid1(VALU_DEP_2)
	v_add_co_u32 v8, vcc_lo, v11, v9
	v_add_co_ci_u32_e32 v14, vcc_lo, v12, v10, vcc_lo
	s_delay_alu instid0(VALU_DEP_1) | instskip(NEXT) | instid1(VALU_DEP_1)
	v_lshrrev_b32_e32 v13, 31, v14
	v_add_co_u32 v13, vcc_lo, v8, v13
	v_add_co_ci_u32_e32 v14, vcc_lo, 0, v14, vcc_lo
	s_delay_alu instid0(VALU_DEP_1) | instskip(NEXT) | instid1(VALU_DEP_1)
	v_ashrrev_i64 v[13:14], 1, v[13:14]
	v_lshlrev_b64 v[17:18], 3, v[13:14]
	s_delay_alu instid0(VALU_DEP_1) | instskip(NEXT) | instid1(VALU_DEP_2)
	v_add_co_u32 v17, vcc_lo, s8, v17
	v_add_co_ci_u32_e32 v18, vcc_lo, s9, v18, vcc_lo
	global_load_b64 v[17:18], v[17:18], off
	s_waitcnt vmcnt(0)
	v_sub_co_u32 v17, vcc_lo, v17, s24
	v_subrev_co_ci_u32_e32 v18, vcc_lo, 0, v18, vcc_lo
	s_delay_alu instid0(VALU_DEP_1) | instskip(SKIP_2) | instid1(VALU_DEP_2)
	v_cmp_gt_i64_e32 vcc_lo, v[17:18], v[2:3]
	v_dual_cndmask_b32 v12, v12, v14 :: v_dual_cndmask_b32 v11, v11, v13
	v_dual_cndmask_b32 v10, v14, v10 :: v_dual_cndmask_b32 v9, v13, v9
	v_add_co_u32 v13, vcc_lo, v11, -1
	s_delay_alu instid0(VALU_DEP_3) | instskip(NEXT) | instid1(VALU_DEP_3)
	v_add_co_ci_u32_e32 v14, vcc_lo, -1, v12, vcc_lo
	v_cmp_ge_i64_e32 vcc_lo, v[9:10], v[11:12]
	s_delay_alu instid0(VALU_DEP_2) | instskip(NEXT) | instid1(VALU_DEP_1)
	v_cmp_eq_u64_e64 s0, v[9:10], v[13:14]
	s_or_b32 s0, vcc_lo, s0
	s_delay_alu instid0(SALU_CYCLE_1) | instskip(NEXT) | instid1(SALU_CYCLE_1)
	s_and_b32 s0, exec_lo, s0
	s_or_b32 s7, s0, s7
	s_delay_alu instid0(SALU_CYCLE_1)
	s_and_not1_b32 exec_lo, exec_lo, s7
	s_cbranch_execnz .LBB68_99
; %bb.100:
	s_set_inst_prefetch_distance 0x2
	s_or_b32 exec_lo, exec_lo, s7
.LBB68_101:
	v_lshlrev_b64 v[13:14], 3, v[11:12]
	s_mov_b32 s7, exec_lo
	s_delay_alu instid0(VALU_DEP_1) | instskip(NEXT) | instid1(VALU_DEP_2)
	v_add_co_u32 v13, vcc_lo, s8, v13
	v_add_co_ci_u32_e32 v14, vcc_lo, s9, v14, vcc_lo
	global_load_b64 v[13:14], v[13:14], off
	global_load_b32 v8, v[6:7], off offset:2048
	s_waitcnt vmcnt(1)
	v_sub_co_u32 v13, vcc_lo, v13, s24
	v_subrev_co_ci_u32_e32 v14, vcc_lo, 0, v14, vcc_lo
	s_waitcnt vmcnt(0)
	v_subrev_nc_u32_e32 v8, s24, v8
	s_delay_alu instid0(VALU_DEP_2) | instskip(SKIP_1) | instid1(VALU_DEP_3)
	v_cmp_gt_i64_e32 vcc_lo, v[13:14], v[2:3]
	v_dual_cndmask_b32 v12, v12, v10 :: v_dual_cndmask_b32 v11, v11, v9
	v_ashrrev_i32_e32 v9, 31, v8
	s_delay_alu instid0(VALU_DEP_1)
	v_cmpx_ne_u64_e64 v[11:12], v[8:9]
	s_cbranch_execz .LBB68_109
; %bb.102:
	s_load_b64 s[34:35], s[10:11], 0x0
	s_waitcnt lgkmcnt(0)
	s_sub_u32 s34, s34, s24
	s_subb_u32 s35, s35, 0
	s_delay_alu instid0(SALU_CYCLE_1)
	v_cmp_gt_i64_e32 vcc_lo, s[34:35], v[2:3]
	s_and_b32 exec_lo, exec_lo, vcc_lo
	s_cbranch_execz .LBB68_109
; %bb.103:
	v_cmp_gt_i64_e32 vcc_lo, s[12:13], v[8:9]
	v_cmp_le_i64_e64 s0, s[18:19], v[8:9]
	v_lshlrev_b64 v[2:3], 1, v[11:12]
	s_delay_alu instid0(VALU_DEP_2) | instskip(NEXT) | instid1(SALU_CYCLE_1)
	s_or_b32 s0, vcc_lo, s0
	s_and_saveexec_b32 s25, s0
	s_delay_alu instid0(SALU_CYCLE_1)
	s_xor_b32 s0, exec_lo, s25
	s_cbranch_execz .LBB68_107
; %bb.104:
	s_delay_alu instid0(VALU_DEP_1)
	v_add_co_u32 v2, vcc_lo, s14, v2
	v_add_co_ci_u32_e32 v3, vcc_lo, s15, v3, vcc_lo
	v_lshlrev_b64 v[10:11], 2, v[8:9]
	s_mov_b32 s25, 0
	global_load_u16 v12, v[2:3], off
	v_add_co_u32 v2, vcc_lo, s20, v10
	v_add_co_ci_u32_e32 v3, vcc_lo, s21, v11, vcc_lo
	ds_load_b32 v10, v15 offset:2048
	global_load_b32 v11, v[2:3], off
	s_waitcnt vmcnt(1)
	v_cvt_f32_f16_e32 v12, v12
	s_waitcnt lgkmcnt(0)
	s_delay_alu instid0(VALU_DEP_1)
	v_mul_f32_e32 v12, v10, v12
.LBB68_105:                             ; =>This Inner Loop Header: Depth=1
	s_waitcnt vmcnt(0)
	s_delay_alu instid0(VALU_DEP_1)
	v_add_f32_e32 v10, v11, v12
	global_atomic_cmpswap_b32 v10, v[2:3], v[10:11], off glc
	s_waitcnt vmcnt(0)
	v_cmp_eq_u32_e32 vcc_lo, v10, v11
	v_mov_b32_e32 v11, v10
	s_or_b32 s25, vcc_lo, s25
	s_delay_alu instid0(SALU_CYCLE_1)
	s_and_not1_b32 exec_lo, exec_lo, s25
	s_cbranch_execnz .LBB68_105
; %bb.106:
	s_or_b32 exec_lo, exec_lo, s25
                                        ; implicit-def: $vgpr2_vgpr3
.LBB68_107:
	s_and_not1_saveexec_b32 s0, s0
	s_cbranch_execz .LBB68_109
; %bb.108:
	v_add_co_u32 v2, vcc_lo, s14, v2
	v_add_co_ci_u32_e32 v3, vcc_lo, s15, v3, vcc_lo
	v_subrev_nc_u32_e32 v10, s12, v8
	global_load_u16 v2, v[2:3], off
	ds_load_b32 v3, v15 offset:2048
	v_lshl_add_u32 v10, v10, 2, 0x1000
	s_waitcnt vmcnt(0)
	v_cvt_f32_f16_e32 v2, v2
	s_waitcnt lgkmcnt(0)
	s_delay_alu instid0(VALU_DEP_1)
	v_mul_f32_e32 v2, v3, v2
	ds_add_f32 v10, v2
.LBB68_109:
	s_or_b32 exec_lo, exec_lo, s7
	v_lshlrev_b64 v[2:3], 1, v[8:9]
	v_mov_b32_e32 v8, s16
	v_dual_mov_b32 v10, s30 :: v_dual_mov_b32 v11, s31
	v_mov_b32_e32 v9, s17
	s_delay_alu instid0(VALU_DEP_4)
	v_add_co_u32 v2, vcc_lo, s14, v2
	v_add_co_ci_u32_e32 v3, vcc_lo, s15, v3, vcc_lo
	v_cmp_ne_u32_e32 vcc_lo, 1, v16
	global_load_u16 v2, v[2:3], off
	ds_load_b32 v3, v15 offset:2048
	s_and_b32 vcc_lo, exec_lo, vcc_lo
	s_waitcnt vmcnt(0)
	v_cvt_f32_f16_e32 v2, v2
	s_waitcnt lgkmcnt(0)
	s_delay_alu instid0(VALU_DEP_1)
	v_mul_f32_e32 v2, v3, v2
	ds_store_b32 v15, v2 offset:2048
	s_cbranch_vccnz .LBB68_113
; %bb.110:
	v_dual_mov_b32 v8, s16 :: v_dual_mov_b32 v9, s17
	v_dual_mov_b32 v10, s30 :: v_dual_mov_b32 v11, s31
	s_mov_b32 s7, 0
	s_set_inst_prefetch_distance 0x1
	.p2align	6
.LBB68_111:                             ; =>This Inner Loop Header: Depth=1
	s_delay_alu instid0(VALU_DEP_1) | instskip(NEXT) | instid1(VALU_DEP_2)
	v_add_co_u32 v2, vcc_lo, v10, v8
	v_add_co_ci_u32_e32 v3, vcc_lo, v11, v9, vcc_lo
	s_delay_alu instid0(VALU_DEP_1) | instskip(NEXT) | instid1(VALU_DEP_1)
	v_lshrrev_b32_e32 v12, 31, v3
	v_add_co_u32 v2, vcc_lo, v2, v12
	v_add_co_ci_u32_e32 v3, vcc_lo, 0, v3, vcc_lo
	s_delay_alu instid0(VALU_DEP_1) | instskip(NEXT) | instid1(VALU_DEP_1)
	v_ashrrev_i64 v[2:3], 1, v[2:3]
	v_lshlrev_b64 v[12:13], 3, v[2:3]
	s_delay_alu instid0(VALU_DEP_1) | instskip(NEXT) | instid1(VALU_DEP_2)
	v_add_co_u32 v12, vcc_lo, s8, v12
	v_add_co_ci_u32_e32 v13, vcc_lo, s9, v13, vcc_lo
	global_load_b64 v[12:13], v[12:13], off
	s_waitcnt vmcnt(0)
	v_sub_co_u32 v12, vcc_lo, v12, s24
	v_subrev_co_ci_u32_e32 v13, vcc_lo, 0, v13, vcc_lo
	s_delay_alu instid0(VALU_DEP_1) | instskip(SKIP_2) | instid1(VALU_DEP_2)
	v_cmp_gt_i64_e32 vcc_lo, v[12:13], v[4:5]
	v_dual_cndmask_b32 v11, v11, v3 :: v_dual_cndmask_b32 v10, v10, v2
	v_dual_cndmask_b32 v9, v3, v9 :: v_dual_cndmask_b32 v8, v2, v8
	v_add_co_u32 v2, vcc_lo, v10, -1
	s_delay_alu instid0(VALU_DEP_3) | instskip(NEXT) | instid1(VALU_DEP_3)
	v_add_co_ci_u32_e32 v3, vcc_lo, -1, v11, vcc_lo
	v_cmp_ge_i64_e32 vcc_lo, v[8:9], v[10:11]
	s_delay_alu instid0(VALU_DEP_2) | instskip(NEXT) | instid1(VALU_DEP_1)
	v_cmp_eq_u64_e64 s0, v[8:9], v[2:3]
	s_or_b32 s0, vcc_lo, s0
	s_delay_alu instid0(SALU_CYCLE_1) | instskip(NEXT) | instid1(SALU_CYCLE_1)
	s_and_b32 s0, exec_lo, s0
	s_or_b32 s7, s0, s7
	s_delay_alu instid0(SALU_CYCLE_1)
	s_and_not1_b32 exec_lo, exec_lo, s7
	s_cbranch_execnz .LBB68_111
; %bb.112:
	s_set_inst_prefetch_distance 0x2
	s_or_b32 exec_lo, exec_lo, s7
.LBB68_113:
	v_lshlrev_b64 v[2:3], 3, v[10:11]
	s_mov_b32 s7, exec_lo
	s_delay_alu instid0(VALU_DEP_1) | instskip(NEXT) | instid1(VALU_DEP_2)
	v_add_co_u32 v2, vcc_lo, s8, v2
	v_add_co_ci_u32_e32 v3, vcc_lo, s9, v3, vcc_lo
	global_load_b64 v[2:3], v[2:3], off
	global_load_b32 v6, v[6:7], off offset:3072
	s_waitcnt vmcnt(1)
	v_sub_co_u32 v2, vcc_lo, v2, s24
	v_subrev_co_ci_u32_e32 v3, vcc_lo, 0, v3, vcc_lo
	s_delay_alu instid0(VALU_DEP_1) | instskip(SKIP_2) | instid1(VALU_DEP_1)
	v_cmp_gt_i64_e32 vcc_lo, v[2:3], v[4:5]
	s_waitcnt vmcnt(0)
	v_subrev_nc_u32_e32 v2, s24, v6
	v_ashrrev_i32_e32 v3, 31, v2
	v_dual_cndmask_b32 v7, v11, v9 :: v_dual_cndmask_b32 v6, v10, v8
	s_delay_alu instid0(VALU_DEP_1)
	v_cmpx_ne_u64_e64 v[6:7], v[2:3]
	s_cbranch_execz .LBB68_121
; %bb.114:
	s_load_b64 s[10:11], s[10:11], 0x0
	s_waitcnt lgkmcnt(0)
	s_sub_u32 s10, s10, s24
	s_subb_u32 s11, s11, 0
	s_delay_alu instid0(SALU_CYCLE_1)
	v_cmp_gt_i64_e32 vcc_lo, s[10:11], v[4:5]
	s_and_b32 exec_lo, exec_lo, vcc_lo
	s_cbranch_execz .LBB68_121
; %bb.115:
	v_cmp_gt_i64_e32 vcc_lo, s[12:13], v[2:3]
	v_cmp_le_i64_e64 s0, s[18:19], v[2:3]
	v_lshlrev_b64 v[4:5], 1, v[6:7]
	s_delay_alu instid0(VALU_DEP_2) | instskip(NEXT) | instid1(SALU_CYCLE_1)
	s_or_b32 s0, vcc_lo, s0
	s_and_saveexec_b32 s10, s0
	s_delay_alu instid0(SALU_CYCLE_1)
	s_xor_b32 s0, exec_lo, s10
	s_cbranch_execz .LBB68_119
; %bb.116:
	s_delay_alu instid0(VALU_DEP_1)
	v_add_co_u32 v4, vcc_lo, s14, v4
	v_add_co_ci_u32_e32 v5, vcc_lo, s15, v5, vcc_lo
	v_lshlrev_b64 v[6:7], 2, v[2:3]
	s_mov_b32 s10, 0
	global_load_u16 v8, v[4:5], off
	v_add_co_u32 v4, vcc_lo, s20, v6
	v_add_co_ci_u32_e32 v5, vcc_lo, s21, v7, vcc_lo
	ds_load_b32 v6, v15 offset:3072
	global_load_b32 v7, v[4:5], off
	s_waitcnt vmcnt(1)
	v_cvt_f32_f16_e32 v8, v8
	s_waitcnt lgkmcnt(0)
	s_delay_alu instid0(VALU_DEP_1)
	v_mul_f32_e32 v8, v6, v8
.LBB68_117:                             ; =>This Inner Loop Header: Depth=1
	s_waitcnt vmcnt(0)
	s_delay_alu instid0(VALU_DEP_1)
	v_add_f32_e32 v6, v7, v8
	global_atomic_cmpswap_b32 v6, v[4:5], v[6:7], off glc
	s_waitcnt vmcnt(0)
	v_cmp_eq_u32_e32 vcc_lo, v6, v7
	v_mov_b32_e32 v7, v6
	s_or_b32 s10, vcc_lo, s10
	s_delay_alu instid0(SALU_CYCLE_1)
	s_and_not1_b32 exec_lo, exec_lo, s10
	s_cbranch_execnz .LBB68_117
; %bb.118:
	s_or_b32 exec_lo, exec_lo, s10
                                        ; implicit-def: $vgpr4_vgpr5
.LBB68_119:
	s_and_not1_saveexec_b32 s0, s0
	s_cbranch_execz .LBB68_121
; %bb.120:
	v_add_co_u32 v4, vcc_lo, s14, v4
	v_add_co_ci_u32_e32 v5, vcc_lo, s15, v5, vcc_lo
	v_subrev_nc_u32_e32 v6, s12, v2
	global_load_u16 v4, v[4:5], off
	ds_load_b32 v5, v15 offset:3072
	v_lshl_add_u32 v6, v6, 2, 0x1000
	s_waitcnt vmcnt(0)
	v_cvt_f32_f16_e32 v4, v4
	s_waitcnt lgkmcnt(0)
	s_delay_alu instid0(VALU_DEP_1)
	v_mul_f32_e32 v4, v5, v4
	ds_add_f32 v6, v4
.LBB68_121:
	s_or_b32 exec_lo, exec_lo, s7
	v_lshlrev_b64 v[2:3], 1, v[2:3]
	s_delay_alu instid0(VALU_DEP_1) | instskip(NEXT) | instid1(VALU_DEP_2)
	v_add_co_u32 v2, vcc_lo, s14, v2
	v_add_co_ci_u32_e32 v3, vcc_lo, s15, v3, vcc_lo
	global_load_u16 v2, v[2:3], off
	ds_load_b32 v3, v15 offset:3072
	s_waitcnt vmcnt(0)
	v_cvt_f32_f16_e32 v2, v2
	s_waitcnt lgkmcnt(0)
	s_delay_alu instid0(VALU_DEP_1)
	v_mul_f32_e32 v2, v3, v2
	ds_store_b32 v15, v2 offset:3072
.LBB68_122:
	s_or_b32 exec_lo, exec_lo, s1
	v_cmp_lt_i64_e64 s0, s[18:19], s[2:3]
	s_waitcnt lgkmcnt(0)
	s_barrier
	buffer_gl0_inv
	s_and_b32 s0, s0, exec_lo
	s_cselect_b32 s1, s18, s2
	s_cselect_b32 s0, s19, s3
	s_sub_u32 s2, s1, s22
	s_subb_u32 s3, s0, s23
	s_mov_b32 s0, exec_lo
	v_cmpx_gt_i64_e64 s[2:3], v[0:1]
	s_cbranch_execz .LBB68_127
; %bb.123:
	s_lshl_b64 s[10:11], s[12:13], 2
	v_dual_mov_b32 v3, v1 :: v_dual_mov_b32 v2, v0
	s_add_u32 s7, s20, s10
	s_addc_u32 s10, s21, s11
	s_mov_b32 s11, 0
	.p2align	6
.LBB68_124:                             ; =>This Loop Header: Depth=1
                                        ;     Child Loop BB68_125 Depth 2
	s_delay_alu instid0(VALU_DEP_1)
	v_lshlrev_b64 v[4:5], 2, v[2:3]
	v_lshl_add_u32 v6, v2, 2, 0x1000
	s_mov_b32 s12, 0
	ds_load_b32 v8, v6
	v_add_co_u32 v4, vcc_lo, s7, v4
	v_add_co_ci_u32_e32 v5, vcc_lo, s10, v5, vcc_lo
	global_load_b32 v7, v[4:5], off
.LBB68_125:                             ;   Parent Loop BB68_124 Depth=1
                                        ; =>  This Inner Loop Header: Depth=2
	s_waitcnt vmcnt(0) lgkmcnt(0)
	v_add_f32_e32 v6, v7, v8
	global_atomic_cmpswap_b32 v6, v[4:5], v[6:7], off glc
	s_waitcnt vmcnt(0)
	v_cmp_eq_u32_e32 vcc_lo, v6, v7
	v_mov_b32_e32 v7, v6
	s_or_b32 s12, vcc_lo, s12
	s_delay_alu instid0(SALU_CYCLE_1)
	s_and_not1_b32 exec_lo, exec_lo, s12
	s_cbranch_execnz .LBB68_125
; %bb.126:                              ;   in Loop: Header=BB68_124 Depth=1
	s_or_b32 exec_lo, exec_lo, s12
	v_add_co_u32 v2, vcc_lo, 0x100, v2
	v_add_co_ci_u32_e32 v3, vcc_lo, 0, v3, vcc_lo
	s_delay_alu instid0(VALU_DEP_1) | instskip(SKIP_1) | instid1(SALU_CYCLE_1)
	v_cmp_le_i64_e32 vcc_lo, s[2:3], v[2:3]
	s_or_b32 s11, vcc_lo, s11
	s_and_not1_b32 exec_lo, exec_lo, s11
	s_cbranch_execnz .LBB68_124
.LBB68_127:
	s_or_b32 exec_lo, exec_lo, s0
	s_add_i32 s0, s28, -1
	v_add_co_u32 v6, s10, s16, v0
	s_ashr_i32 s3, s0, 1
	v_add_co_ci_u32_e64 v7, null, s17, 0, s10
	s_or_b32 s0, s3, s0
	s_delay_alu instid0(SALU_CYCLE_1) | instskip(SKIP_4) | instid1(SALU_CYCLE_1)
	s_ashr_i32 s3, s0, 2
	s_barrier
	s_or_b32 s0, s3, s0
	buffer_gl0_inv
	s_ashr_i32 s3, s0, 4
	s_or_b32 s0, s3, s0
	s_delay_alu instid0(SALU_CYCLE_1) | instskip(NEXT) | instid1(SALU_CYCLE_1)
	s_ashr_i32 s3, s0, 8
	s_or_b32 s0, s3, s0
	s_delay_alu instid0(SALU_CYCLE_1) | instskip(NEXT) | instid1(SALU_CYCLE_1)
	s_ashr_i32 s3, s0, 16
	s_or_b32 s3, s3, s0
	s_mov_b32 s0, -1
	s_add_i32 s3, s3, 1
	s_delay_alu instid0(SALU_CYCLE_1) | instskip(NEXT) | instid1(SALU_CYCLE_1)
	s_ashr_i32 s7, s3, 1
	s_cmp_gt_i32 s7, 1
	s_cbranch_scc1 .LBB68_138
; %bb.128:
	s_mov_b32 s0, exec_lo
	v_cmpx_gt_i64_e64 s[18:19], v[6:7]
	s_cbranch_execz .LBB68_137
; %bb.129:
	s_sub_i32 s1, s1, s18
	v_dual_mov_b32 v9, v7 :: v_dual_mov_b32 v8, v6
	s_lshl_b32 s11, s4, 2
	s_lshl_b32 s1, s1, 2
	s_mov_b32 s10, 0
	s_addk_i32 s1, 0x1000
	s_sub_i32 s11, 0, s11
.LBB68_130:                             ; =>This Loop Header: Depth=1
                                        ;     Child Loop BB68_132 Depth 2
                                        ;     Child Loop BB68_135 Depth 2
	v_lshlrev_b64 v[2:3], 3, v[8:9]
	v_mov_b32_e32 v12, 0
	s_mov_b32 s12, exec_lo
	s_delay_alu instid0(VALU_DEP_2) | instskip(NEXT) | instid1(VALU_DEP_3)
	v_add_co_u32 v2, vcc_lo, s8, v2
	v_add_co_ci_u32_e32 v3, vcc_lo, s9, v3, vcc_lo
	global_load_b128 v[2:5], v[2:3], off
	s_waitcnt vmcnt(0)
	v_cmpx_lt_i64_e64 v[2:3], v[4:5]
	s_cbranch_execz .LBB68_134
; %bb.131:                              ;   in Loop: Header=BB68_130 Depth=1
	v_sub_co_u32 v4, vcc_lo, v4, s4
	v_subrev_co_ci_u32_e32 v5, vcc_lo, s5, v5, vcc_lo
	v_sub_co_u32 v10, vcc_lo, v2, s4
	v_subrev_co_ci_u32_e32 v11, vcc_lo, s5, v3, vcc_lo
	v_lshl_add_u32 v2, v2, 2, s11
	v_mov_b32_e32 v12, 0
	s_mov_b32 s13, 0
.LBB68_132:                             ;   Parent Loop BB68_130 Depth=1
                                        ; =>  This Inner Loop Header: Depth=2
	ds_load_b32 v3, v2
	v_add_co_u32 v10, vcc_lo, v10, 1
	v_add_co_ci_u32_e32 v11, vcc_lo, 0, v11, vcc_lo
	v_add_nc_u32_e32 v2, 4, v2
	s_delay_alu instid0(VALU_DEP_2)
	v_cmp_ge_i64_e32 vcc_lo, v[10:11], v[4:5]
	s_or_b32 s13, vcc_lo, s13
	s_waitcnt lgkmcnt(0)
	v_add_f32_e32 v12, v12, v3
	s_and_not1_b32 exec_lo, exec_lo, s13
	s_cbranch_execnz .LBB68_132
; %bb.133:                              ;   in Loop: Header=BB68_130 Depth=1
	s_or_b32 exec_lo, exec_lo, s13
.LBB68_134:                             ;   in Loop: Header=BB68_130 Depth=1
	s_delay_alu instid0(SALU_CYCLE_1)
	s_or_b32 exec_lo, exec_lo, s12
	v_lshlrev_b64 v[2:3], 2, v[8:9]
	v_lshl_add_u32 v4, v8, 2, s1
	s_mov_b32 s12, 0
	ds_load_b32 v4, v4
	v_add_co_u32 v2, vcc_lo, s20, v2
	v_add_co_ci_u32_e32 v3, vcc_lo, s21, v3, vcc_lo
	global_load_b32 v5, v[2:3], off
	s_waitcnt lgkmcnt(0)
	v_add_f32_e32 v10, v12, v4
.LBB68_135:                             ;   Parent Loop BB68_130 Depth=1
                                        ; =>  This Inner Loop Header: Depth=2
	s_waitcnt vmcnt(0)
	s_delay_alu instid0(VALU_DEP_1)
	v_add_f32_e32 v4, v5, v10
	global_atomic_cmpswap_b32 v4, v[2:3], v[4:5], off glc
	s_waitcnt vmcnt(0)
	v_cmp_eq_u32_e32 vcc_lo, v4, v5
	v_mov_b32_e32 v5, v4
	s_or_b32 s12, vcc_lo, s12
	s_delay_alu instid0(SALU_CYCLE_1)
	s_and_not1_b32 exec_lo, exec_lo, s12
	s_cbranch_execnz .LBB68_135
; %bb.136:                              ;   in Loop: Header=BB68_130 Depth=1
	s_or_b32 exec_lo, exec_lo, s12
	v_add_co_u32 v8, vcc_lo, v8, s6
	v_add_co_ci_u32_e32 v9, vcc_lo, 0, v9, vcc_lo
	s_delay_alu instid0(VALU_DEP_1) | instskip(SKIP_1) | instid1(SALU_CYCLE_1)
	v_cmp_le_i64_e32 vcc_lo, s[18:19], v[8:9]
	s_or_b32 s10, vcc_lo, s10
	s_and_not1_b32 exec_lo, exec_lo, s10
	s_cbranch_execnz .LBB68_130
.LBB68_137:
	s_or_b32 exec_lo, exec_lo, s0
	s_mov_b32 s0, 0
.LBB68_138:
	s_delay_alu instid0(SALU_CYCLE_1)
	s_and_not1_b32 vcc_lo, exec_lo, s0
	s_cbranch_vccnz .LBB68_167
; %bb.139:
	v_cvt_f32_u32_e32 v13, s7
	s_sub_i32 s1, 0, s7
	v_mov_b32_e32 v11, 0
	s_delay_alu instid0(VALU_DEP_2) | instskip(SKIP_2) | instid1(VALU_DEP_1)
	v_rcp_iflag_f32_e32 v2, v13
	s_waitcnt_depctr 0xfff
	v_mul_f32_e32 v2, 0x4f7ffffe, v2
	v_cvt_u32_f32_e32 v2, v2
	s_delay_alu instid0(VALU_DEP_1) | instskip(NEXT) | instid1(VALU_DEP_1)
	v_mul_lo_u32 v3, s1, v2
	v_mul_hi_u32 v3, v2, v3
	s_delay_alu instid0(VALU_DEP_1) | instskip(NEXT) | instid1(VALU_DEP_1)
	v_add_nc_u32_e32 v2, v2, v3
	v_mul_hi_u32 v2, v0, v2
	s_delay_alu instid0(VALU_DEP_1) | instskip(SKIP_1) | instid1(VALU_DEP_2)
	v_mul_lo_u32 v3, v2, s7
	v_add_nc_u32_e32 v4, 1, v2
	v_sub_nc_u32_e32 v3, v0, v3
	s_delay_alu instid0(VALU_DEP_1) | instskip(SKIP_1) | instid1(VALU_DEP_2)
	v_subrev_nc_u32_e32 v5, s7, v3
	v_cmp_le_u32_e32 vcc_lo, s7, v3
	v_dual_cndmask_b32 v2, v2, v4 :: v_dual_cndmask_b32 v3, v3, v5
	s_delay_alu instid0(VALU_DEP_1) | instskip(NEXT) | instid1(VALU_DEP_2)
	v_add_nc_u32_e32 v4, 1, v2
	v_cmp_le_u32_e32 vcc_lo, s7, v3
	s_delay_alu instid0(VALU_DEP_2) | instskip(NEXT) | instid1(VALU_DEP_1)
	v_cndmask_b32_e32 v10, v2, v4, vcc_lo
	v_lshlrev_b64 v[2:3], 3, v[10:11]
	s_delay_alu instid0(VALU_DEP_1) | instskip(NEXT) | instid1(VALU_DEP_2)
	v_add_co_u32 v2, vcc_lo, s26, v2
	v_add_co_ci_u32_e32 v3, vcc_lo, s27, v3, vcc_lo
	global_load_b128 v[2:5], v[2:3], off
	s_waitcnt vmcnt(0)
	v_sub_co_u32 v8, vcc_lo, v2, s4
	v_subrev_co_ci_u32_e32 v9, vcc_lo, s5, v3, vcc_lo
	v_sub_co_u32 v14, vcc_lo, v4, s4
	v_subrev_co_ci_u32_e32 v16, vcc_lo, s5, v5, vcc_lo
	v_mov_b32_e32 v4, v11
	s_delay_alu instid0(VALU_DEP_3) | instskip(NEXT) | instid1(VALU_DEP_3)
	v_sub_co_u32 v12, vcc_lo, v14, v8
	v_sub_co_ci_u32_e32 v5, vcc_lo, v16, v9, vcc_lo
	s_delay_alu instid0(VALU_DEP_1) | instskip(SKIP_1) | instid1(SALU_CYCLE_1)
	v_cmp_ne_u64_e32 vcc_lo, 0, v[4:5]
                                        ; implicit-def: $vgpr3_vgpr4
	s_and_saveexec_b32 s0, vcc_lo
	s_xor_b32 s5, exec_lo, s0
	s_cbranch_execz .LBB68_141
; %bb.140:
	v_cvt_f32_ubyte0_e32 v3, 0
	s_sub_u32 s0, 0, s7
	s_subb_u32 s6, 0, 0
	s_delay_alu instid0(VALU_DEP_1) | instskip(NEXT) | instid1(VALU_DEP_1)
	v_fmamk_f32 v3, v3, 0x4f800000, v13
	v_rcp_f32_e32 v3, v3
	s_waitcnt_depctr 0xfff
	v_mul_f32_e32 v3, 0x5f7ffffc, v3
	s_delay_alu instid0(VALU_DEP_1) | instskip(NEXT) | instid1(VALU_DEP_1)
	v_mul_f32_e32 v4, 0x2f800000, v3
	v_trunc_f32_e32 v4, v4
	s_delay_alu instid0(VALU_DEP_1) | instskip(SKIP_1) | instid1(VALU_DEP_2)
	v_fmamk_f32 v3, v4, 0xcf800000, v3
	v_cvt_u32_f32_e32 v4, v4
	v_cvt_u32_f32_e32 v3, v3
	s_delay_alu instid0(VALU_DEP_2) | instskip(NEXT) | instid1(VALU_DEP_2)
	v_mul_lo_u32 v13, s0, v4
	v_mul_hi_u32 v17, s0, v3
	v_mul_lo_u32 v18, s6, v3
	s_delay_alu instid0(VALU_DEP_2) | instskip(SKIP_1) | instid1(VALU_DEP_2)
	v_add_nc_u32_e32 v13, v17, v13
	v_mul_lo_u32 v17, s0, v3
	v_add_nc_u32_e32 v13, v13, v18
	s_delay_alu instid0(VALU_DEP_2) | instskip(NEXT) | instid1(VALU_DEP_2)
	v_mul_hi_u32 v18, v3, v17
	v_mul_lo_u32 v19, v3, v13
	v_mul_hi_u32 v20, v3, v13
	v_mul_hi_u32 v21, v4, v17
	v_mul_lo_u32 v17, v4, v17
	v_mul_hi_u32 v22, v4, v13
	v_mul_lo_u32 v13, v4, v13
	v_add_co_u32 v18, vcc_lo, v18, v19
	v_add_co_ci_u32_e32 v19, vcc_lo, 0, v20, vcc_lo
	s_delay_alu instid0(VALU_DEP_2) | instskip(NEXT) | instid1(VALU_DEP_2)
	v_add_co_u32 v17, vcc_lo, v18, v17
	v_add_co_ci_u32_e32 v17, vcc_lo, v19, v21, vcc_lo
	v_add_co_ci_u32_e32 v18, vcc_lo, 0, v22, vcc_lo
	v_ashrrev_i32_e32 v21, 31, v5
	s_delay_alu instid0(VALU_DEP_3) | instskip(NEXT) | instid1(VALU_DEP_3)
	v_add_co_u32 v13, vcc_lo, v17, v13
	v_add_co_ci_u32_e32 v17, vcc_lo, 0, v18, vcc_lo
	s_delay_alu instid0(VALU_DEP_2) | instskip(NEXT) | instid1(VALU_DEP_2)
	v_add_co_u32 v3, vcc_lo, v3, v13
	v_add_co_ci_u32_e32 v4, vcc_lo, v4, v17, vcc_lo
	s_delay_alu instid0(VALU_DEP_2) | instskip(SKIP_1) | instid1(VALU_DEP_3)
	v_mul_hi_u32 v13, s0, v3
	v_mul_lo_u32 v18, s6, v3
	v_mul_lo_u32 v17, s0, v4
	s_delay_alu instid0(VALU_DEP_1) | instskip(SKIP_1) | instid1(VALU_DEP_2)
	v_add_nc_u32_e32 v13, v13, v17
	v_mul_lo_u32 v17, s0, v3
	v_add_nc_u32_e32 v13, v13, v18
	s_delay_alu instid0(VALU_DEP_2) | instskip(NEXT) | instid1(VALU_DEP_2)
	v_mul_hi_u32 v18, v3, v17
	v_mul_lo_u32 v19, v3, v13
	v_mul_hi_u32 v20, v3, v13
	v_mul_hi_u32 v22, v4, v17
	v_mul_lo_u32 v17, v4, v17
	v_mul_hi_u32 v23, v4, v13
	v_mul_lo_u32 v13, v4, v13
	v_add_co_u32 v18, vcc_lo, v18, v19
	v_add_co_ci_u32_e32 v19, vcc_lo, 0, v20, vcc_lo
	s_delay_alu instid0(VALU_DEP_2) | instskip(NEXT) | instid1(VALU_DEP_2)
	v_add_co_u32 v17, vcc_lo, v18, v17
	v_add_co_ci_u32_e32 v17, vcc_lo, v19, v22, vcc_lo
	v_add_co_ci_u32_e32 v18, vcc_lo, 0, v23, vcc_lo
	v_add_co_u32 v12, vcc_lo, v12, v21
	v_add_co_ci_u32_e32 v5, vcc_lo, v5, v21, vcc_lo
	s_delay_alu instid0(VALU_DEP_4) | instskip(NEXT) | instid1(VALU_DEP_4)
	v_add_co_u32 v13, vcc_lo, v17, v13
	v_add_co_ci_u32_e32 v17, vcc_lo, 0, v18, vcc_lo
	s_delay_alu instid0(VALU_DEP_4) | instskip(NEXT) | instid1(VALU_DEP_3)
	v_xor_b32_e32 v19, v12, v21
	v_add_co_u32 v18, vcc_lo, v3, v13
	s_delay_alu instid0(VALU_DEP_3) | instskip(SKIP_1) | instid1(VALU_DEP_3)
	v_add_co_ci_u32_e32 v20, vcc_lo, v4, v17, vcc_lo
	v_xor_b32_e32 v5, v5, v21
	v_mul_hi_u32 v22, v19, v18
	s_delay_alu instid0(VALU_DEP_3) | instskip(NEXT) | instid1(VALU_DEP_3)
	v_mad_u64_u32 v[3:4], null, v19, v20, 0
	v_mad_u64_u32 v[12:13], null, v5, v18, 0
	;; [unrolled: 1-line block ×3, first 2 shown]
	s_delay_alu instid0(VALU_DEP_3) | instskip(NEXT) | instid1(VALU_DEP_4)
	v_add_co_u32 v3, vcc_lo, v22, v3
	v_add_co_ci_u32_e32 v4, vcc_lo, 0, v4, vcc_lo
	s_delay_alu instid0(VALU_DEP_2) | instskip(NEXT) | instid1(VALU_DEP_2)
	v_add_co_u32 v3, vcc_lo, v3, v12
	v_add_co_ci_u32_e32 v3, vcc_lo, v4, v13, vcc_lo
	v_add_co_ci_u32_e32 v4, vcc_lo, 0, v18, vcc_lo
	s_delay_alu instid0(VALU_DEP_2) | instskip(NEXT) | instid1(VALU_DEP_2)
	v_add_co_u32 v17, vcc_lo, v3, v17
	v_add_co_ci_u32_e32 v18, vcc_lo, 0, v4, vcc_lo
	s_delay_alu instid0(VALU_DEP_2) | instskip(NEXT) | instid1(VALU_DEP_1)
	v_mad_u64_u32 v[3:4], null, s7, v17, 0
	v_mad_u64_u32 v[12:13], null, s7, v18, v[4:5]
	s_delay_alu instid0(VALU_DEP_2) | instskip(NEXT) | instid1(VALU_DEP_2)
	v_sub_co_u32 v3, vcc_lo, v19, v3
	v_sub_co_ci_u32_e32 v4, vcc_lo, v5, v12, vcc_lo
	s_delay_alu instid0(VALU_DEP_2) | instskip(NEXT) | instid1(VALU_DEP_2)
	v_sub_co_u32 v5, vcc_lo, v3, s7
	v_subrev_co_ci_u32_e32 v12, vcc_lo, 0, v4, vcc_lo
	s_delay_alu instid0(VALU_DEP_2)
	v_cmp_le_u32_e32 vcc_lo, s7, v5
	v_cmp_eq_u32_e64 s0, 0, v4
	v_cndmask_b32_e64 v5, 0, -1, vcc_lo
	v_add_co_u32 v13, vcc_lo, v17, 2
	v_add_co_ci_u32_e32 v19, vcc_lo, 0, v18, vcc_lo
	v_cmp_le_u32_e32 vcc_lo, s7, v3
	v_cndmask_b32_e64 v3, 0, -1, vcc_lo
	v_cmp_eq_u32_e32 vcc_lo, 0, v12
	s_delay_alu instid0(VALU_DEP_2) | instskip(SKIP_3) | instid1(VALU_DEP_3)
	v_cndmask_b32_e64 v3, -1, v3, s0
	v_cndmask_b32_e32 v5, -1, v5, vcc_lo
	v_add_co_u32 v12, vcc_lo, v17, 1
	v_add_co_ci_u32_e32 v20, vcc_lo, 0, v18, vcc_lo
	v_cmp_ne_u32_e32 vcc_lo, 0, v5
	s_delay_alu instid0(VALU_DEP_2) | instskip(NEXT) | instid1(VALU_DEP_4)
	v_cndmask_b32_e32 v4, v20, v19, vcc_lo
	v_cndmask_b32_e32 v5, v12, v13, vcc_lo
	v_cmp_ne_u32_e32 vcc_lo, 0, v3
                                        ; implicit-def: $vgpr12
	s_delay_alu instid0(VALU_DEP_2) | instskip(NEXT) | instid1(VALU_DEP_1)
	v_dual_cndmask_b32 v3, v18, v4 :: v_dual_cndmask_b32 v4, v17, v5
	v_xor_b32_e32 v5, v3, v21
	s_delay_alu instid0(VALU_DEP_2) | instskip(NEXT) | instid1(VALU_DEP_1)
	v_xor_b32_e32 v4, v4, v21
	v_sub_co_u32 v3, vcc_lo, v4, v21
	s_delay_alu instid0(VALU_DEP_3)
	v_sub_co_ci_u32_e32 v4, vcc_lo, v5, v21, vcc_lo
.LBB68_141:
	s_and_not1_saveexec_b32 s0, s5
	s_cbranch_execz .LBB68_143
; %bb.142:
	v_cvt_f32_u32_e32 v3, s7
	s_delay_alu instid0(VALU_DEP_1) | instskip(SKIP_2) | instid1(VALU_DEP_1)
	v_rcp_iflag_f32_e32 v3, v3
	s_waitcnt_depctr 0xfff
	v_mul_f32_e32 v3, 0x4f7ffffe, v3
	v_cvt_u32_f32_e32 v3, v3
	s_delay_alu instid0(VALU_DEP_1) | instskip(NEXT) | instid1(VALU_DEP_1)
	v_mul_lo_u32 v4, s1, v3
	v_mul_hi_u32 v4, v3, v4
	s_delay_alu instid0(VALU_DEP_1) | instskip(NEXT) | instid1(VALU_DEP_1)
	v_add_nc_u32_e32 v3, v3, v4
	v_mul_hi_u32 v3, v12, v3
	s_delay_alu instid0(VALU_DEP_1) | instskip(SKIP_1) | instid1(VALU_DEP_2)
	v_mul_lo_u32 v4, v3, s7
	v_add_nc_u32_e32 v5, 1, v3
	v_sub_nc_u32_e32 v4, v12, v4
	s_delay_alu instid0(VALU_DEP_1) | instskip(SKIP_1) | instid1(VALU_DEP_2)
	v_subrev_nc_u32_e32 v12, s7, v4
	v_cmp_le_u32_e32 vcc_lo, s7, v4
	v_dual_cndmask_b32 v4, v4, v12 :: v_dual_cndmask_b32 v3, v3, v5
	s_delay_alu instid0(VALU_DEP_1) | instskip(NEXT) | instid1(VALU_DEP_2)
	v_cmp_le_u32_e32 vcc_lo, s7, v4
	v_dual_mov_b32 v4, 0 :: v_dual_add_nc_u32 v5, 1, v3
	s_delay_alu instid0(VALU_DEP_1)
	v_cndmask_b32_e32 v3, v3, v5, vcc_lo
.LBB68_143:
	s_or_b32 exec_lo, exec_lo, s0
	v_mov_b32_e32 v5, 0
	s_mov_b32 s5, exec_lo
	v_cmpx_gt_i64_e64 s[22:23], v[10:11]
	s_cbranch_execz .LBB68_157
; %bb.144:
	s_add_i32 s0, s7, -1
	s_mov_b32 s6, exec_lo
	v_dual_mov_b32 v5, 0 :: v_dual_and_b32 v10, s0, v0
	v_cmpx_lt_i64_e32 0, v[3:4]
	s_cbranch_execz .LBB68_154
; %bb.145:
	v_mov_b32_e32 v11, 0
	v_dual_mov_b32 v12, 0 :: v_dual_mov_b32 v5, 0
	s_mov_b32 s8, exec_lo
	v_cmpx_lt_u64_e32 3, v[3:4]
	s_cbranch_execz .LBB68_149
; %bb.146:
	v_lshlrev_b32_e32 v5, 2, v2
	s_lshl_b32 s0, s7, 2
	s_lshl_b32 s1, s4, 2
	v_and_b32_e32 v12, 0x7fffffff, v4
	v_and_b32_e32 v11, -4, v3
	v_lshl_add_u32 v13, v10, 2, v5
	v_mov_b32_e32 v5, 0
	s_sub_i32 s9, s0, s1
	s_lshl_b32 s0, s7, 3
	s_mul_i32 s12, s7, 12
	s_lshl_b32 s10, s7, 4
	s_sub_i32 s11, s0, s1
	s_sub_i32 s12, s12, s1
	s_mov_b32 s13, 0
	s_sub_i32 s14, 0, s1
	s_mov_b64 s[0:1], 0
	.p2align	6
.LBB68_147:                             ; =>This Inner Loop Header: Depth=1
	v_add_nc_u32_e32 v17, s14, v13
	v_add_nc_u32_e32 v18, s9, v13
	;; [unrolled: 1-line block ×3, first 2 shown]
	s_add_u32 s0, s0, 4
	s_addc_u32 s1, s1, 0
	ds_load_b32 v17, v17
	ds_load_b32 v18, v18
	v_cmp_eq_u64_e32 vcc_lo, s[0:1], v[11:12]
	s_or_b32 s13, vcc_lo, s13
	s_waitcnt lgkmcnt(1)
	v_add_f32_e32 v5, v5, v17
	v_add_nc_u32_e32 v20, s12, v13
	v_add_nc_u32_e32 v13, s10, v13
	s_waitcnt lgkmcnt(0)
	s_delay_alu instid0(VALU_DEP_3)
	v_add_f32_e32 v5, v5, v18
	ds_load_b32 v19, v19
	ds_load_b32 v20, v20
	s_waitcnt lgkmcnt(1)
	v_add_f32_e32 v5, v5, v19
	s_waitcnt lgkmcnt(0)
	s_delay_alu instid0(VALU_DEP_1)
	v_add_f32_e32 v5, v5, v20
	s_and_not1_b32 exec_lo, exec_lo, s13
	s_cbranch_execnz .LBB68_147
; %bb.148:
	s_or_b32 exec_lo, exec_lo, s13
.LBB68_149:
	s_delay_alu instid0(SALU_CYCLE_1) | instskip(SKIP_2) | instid1(VALU_DEP_1)
	s_or_b32 exec_lo, exec_lo, s8
	v_dual_mov_b32 v13, 0 :: v_dual_and_b32 v12, 3, v3
	s_mov_b32 s0, exec_lo
	v_cmpx_ne_u64_e32 0, v[12:13]
	s_cbranch_execz .LBB68_153
; %bb.150:
	v_mul_lo_u32 v11, s7, v11
	s_mov_b32 s1, 0
	s_delay_alu instid0(VALU_DEP_1) | instskip(NEXT) | instid1(VALU_DEP_1)
	v_add3_u32 v2, v10, v11, v2
	v_subrev_nc_u32_e32 v2, s4, v2
	s_lshl_b32 s4, s7, 2
	s_delay_alu instid0(VALU_DEP_1)
	v_lshlrev_b32_e32 v2, 2, v2
.LBB68_151:                             ; =>This Inner Loop Header: Depth=1
	ds_load_b32 v11, v2
	v_add_co_u32 v12, vcc_lo, v12, -1
	v_add_co_ci_u32_e32 v13, vcc_lo, -1, v13, vcc_lo
	v_add_nc_u32_e32 v2, s4, v2
	s_delay_alu instid0(VALU_DEP_2)
	v_cmp_eq_u64_e32 vcc_lo, 0, v[12:13]
	s_or_b32 s1, vcc_lo, s1
	s_waitcnt lgkmcnt(0)
	v_add_f32_e32 v5, v5, v11
	s_and_not1_b32 exec_lo, exec_lo, s1
	s_cbranch_execnz .LBB68_151
; %bb.152:
	s_or_b32 exec_lo, exec_lo, s1
.LBB68_153:
	s_delay_alu instid0(SALU_CYCLE_1)
	s_or_b32 exec_lo, exec_lo, s0
.LBB68_154:
	s_delay_alu instid0(SALU_CYCLE_1) | instskip(SKIP_3) | instid1(VALU_DEP_2)
	s_or_b32 exec_lo, exec_lo, s6
	v_mad_u64_u32 v[12:13], null, v3, s7, v[8:9]
	v_mov_b32_e32 v11, 0
	s_mov_b32 s0, exec_lo
	v_mov_b32_e32 v2, v13
	s_delay_alu instid0(VALU_DEP_1) | instskip(NEXT) | instid1(VALU_DEP_4)
	v_mad_u64_u32 v[8:9], null, v4, s7, v[2:3]
	v_sub_co_u32 v2, vcc_lo, v14, v12
	s_delay_alu instid0(VALU_DEP_2) | instskip(NEXT) | instid1(VALU_DEP_1)
	v_mov_b32_e32 v3, v8
	v_sub_co_ci_u32_e32 v3, vcc_lo, v16, v3, vcc_lo
	s_delay_alu instid0(VALU_DEP_1)
	v_cmpx_gt_i64_e64 v[2:3], v[10:11]
	s_cbranch_execz .LBB68_156
; %bb.155:
	v_add_lshl_u32 v2, v10, v12, 2
	ds_load_b32 v2, v2
	s_waitcnt lgkmcnt(0)
	v_add_f32_e32 v5, v5, v2
.LBB68_156:
	s_or_b32 exec_lo, exec_lo, s0
.LBB68_157:
	s_delay_alu instid0(SALU_CYCLE_1)
	s_or_b32 exec_lo, exec_lo, s5
	s_barrier
	buffer_gl0_inv
	ds_store_b32 v15, v5
	s_waitcnt lgkmcnt(0)
	s_barrier
	buffer_gl0_inv
	s_mov_b32 s0, exec_lo
	v_cmpx_gt_i64_e64 s[22:23], v[0:1]
	s_cbranch_execz .LBB68_167
; %bb.158:
	v_mul_lo_u32 v1, s7, v0
	s_cmp_lt_u32 s7, 8
	s_cbranch_scc1 .LBB68_161
; %bb.159:
	s_delay_alu instid0(VALU_DEP_1)
	v_dual_mov_b32 v3, 0 :: v_dual_lshlrev_b32 v2, 2, v1
	s_and_b32 s0, s7, 0x7ffffff8
	s_mov_b32 s1, 0
	.p2align	6
.LBB68_160:                             ; =>This Inner Loop Header: Depth=1
	ds_load_2addr_b32 v[4:5], v2 offset1:1
	ds_load_2addr_b32 v[8:9], v2 offset0:2 offset1:3
	ds_load_2addr_b32 v[10:11], v2 offset0:4 offset1:5
	;; [unrolled: 1-line block ×3, first 2 shown]
	s_add_i32 s1, s1, 8
	v_add_nc_u32_e32 v2, 32, v2
	s_cmp_eq_u32 s0, s1
	s_waitcnt lgkmcnt(3)
	v_add_f32_e32 v3, v3, v4
	s_delay_alu instid0(VALU_DEP_1) | instskip(SKIP_1) | instid1(VALU_DEP_1)
	v_add_f32_e32 v3, v3, v5
	s_waitcnt lgkmcnt(2)
	v_add_f32_e32 v3, v3, v8
	s_delay_alu instid0(VALU_DEP_1) | instskip(SKIP_1) | instid1(VALU_DEP_1)
	v_add_f32_e32 v3, v3, v9
	s_waitcnt lgkmcnt(1)
	v_add_f32_e32 v3, v3, v10
	s_delay_alu instid0(VALU_DEP_1) | instskip(SKIP_1) | instid1(VALU_DEP_1)
	v_add_f32_e32 v3, v3, v11
	s_waitcnt lgkmcnt(0)
	v_add_f32_e32 v3, v3, v12
	s_delay_alu instid0(VALU_DEP_1)
	v_add_f32_e32 v3, v3, v13
	s_cbranch_scc0 .LBB68_160
	s_branch .LBB68_162
.LBB68_161:
	v_mov_b32_e32 v3, 0
	s_mov_b32 s0, 0
.LBB68_162:
	s_bfe_u32 s1, s3, 0x30001
	s_delay_alu instid0(SALU_CYCLE_1)
	s_cmp_eq_u32 s1, 0
	s_cbranch_scc1 .LBB68_165
; %bb.163:
	v_add_lshl_u32 v1, s0, v1, 2
.LBB68_164:                             ; =>This Inner Loop Header: Depth=1
	ds_load_b32 v2, v1
	v_add_nc_u32_e32 v1, 4, v1
	s_add_i32 s1, s1, -1
	s_delay_alu instid0(SALU_CYCLE_1)
	s_cmp_lg_u32 s1, 0
	s_waitcnt lgkmcnt(0)
	v_add_f32_e32 v3, v3, v2
	s_cbranch_scc1 .LBB68_164
.LBB68_165:
	v_lshlrev_b64 v[1:2], 2, v[6:7]
	v_lshlrev_b32_e32 v0, 2, v0
	s_lshl_b32 s0, s2, 2
	s_delay_alu instid0(VALU_DEP_1) | instid1(SALU_CYCLE_1)
	v_add3_u32 v0, 0x1000, s0, v0
	s_delay_alu instid0(VALU_DEP_3) | instskip(NEXT) | instid1(VALU_DEP_4)
	v_add_co_u32 v1, vcc_lo, s20, v1
	v_add_co_ci_u32_e32 v2, vcc_lo, s21, v2, vcc_lo
	ds_load_b32 v0, v0
	s_mov_b32 s0, 0
	global_load_b32 v4, v[1:2], off
	s_waitcnt lgkmcnt(0)
	v_add_f32_e32 v0, v3, v0
.LBB68_166:                             ; =>This Inner Loop Header: Depth=1
	s_waitcnt vmcnt(0)
	s_delay_alu instid0(VALU_DEP_1)
	v_add_f32_e32 v3, v4, v0
	global_atomic_cmpswap_b32 v3, v[1:2], v[3:4], off glc
	s_waitcnt vmcnt(0)
	v_cmp_eq_u32_e32 vcc_lo, v3, v4
	v_mov_b32_e32 v4, v3
	s_or_b32 s0, vcc_lo, s0
	s_delay_alu instid0(SALU_CYCLE_1)
	s_and_not1_b32 exec_lo, exec_lo, s0
	s_cbranch_execnz .LBB68_166
.LBB68_167:
	s_endpgm
	.section	.rodata,"a",@progbits
	.p2align	6, 0x0
	.amdhsa_kernel _ZN9rocsparseL27csrmvn_symm_adaptive_kernelIliDF16_DF16_ffEEvbT_S1_PKS1_NS_24const_host_device_scalarIT4_EES3_PKT0_PKT1_PKT2_S6_PT3_21rocsparse_index_base_b
		.amdhsa_group_segment_fixed_size 4096
		.amdhsa_private_segment_fixed_size 0
		.amdhsa_kernarg_size 352
		.amdhsa_user_sgpr_count 15
		.amdhsa_user_sgpr_dispatch_ptr 0
		.amdhsa_user_sgpr_queue_ptr 0
		.amdhsa_user_sgpr_kernarg_segment_ptr 1
		.amdhsa_user_sgpr_dispatch_id 0
		.amdhsa_user_sgpr_private_segment_size 0
		.amdhsa_wavefront_size32 1
		.amdhsa_uses_dynamic_stack 0
		.amdhsa_enable_private_segment 0
		.amdhsa_system_sgpr_workgroup_id_x 1
		.amdhsa_system_sgpr_workgroup_id_y 0
		.amdhsa_system_sgpr_workgroup_id_z 0
		.amdhsa_system_sgpr_workgroup_info 0
		.amdhsa_system_vgpr_workitem_id 0
		.amdhsa_next_free_vgpr 24
		.amdhsa_next_free_sgpr 41
		.amdhsa_reserve_vcc 1
		.amdhsa_float_round_mode_32 0
		.amdhsa_float_round_mode_16_64 0
		.amdhsa_float_denorm_mode_32 3
		.amdhsa_float_denorm_mode_16_64 3
		.amdhsa_dx10_clamp 1
		.amdhsa_ieee_mode 1
		.amdhsa_fp16_overflow 0
		.amdhsa_workgroup_processor_mode 1
		.amdhsa_memory_ordered 1
		.amdhsa_forward_progress 0
		.amdhsa_shared_vgpr_count 0
		.amdhsa_exception_fp_ieee_invalid_op 0
		.amdhsa_exception_fp_denorm_src 0
		.amdhsa_exception_fp_ieee_div_zero 0
		.amdhsa_exception_fp_ieee_overflow 0
		.amdhsa_exception_fp_ieee_underflow 0
		.amdhsa_exception_fp_ieee_inexact 0
		.amdhsa_exception_int_div_zero 0
	.end_amdhsa_kernel
	.section	.text._ZN9rocsparseL27csrmvn_symm_adaptive_kernelIliDF16_DF16_ffEEvbT_S1_PKS1_NS_24const_host_device_scalarIT4_EES3_PKT0_PKT1_PKT2_S6_PT3_21rocsparse_index_base_b,"axG",@progbits,_ZN9rocsparseL27csrmvn_symm_adaptive_kernelIliDF16_DF16_ffEEvbT_S1_PKS1_NS_24const_host_device_scalarIT4_EES3_PKT0_PKT1_PKT2_S6_PT3_21rocsparse_index_base_b,comdat
.Lfunc_end68:
	.size	_ZN9rocsparseL27csrmvn_symm_adaptive_kernelIliDF16_DF16_ffEEvbT_S1_PKS1_NS_24const_host_device_scalarIT4_EES3_PKT0_PKT1_PKT2_S6_PT3_21rocsparse_index_base_b, .Lfunc_end68-_ZN9rocsparseL27csrmvn_symm_adaptive_kernelIliDF16_DF16_ffEEvbT_S1_PKS1_NS_24const_host_device_scalarIT4_EES3_PKT0_PKT1_PKT2_S6_PT3_21rocsparse_index_base_b
                                        ; -- End function
	.section	.AMDGPU.csdata,"",@progbits
; Kernel info:
; codeLenInByte = 9452
; NumSgprs: 43
; NumVgprs: 24
; ScratchSize: 0
; MemoryBound: 0
; FloatMode: 240
; IeeeMode: 1
; LDSByteSize: 4096 bytes/workgroup (compile time only)
; SGPRBlocks: 5
; VGPRBlocks: 2
; NumSGPRsForWavesPerEU: 43
; NumVGPRsForWavesPerEU: 24
; Occupancy: 16
; WaveLimiterHint : 1
; COMPUTE_PGM_RSRC2:SCRATCH_EN: 0
; COMPUTE_PGM_RSRC2:USER_SGPR: 15
; COMPUTE_PGM_RSRC2:TRAP_HANDLER: 0
; COMPUTE_PGM_RSRC2:TGID_X_EN: 1
; COMPUTE_PGM_RSRC2:TGID_Y_EN: 0
; COMPUTE_PGM_RSRC2:TGID_Z_EN: 0
; COMPUTE_PGM_RSRC2:TIDIG_COMP_CNT: 0
	.section	.text._ZL33csrmvn_symm_large_adaptive_kernelIliDF16_DF16_ffEvbT_PKS0_N9rocsparse24const_host_device_scalarIT4_EES2_PKT0_PKT1_PKT2_S6_PT3_21rocsparse_index_base_b,"axG",@progbits,_ZL33csrmvn_symm_large_adaptive_kernelIliDF16_DF16_ffEvbT_PKS0_N9rocsparse24const_host_device_scalarIT4_EES2_PKT0_PKT1_PKT2_S6_PT3_21rocsparse_index_base_b,comdat
	.globl	_ZL33csrmvn_symm_large_adaptive_kernelIliDF16_DF16_ffEvbT_PKS0_N9rocsparse24const_host_device_scalarIT4_EES2_PKT0_PKT1_PKT2_S6_PT3_21rocsparse_index_base_b ; -- Begin function _ZL33csrmvn_symm_large_adaptive_kernelIliDF16_DF16_ffEvbT_PKS0_N9rocsparse24const_host_device_scalarIT4_EES2_PKT0_PKT1_PKT2_S6_PT3_21rocsparse_index_base_b
	.p2align	8
	.type	_ZL33csrmvn_symm_large_adaptive_kernelIliDF16_DF16_ffEvbT_PKS0_N9rocsparse24const_host_device_scalarIT4_EES2_PKT0_PKT1_PKT2_S6_PT3_21rocsparse_index_base_b,@function
_ZL33csrmvn_symm_large_adaptive_kernelIliDF16_DF16_ffEvbT_PKS0_N9rocsparse24const_host_device_scalarIT4_EES2_PKT0_PKT1_PKT2_S6_PT3_21rocsparse_index_base_b: ; @_ZL33csrmvn_symm_large_adaptive_kernelIliDF16_DF16_ffEvbT_PKS0_N9rocsparse24const_host_device_scalarIT4_EES2_PKT0_PKT1_PKT2_S6_PT3_21rocsparse_index_base_b
; %bb.0:
	s_clause 0x2
	s_load_b64 s[6:7], s[0:1], 0x50
	s_load_b64 s[20:21], s[0:1], 0x18
	;; [unrolled: 1-line block ×3, first 2 shown]
	s_mov_b32 s2, s15
	s_waitcnt lgkmcnt(0)
	s_bitcmp1_b32 s7, 0
	s_cselect_b32 s3, -1, 0
	s_delay_alu instid0(SALU_CYCLE_1)
	s_and_b32 vcc_lo, exec_lo, s3
	s_xor_b32 s3, s3, -1
	s_cbranch_vccnz .LBB69_2
; %bb.1:
	s_load_b32 s20, s[20:21], 0x0
.LBB69_2:
	s_and_not1_b32 vcc_lo, exec_lo, s3
	s_cbranch_vccnz .LBB69_4
; %bb.3:
	s_load_b32 s4, s[4:5], 0x0
.LBB69_4:
	s_waitcnt lgkmcnt(0)
	v_cmp_neq_f32_e64 s3, s20, 0
	v_cmp_neq_f32_e64 s4, s4, 1.0
	s_delay_alu instid0(VALU_DEP_1) | instskip(NEXT) | instid1(SALU_CYCLE_1)
	s_or_b32 s3, s3, s4
	s_and_not1_b32 vcc_lo, exec_lo, s3
	s_cbranch_vccnz .LBB69_38
; %bb.5:
	s_load_b64 s[4:5], s[0:1], 0x10
	s_ashr_i32 s3, s2, 31
	v_dual_mov_b32 v1, 0 :: v_dual_lshlrev_b32 v6, 2, v0
	s_lshl_b64 s[2:3], s[2:3], 3
	ds_store_2addr_stride64_b32 v6, v1, v1 offset1:4
	ds_store_2addr_stride64_b32 v6, v1, v1 offset0:8 offset1:12
	s_waitcnt lgkmcnt(0)
	s_barrier
	buffer_gl0_inv
	s_add_u32 s2, s4, s2
	s_addc_u32 s3, s5, s3
	s_load_b128 s[16:19], s[2:3], 0x0
	s_clause 0x1
	s_load_b256 s[8:15], s[0:1], 0x20
	s_load_b64 s[22:23], s[0:1], 0x48
	v_sub_co_u32 v7, s1, v0, s6
	s_delay_alu instid0(VALU_DEP_1) | instskip(SKIP_2) | instid1(VALU_DEP_1)
	v_sub_co_ci_u32_e64 v8, null, 0, 0, s1
	s_waitcnt lgkmcnt(0)
	v_cmp_lt_i64_e64 s0, s[16:17], s[18:19]
	s_and_b32 vcc_lo, exec_lo, s0
	s_cbranch_vccnz .LBB69_7
; %bb.6:
	s_lshl_b64 s[0:1], s[16:17], 3
	s_delay_alu instid0(SALU_CYCLE_1)
	s_add_u32 s0, s8, s0
	s_addc_u32 s1, s9, s1
	s_load_b64 s[24:25], s[0:1], 0x0
	s_cbranch_execz .LBB69_8
	s_branch .LBB69_28
.LBB69_7:
                                        ; implicit-def: $sgpr24_sgpr25
.LBB69_8:
	s_lshl_b64 s[0:1], s[16:17], 3
	v_cmp_gt_u32_e64 s2, 16, v0
	s_add_u32 s0, s8, s0
	s_addc_u32 s1, s9, s1
	v_cmp_gt_u32_e64 s3, 4, v0
	s_waitcnt lgkmcnt(0)
	s_load_b64 s[24:25], s[0:1], 0x0
	v_cmp_gt_u32_e64 s0, 0x100, v0
	v_cmp_gt_u32_e64 s1, 64, v0
	v_cmp_eq_u32_e64 s4, 0, v0
	v_mov_b32_e32 v9, 0
	s_add_u32 s7, s8, 8
	s_addc_u32 s21, s9, 0
	s_mov_b64 s[26:27], s[16:17]
	s_waitcnt lgkmcnt(0)
	s_mov_b64 s[28:29], s[24:25]
	s_branch .LBB69_10
.LBB69_9:                               ;   in Loop: Header=BB69_10 Depth=1
	s_or_b32 exec_lo, exec_lo, s5
	s_add_u32 s26, s26, 1
	s_addc_u32 s27, s27, 0
	s_delay_alu instid0(SALU_CYCLE_1) | instskip(NEXT) | instid1(VALU_DEP_1)
	v_cmp_ge_i64_e64 s5, s[26:27], s[18:19]
	s_and_b32 vcc_lo, exec_lo, s5
	s_cbranch_vccnz .LBB69_28
.LBB69_10:                              ; =>This Loop Header: Depth=1
                                        ;     Child Loop BB69_12 Depth 2
                                        ;     Child Loop BB69_27 Depth 2
	s_lshl_b64 s[30:31], s[26:27], 3
	s_mov_b64 s[34:35], s[28:29]
	s_add_u32 s30, s7, s30
	s_addc_u32 s31, s21, s31
	v_add_co_u32 v0, vcc_lo, s34, v7
	s_load_b64 s[28:29], s[30:31], 0x0
	v_add_co_ci_u32_e32 v1, vcc_lo, s35, v8, vcc_lo
	v_mov_b32_e32 v10, 0
	s_mov_b32 s33, exec_lo
	s_waitcnt lgkmcnt(0)
	s_sub_u32 s30, s28, s6
	s_subb_u32 s31, s29, 0
	s_delay_alu instid0(SALU_CYCLE_1)
	v_cmpx_gt_i64_e64 s[30:31], v[0:1]
	s_cbranch_execz .LBB69_14
; %bb.11:                               ;   in Loop: Header=BB69_10 Depth=1
	v_lshlrev_b64 v[2:3], 2, v[0:1]
	v_lshlrev_b64 v[4:5], 1, v[0:1]
	v_mov_b32_e32 v10, 0
	s_mov_b32 s34, 0
	s_delay_alu instid0(VALU_DEP_3) | instskip(NEXT) | instid1(VALU_DEP_4)
	v_add_co_u32 v2, vcc_lo, s10, v2
	v_add_co_ci_u32_e32 v3, vcc_lo, s11, v3, vcc_lo
	s_delay_alu instid0(VALU_DEP_4)
	v_add_co_u32 v4, vcc_lo, s12, v4
	v_add_co_ci_u32_e32 v5, vcc_lo, s13, v5, vcc_lo
	.p2align	6
.LBB69_12:                              ;   Parent Loop BB69_10 Depth=1
                                        ; =>  This Inner Loop Header: Depth=2
	global_load_b32 v11, v[2:3], off
	s_waitcnt vmcnt(0)
	v_subrev_nc_u32_e32 v11, s6, v11
	s_delay_alu instid0(VALU_DEP_1) | instskip(NEXT) | instid1(VALU_DEP_1)
	v_ashrrev_i32_e32 v12, 31, v11
	v_lshlrev_b64 v[11:12], 1, v[11:12]
	s_delay_alu instid0(VALU_DEP_1) | instskip(NEXT) | instid1(VALU_DEP_2)
	v_add_co_u32 v11, vcc_lo, s14, v11
	v_add_co_ci_u32_e32 v12, vcc_lo, s15, v12, vcc_lo
	v_add_co_u32 v0, vcc_lo, 0x100, v0
	global_load_u16 v13, v[4:5], off
	global_load_u16 v11, v[11:12], off
	v_add_co_ci_u32_e32 v1, vcc_lo, 0, v1, vcc_lo
	v_add_co_u32 v2, vcc_lo, 0x400, v2
	v_add_co_ci_u32_e32 v3, vcc_lo, 0, v3, vcc_lo
	s_delay_alu instid0(VALU_DEP_3) | instskip(SKIP_1) | instid1(VALU_DEP_1)
	v_cmp_le_i64_e32 vcc_lo, s[30:31], v[0:1]
	v_add_co_u32 v4, s5, 0x200, v4
	v_add_co_ci_u32_e64 v5, s5, 0, v5, s5
	s_or_b32 s34, vcc_lo, s34
	s_waitcnt vmcnt(0)
	v_fma_mix_f32 v10, v13, v11, v10 op_sel_hi:[1,1,0]
	s_and_not1_b32 exec_lo, exec_lo, s34
	s_cbranch_execnz .LBB69_12
; %bb.13:                               ;   in Loop: Header=BB69_10 Depth=1
	s_or_b32 exec_lo, exec_lo, s34
.LBB69_14:                              ;   in Loop: Header=BB69_10 Depth=1
	s_delay_alu instid0(SALU_CYCLE_1)
	s_or_b32 exec_lo, exec_lo, s33
	ds_store_b32 v6, v10
	s_waitcnt lgkmcnt(0)
	s_barrier
	buffer_gl0_inv
	s_and_saveexec_b32 s5, s0
	s_cbranch_execz .LBB69_16
; %bb.15:                               ;   in Loop: Header=BB69_10 Depth=1
	ds_load_2addr_stride64_b32 v[0:1], v6 offset1:4
	ds_load_2addr_stride64_b32 v[2:3], v6 offset0:8 offset1:12
	s_waitcnt lgkmcnt(0)
	v_add_f32_e32 v1, v1, v2
	s_delay_alu instid0(VALU_DEP_1) | instskip(NEXT) | instid1(VALU_DEP_1)
	v_add_f32_e32 v1, v1, v3
	v_add_f32_e32 v0, v0, v1
	ds_store_b32 v6, v0
.LBB69_16:                              ;   in Loop: Header=BB69_10 Depth=1
	s_or_b32 exec_lo, exec_lo, s5
	s_waitcnt lgkmcnt(0)
	s_barrier
	buffer_gl0_inv
	s_and_saveexec_b32 s5, s1
	s_cbranch_execz .LBB69_18
; %bb.17:                               ;   in Loop: Header=BB69_10 Depth=1
	ds_load_2addr_stride64_b32 v[0:1], v6 offset1:1
	ds_load_2addr_stride64_b32 v[2:3], v6 offset0:2 offset1:3
	s_waitcnt lgkmcnt(0)
	v_add_f32_e32 v1, v1, v2
	s_delay_alu instid0(VALU_DEP_1) | instskip(NEXT) | instid1(VALU_DEP_1)
	v_add_f32_e32 v1, v1, v3
	v_add_f32_e32 v0, v0, v1
	ds_store_b32 v6, v0
.LBB69_18:                              ;   in Loop: Header=BB69_10 Depth=1
	s_or_b32 exec_lo, exec_lo, s5
	s_waitcnt lgkmcnt(0)
	s_barrier
	buffer_gl0_inv
	s_and_saveexec_b32 s5, s2
	s_cbranch_execz .LBB69_20
; %bb.19:                               ;   in Loop: Header=BB69_10 Depth=1
	ds_load_2addr_b32 v[0:1], v6 offset1:16
	ds_load_2addr_b32 v[2:3], v6 offset0:32 offset1:48
	s_waitcnt lgkmcnt(0)
	v_add_f32_e32 v1, v1, v2
	s_delay_alu instid0(VALU_DEP_1) | instskip(NEXT) | instid1(VALU_DEP_1)
	v_add_f32_e32 v1, v1, v3
	v_add_f32_e32 v0, v0, v1
	ds_store_b32 v6, v0
.LBB69_20:                              ;   in Loop: Header=BB69_10 Depth=1
	s_or_b32 exec_lo, exec_lo, s5
	s_waitcnt lgkmcnt(0)
	s_barrier
	buffer_gl0_inv
	s_and_saveexec_b32 s5, s3
	s_cbranch_execz .LBB69_22
; %bb.21:                               ;   in Loop: Header=BB69_10 Depth=1
	ds_load_2addr_b32 v[0:1], v6 offset1:4
	ds_load_2addr_b32 v[2:3], v6 offset0:8 offset1:12
	s_waitcnt lgkmcnt(0)
	v_add_f32_e32 v1, v1, v2
	s_delay_alu instid0(VALU_DEP_1) | instskip(NEXT) | instid1(VALU_DEP_1)
	v_add_f32_e32 v1, v1, v3
	v_add_f32_e32 v0, v0, v1
	ds_store_b32 v6, v0
.LBB69_22:                              ;   in Loop: Header=BB69_10 Depth=1
	s_or_b32 exec_lo, exec_lo, s5
	s_waitcnt lgkmcnt(0)
	s_barrier
	buffer_gl0_inv
	s_and_saveexec_b32 s5, s4
	s_cbranch_execz .LBB69_24
; %bb.23:                               ;   in Loop: Header=BB69_10 Depth=1
	ds_load_2addr_b32 v[0:1], v9 offset0:1 offset1:2
	ds_load_b32 v2, v9 offset:12
	ds_load_b32 v3, v6
	s_waitcnt lgkmcnt(2)
	v_add_f32_e32 v0, v0, v1
	s_waitcnt lgkmcnt(1)
	s_delay_alu instid0(VALU_DEP_1) | instskip(SKIP_1) | instid1(VALU_DEP_1)
	v_add_f32_e32 v0, v0, v2
	s_waitcnt lgkmcnt(0)
	v_add_f32_e32 v0, v3, v0
	ds_store_b32 v6, v0
.LBB69_24:                              ;   in Loop: Header=BB69_10 Depth=1
	s_or_b32 exec_lo, exec_lo, s5
	s_waitcnt lgkmcnt(0)
	s_barrier
	buffer_gl0_inv
	s_and_saveexec_b32 s5, s4
	s_cbranch_execz .LBB69_9
; %bb.25:                               ;   in Loop: Header=BB69_10 Depth=1
	s_mov_b32 s33, exec_lo
	s_delay_alu instid0(SALU_CYCLE_1) | instskip(NEXT) | instid1(VALU_DEP_1)
	v_mbcnt_lo_u32_b32 v0, s33, 0
	v_cmp_eq_u32_e32 vcc_lo, 0, v0
	s_and_b32 s30, exec_lo, vcc_lo
	s_delay_alu instid0(SALU_CYCLE_1)
	s_mov_b32 exec_lo, s30
	s_cbranch_execz .LBB69_9
; %bb.26:                               ;   in Loop: Header=BB69_10 Depth=1
	s_lshl_b64 s[30:31], s[26:27], 2
	ds_load_b32 v0, v9
	s_add_u32 s30, s22, s30
	s_addc_u32 s31, s23, s31
	s_bcnt1_i32_b32 s33, s33
	global_load_b32 v1, v9, s[30:31]
	v_cvt_f32_ubyte0_e32 v2, s33
	s_mov_b32 s33, 0
	s_waitcnt lgkmcnt(0)
	v_mul_f32_e32 v0, s20, v0
	s_delay_alu instid0(VALU_DEP_1)
	v_mul_f32_e32 v2, v0, v2
.LBB69_27:                              ;   Parent Loop BB69_10 Depth=1
                                        ; =>  This Inner Loop Header: Depth=2
	s_waitcnt vmcnt(0)
	s_delay_alu instid0(VALU_DEP_1)
	v_add_f32_e32 v0, v1, v2
	global_atomic_cmpswap_b32 v0, v9, v[0:1], s[30:31] glc
	s_waitcnt vmcnt(0)
	v_cmp_eq_u32_e32 vcc_lo, v0, v1
	v_mov_b32_e32 v1, v0
	s_or_b32 s33, vcc_lo, s33
	s_delay_alu instid0(SALU_CYCLE_1)
	s_and_not1_b32 exec_lo, exec_lo, s33
	s_cbranch_execnz .LBB69_27
	s_branch .LBB69_9
.LBB69_28:
	s_lshl_b64 s[0:1], s[18:19], 3
	s_waitcnt lgkmcnt(0)
	v_add_co_u32 v0, vcc_lo, s24, v7
	s_add_u32 s0, s8, s0
	s_addc_u32 s1, s9, s1
	v_add_co_ci_u32_e32 v1, vcc_lo, s25, v8, vcc_lo
	s_load_b64 s[0:1], s[0:1], 0x0
	s_waitcnt lgkmcnt(0)
	s_sub_u32 s2, s0, s6
	s_subb_u32 s3, s1, 0
	s_mov_b32 s0, exec_lo
	v_cmpx_gt_i64_e64 s[2:3], v[0:1]
	s_cbranch_execz .LBB69_38
; %bb.29:
	s_add_u32 s4, s18, -1
	s_addc_u32 s5, s19, -1
	s_add_u32 s0, s18, -2
	v_cmp_gt_i64_e64 s7, s[4:5], s[16:17]
	s_addc_u32 s1, s19, -1
	s_delay_alu instid0(SALU_CYCLE_1)
	s_cmp_lg_u64 s[0:1], s[16:17]
	s_cselect_b32 s0, -1, 0
	s_delay_alu instid0(VALU_DEP_1) | instid1(SALU_CYCLE_1)
	s_and_b32 s1, s7, s0
	s_mov_b32 s7, 0
	s_branch .LBB69_31
.LBB69_30:                              ;   in Loop: Header=BB69_31 Depth=1
	s_or_b32 exec_lo, exec_lo, s0
	v_add_co_u32 v0, vcc_lo, 0x100, v0
	v_add_co_ci_u32_e32 v1, vcc_lo, 0, v1, vcc_lo
	s_delay_alu instid0(VALU_DEP_1) | instskip(SKIP_1) | instid1(SALU_CYCLE_1)
	v_cmp_le_i64_e32 vcc_lo, s[2:3], v[0:1]
	s_or_b32 s7, vcc_lo, s7
	s_and_not1_b32 exec_lo, exec_lo, s7
	s_cbranch_execz .LBB69_38
.LBB69_31:                              ; =>This Loop Header: Depth=1
                                        ;     Child Loop BB69_33 Depth 2
                                        ;     Child Loop BB69_37 Depth 2
	v_dual_mov_b32 v2, s16 :: v_dual_mov_b32 v3, s17
	v_dual_mov_b32 v4, s4 :: v_dual_mov_b32 v5, s5
	s_and_not1_b32 vcc_lo, exec_lo, s1
	s_cbranch_vccnz .LBB69_35
; %bb.32:                               ;   in Loop: Header=BB69_31 Depth=1
	v_dual_mov_b32 v2, s16 :: v_dual_mov_b32 v3, s17
	v_dual_mov_b32 v4, s4 :: v_dual_mov_b32 v5, s5
	s_mov_b32 s18, 0
	s_set_inst_prefetch_distance 0x1
	.p2align	6
.LBB69_33:                              ;   Parent Loop BB69_31 Depth=1
                                        ; =>  This Inner Loop Header: Depth=2
	s_delay_alu instid0(VALU_DEP_1) | instskip(NEXT) | instid1(VALU_DEP_2)
	v_add_co_u32 v6, vcc_lo, v4, v2
	v_add_co_ci_u32_e32 v7, vcc_lo, v5, v3, vcc_lo
	s_delay_alu instid0(VALU_DEP_1) | instskip(NEXT) | instid1(VALU_DEP_1)
	v_lshrrev_b32_e32 v8, 31, v7
	v_add_co_u32 v6, vcc_lo, v6, v8
	v_add_co_ci_u32_e32 v7, vcc_lo, 0, v7, vcc_lo
	s_delay_alu instid0(VALU_DEP_1) | instskip(NEXT) | instid1(VALU_DEP_1)
	v_ashrrev_i64 v[6:7], 1, v[6:7]
	v_lshlrev_b64 v[8:9], 3, v[6:7]
	s_delay_alu instid0(VALU_DEP_1) | instskip(NEXT) | instid1(VALU_DEP_2)
	v_add_co_u32 v8, vcc_lo, s8, v8
	v_add_co_ci_u32_e32 v9, vcc_lo, s9, v9, vcc_lo
	global_load_b64 v[8:9], v[8:9], off
	s_waitcnt vmcnt(0)
	v_sub_co_u32 v8, vcc_lo, v8, s6
	v_subrev_co_ci_u32_e32 v9, vcc_lo, 0, v9, vcc_lo
	s_delay_alu instid0(VALU_DEP_1) | instskip(SKIP_2) | instid1(VALU_DEP_2)
	v_cmp_gt_i64_e32 vcc_lo, v[8:9], v[0:1]
	v_dual_cndmask_b32 v5, v5, v7 :: v_dual_cndmask_b32 v4, v4, v6
	v_dual_cndmask_b32 v3, v7, v3 :: v_dual_cndmask_b32 v2, v6, v2
	v_add_co_u32 v6, vcc_lo, v4, -1
	s_delay_alu instid0(VALU_DEP_3) | instskip(NEXT) | instid1(VALU_DEP_3)
	v_add_co_ci_u32_e32 v7, vcc_lo, -1, v5, vcc_lo
	v_cmp_ge_i64_e32 vcc_lo, v[2:3], v[4:5]
	s_delay_alu instid0(VALU_DEP_2) | instskip(NEXT) | instid1(VALU_DEP_1)
	v_cmp_eq_u64_e64 s0, v[2:3], v[6:7]
	s_or_b32 s0, vcc_lo, s0
	s_delay_alu instid0(SALU_CYCLE_1) | instskip(NEXT) | instid1(SALU_CYCLE_1)
	s_and_b32 s0, exec_lo, s0
	s_or_b32 s18, s0, s18
	s_delay_alu instid0(SALU_CYCLE_1)
	s_and_not1_b32 exec_lo, exec_lo, s18
	s_cbranch_execnz .LBB69_33
; %bb.34:                               ;   in Loop: Header=BB69_31 Depth=1
	s_set_inst_prefetch_distance 0x2
	s_or_b32 exec_lo, exec_lo, s18
.LBB69_35:                              ;   in Loop: Header=BB69_31 Depth=1
	s_delay_alu instid0(VALU_DEP_1) | instskip(SKIP_2) | instid1(VALU_DEP_2)
	v_lshlrev_b64 v[6:7], 3, v[4:5]
	v_lshlrev_b64 v[8:9], 2, v[0:1]
	s_mov_b32 s0, exec_lo
	v_add_co_u32 v6, vcc_lo, s8, v6
	s_delay_alu instid0(VALU_DEP_3) | instskip(NEXT) | instid1(VALU_DEP_3)
	v_add_co_ci_u32_e32 v7, vcc_lo, s9, v7, vcc_lo
	v_add_co_u32 v8, vcc_lo, s10, v8
	s_delay_alu instid0(VALU_DEP_4)
	v_add_co_ci_u32_e32 v9, vcc_lo, s11, v9, vcc_lo
	global_load_b64 v[6:7], v[6:7], off
	global_load_b32 v8, v[8:9], off
	s_waitcnt vmcnt(1)
	v_sub_co_u32 v6, vcc_lo, v6, s6
	v_subrev_co_ci_u32_e32 v7, vcc_lo, 0, v7, vcc_lo
	s_delay_alu instid0(VALU_DEP_1) | instskip(SKIP_2) | instid1(VALU_DEP_1)
	v_cmp_gt_i64_e32 vcc_lo, v[6:7], v[0:1]
	s_waitcnt vmcnt(0)
	v_subrev_nc_u32_e32 v6, s6, v8
	v_ashrrev_i32_e32 v7, 31, v6
	v_dual_cndmask_b32 v3, v5, v3 :: v_dual_cndmask_b32 v2, v4, v2
	s_delay_alu instid0(VALU_DEP_1)
	v_cmpx_ne_u64_e64 v[2:3], v[6:7]
	s_cbranch_execz .LBB69_30
; %bb.36:                               ;   in Loop: Header=BB69_31 Depth=1
	v_lshlrev_b64 v[4:5], 1, v[0:1]
	v_lshlrev_b64 v[2:3], 1, v[2:3]
	s_mov_b32 s18, 0
	s_delay_alu instid0(VALU_DEP_2) | instskip(NEXT) | instid1(VALU_DEP_3)
	v_add_co_u32 v4, vcc_lo, s12, v4
	v_add_co_ci_u32_e32 v5, vcc_lo, s13, v5, vcc_lo
	s_delay_alu instid0(VALU_DEP_3) | instskip(NEXT) | instid1(VALU_DEP_4)
	v_add_co_u32 v2, vcc_lo, s14, v2
	v_add_co_ci_u32_e32 v3, vcc_lo, s15, v3, vcc_lo
	global_load_u16 v8, v[4:5], off
	v_lshlrev_b64 v[4:5], 2, v[6:7]
	global_load_u16 v6, v[2:3], off
	v_add_co_u32 v2, vcc_lo, s22, v4
	v_add_co_ci_u32_e32 v3, vcc_lo, s23, v5, vcc_lo
	global_load_b32 v5, v[2:3], off
	s_waitcnt vmcnt(2)
	v_cvt_f32_f16_e32 v4, v8
	s_waitcnt vmcnt(1)
	v_cvt_f32_f16_e32 v6, v6
	s_delay_alu instid0(VALU_DEP_2) | instskip(NEXT) | instid1(VALU_DEP_1)
	v_mul_f32_e32 v4, s20, v4
	v_mul_f32_e32 v6, v4, v6
.LBB69_37:                              ;   Parent Loop BB69_31 Depth=1
                                        ; =>  This Inner Loop Header: Depth=2
	s_waitcnt vmcnt(0)
	s_delay_alu instid0(VALU_DEP_1)
	v_add_f32_e32 v4, v5, v6
	global_atomic_cmpswap_b32 v4, v[2:3], v[4:5], off glc
	s_waitcnt vmcnt(0)
	v_cmp_eq_u32_e32 vcc_lo, v4, v5
	v_mov_b32_e32 v5, v4
	s_or_b32 s18, vcc_lo, s18
	s_delay_alu instid0(SALU_CYCLE_1)
	s_and_not1_b32 exec_lo, exec_lo, s18
	s_cbranch_execnz .LBB69_37
	s_branch .LBB69_30
.LBB69_38:
	s_endpgm
	.section	.rodata,"a",@progbits
	.p2align	6, 0x0
	.amdhsa_kernel _ZL33csrmvn_symm_large_adaptive_kernelIliDF16_DF16_ffEvbT_PKS0_N9rocsparse24const_host_device_scalarIT4_EES2_PKT0_PKT1_PKT2_S6_PT3_21rocsparse_index_base_b
		.amdhsa_group_segment_fixed_size 4096
		.amdhsa_private_segment_fixed_size 0
		.amdhsa_kernarg_size 88
		.amdhsa_user_sgpr_count 15
		.amdhsa_user_sgpr_dispatch_ptr 0
		.amdhsa_user_sgpr_queue_ptr 0
		.amdhsa_user_sgpr_kernarg_segment_ptr 1
		.amdhsa_user_sgpr_dispatch_id 0
		.amdhsa_user_sgpr_private_segment_size 0
		.amdhsa_wavefront_size32 1
		.amdhsa_uses_dynamic_stack 0
		.amdhsa_enable_private_segment 0
		.amdhsa_system_sgpr_workgroup_id_x 1
		.amdhsa_system_sgpr_workgroup_id_y 0
		.amdhsa_system_sgpr_workgroup_id_z 0
		.amdhsa_system_sgpr_workgroup_info 0
		.amdhsa_system_vgpr_workitem_id 0
		.amdhsa_next_free_vgpr 14
		.amdhsa_next_free_sgpr 36
		.amdhsa_reserve_vcc 1
		.amdhsa_float_round_mode_32 0
		.amdhsa_float_round_mode_16_64 0
		.amdhsa_float_denorm_mode_32 3
		.amdhsa_float_denorm_mode_16_64 3
		.amdhsa_dx10_clamp 1
		.amdhsa_ieee_mode 1
		.amdhsa_fp16_overflow 0
		.amdhsa_workgroup_processor_mode 1
		.amdhsa_memory_ordered 1
		.amdhsa_forward_progress 0
		.amdhsa_shared_vgpr_count 0
		.amdhsa_exception_fp_ieee_invalid_op 0
		.amdhsa_exception_fp_denorm_src 0
		.amdhsa_exception_fp_ieee_div_zero 0
		.amdhsa_exception_fp_ieee_overflow 0
		.amdhsa_exception_fp_ieee_underflow 0
		.amdhsa_exception_fp_ieee_inexact 0
		.amdhsa_exception_int_div_zero 0
	.end_amdhsa_kernel
	.section	.text._ZL33csrmvn_symm_large_adaptive_kernelIliDF16_DF16_ffEvbT_PKS0_N9rocsparse24const_host_device_scalarIT4_EES2_PKT0_PKT1_PKT2_S6_PT3_21rocsparse_index_base_b,"axG",@progbits,_ZL33csrmvn_symm_large_adaptive_kernelIliDF16_DF16_ffEvbT_PKS0_N9rocsparse24const_host_device_scalarIT4_EES2_PKT0_PKT1_PKT2_S6_PT3_21rocsparse_index_base_b,comdat
.Lfunc_end69:
	.size	_ZL33csrmvn_symm_large_adaptive_kernelIliDF16_DF16_ffEvbT_PKS0_N9rocsparse24const_host_device_scalarIT4_EES2_PKT0_PKT1_PKT2_S6_PT3_21rocsparse_index_base_b, .Lfunc_end69-_ZL33csrmvn_symm_large_adaptive_kernelIliDF16_DF16_ffEvbT_PKS0_N9rocsparse24const_host_device_scalarIT4_EES2_PKT0_PKT1_PKT2_S6_PT3_21rocsparse_index_base_b
                                        ; -- End function
	.section	.AMDGPU.csdata,"",@progbits
; Kernel info:
; codeLenInByte = 1956
; NumSgprs: 38
; NumVgprs: 14
; ScratchSize: 0
; MemoryBound: 0
; FloatMode: 240
; IeeeMode: 1
; LDSByteSize: 4096 bytes/workgroup (compile time only)
; SGPRBlocks: 4
; VGPRBlocks: 1
; NumSGPRsForWavesPerEU: 38
; NumVGPRsForWavesPerEU: 14
; Occupancy: 16
; WaveLimiterHint : 1
; COMPUTE_PGM_RSRC2:SCRATCH_EN: 0
; COMPUTE_PGM_RSRC2:USER_SGPR: 15
; COMPUTE_PGM_RSRC2:TRAP_HANDLER: 0
; COMPUTE_PGM_RSRC2:TGID_X_EN: 1
; COMPUTE_PGM_RSRC2:TGID_Y_EN: 0
; COMPUTE_PGM_RSRC2:TGID_Z_EN: 0
; COMPUTE_PGM_RSRC2:TIDIG_COMP_CNT: 0
	.section	.text._ZN9rocsparseL22csrmvn_adaptive_kernelIllDF16_DF16_ffEEvbT_PKS1_PjPKT0_NS_24const_host_device_scalarIT4_EES3_S7_PKT1_PKT2_SA_PT3_21rocsparse_index_base_b,"axG",@progbits,_ZN9rocsparseL22csrmvn_adaptive_kernelIllDF16_DF16_ffEEvbT_PKS1_PjPKT0_NS_24const_host_device_scalarIT4_EES3_S7_PKT1_PKT2_SA_PT3_21rocsparse_index_base_b,comdat
	.globl	_ZN9rocsparseL22csrmvn_adaptive_kernelIllDF16_DF16_ffEEvbT_PKS1_PjPKT0_NS_24const_host_device_scalarIT4_EES3_S7_PKT1_PKT2_SA_PT3_21rocsparse_index_base_b ; -- Begin function _ZN9rocsparseL22csrmvn_adaptive_kernelIllDF16_DF16_ffEEvbT_PKS1_PjPKT0_NS_24const_host_device_scalarIT4_EES3_S7_PKT1_PKT2_SA_PT3_21rocsparse_index_base_b
	.p2align	8
	.type	_ZN9rocsparseL22csrmvn_adaptive_kernelIllDF16_DF16_ffEEvbT_PKS1_PjPKT0_NS_24const_host_device_scalarIT4_EES3_S7_PKT1_PKT2_SA_PT3_21rocsparse_index_base_b,@function
_ZN9rocsparseL22csrmvn_adaptive_kernelIllDF16_DF16_ffEEvbT_PKS1_PjPKT0_NS_24const_host_device_scalarIT4_EES3_S7_PKT1_PKT2_SA_PT3_21rocsparse_index_base_b: ; @_ZN9rocsparseL22csrmvn_adaptive_kernelIllDF16_DF16_ffEEvbT_PKS1_PjPKT0_NS_24const_host_device_scalarIT4_EES3_S7_PKT1_PKT2_SA_PT3_21rocsparse_index_base_b
; %bb.0:
	s_clause 0x2
	s_load_b64 s[38:39], s[0:1], 0x60
	s_load_b64 s[36:37], s[0:1], 0x28
	;; [unrolled: 1-line block ×3, first 2 shown]
	s_mov_b32 s40, s15
	s_waitcnt lgkmcnt(0)
	s_bitcmp1_b32 s39, 0
	s_cselect_b32 s2, -1, 0
	s_delay_alu instid0(SALU_CYCLE_1)
	s_and_b32 vcc_lo, exec_lo, s2
	s_xor_b32 s2, s2, -1
	s_cbranch_vccnz .LBB70_2
; %bb.1:
	s_load_b32 s36, s[36:37], 0x0
.LBB70_2:
	s_and_not1_b32 vcc_lo, exec_lo, s2
	s_cbranch_vccnz .LBB70_4
; %bb.3:
	s_load_b32 s24, s[24:25], 0x0
.LBB70_4:
	s_waitcnt lgkmcnt(0)
	v_cmp_neq_f32_e64 s2, s36, 0
	v_cmp_neq_f32_e64 s3, s24, 1.0
	s_delay_alu instid0(VALU_DEP_1) | instskip(NEXT) | instid1(SALU_CYCLE_1)
	s_or_b32 s2, s2, s3
	s_and_not1_b32 vcc_lo, exec_lo, s2
	s_cbranch_vccnz .LBB70_116
; %bb.5:
	s_clause 0x2
	s_load_b64 s[2:3], s[0:1], 0x10
	s_load_b64 s[6:7], s[0:1], 0x20
	;; [unrolled: 1-line block ×3, first 2 shown]
	s_ashr_i32 s41, s40, 31
	s_delay_alu instid0(SALU_CYCLE_1)
	s_lshl_b64 s[4:5], s[40:41], 3
	s_waitcnt lgkmcnt(0)
	s_add_u32 s2, s2, s4
	s_addc_u32 s3, s3, s5
	s_load_b128 s[20:23], s[2:3], 0x0
	s_load_b256 s[12:19], s[0:1], 0x30
	s_waitcnt lgkmcnt(0)
	s_sub_u32 s2, s22, s20
	s_subb_u32 s3, s23, s21
	s_add_u32 s4, s6, s4
	s_addc_u32 s5, s7, s5
	s_lshl_b64 s[6:7], s[20:21], 3
	s_delay_alu instid0(SALU_CYCLE_1) | instskip(SKIP_4) | instid1(VALU_DEP_1)
	s_add_u32 s34, s12, s6
	s_addc_u32 s35, s13, s7
	s_load_b64 s[28:29], s[4:5], 0x0
	s_load_b64 s[30:31], s[34:35], 0x0
	v_cmp_lt_i64_e64 s4, s[2:3], 2
	s_and_b32 vcc_lo, exec_lo, s4
	s_mov_b32 s4, -1
	s_cbranch_vccz .LBB70_72
; %bb.6:
	s_cmp_lg_u64 s[2:3], 1
	s_cselect_b32 s2, -1, 0
	s_waitcnt lgkmcnt(0)
	s_cmp_lg_u64 s[28:29], 0
	s_cselect_b32 s3, -1, 0
	s_delay_alu instid0(SALU_CYCLE_1) | instskip(NEXT) | instid1(SALU_CYCLE_1)
	s_or_b32 s2, s2, s3
	s_and_b32 vcc_lo, exec_lo, s2
	s_mov_b32 s2, -1
	s_cbranch_vccnz .LBB70_35
; %bb.7:
	v_cmp_le_i64_e64 s2, s[22:23], s[20:21]
	s_delay_alu instid0(VALU_DEP_1)
	s_and_b32 vcc_lo, exec_lo, s2
	s_cbranch_vccnz .LBB70_34
; %bb.8:
	v_sub_co_u32 v7, s2, v0, s38
	s_delay_alu instid0(VALU_DEP_1)
	v_sub_co_ci_u32_e64 v8, null, 0, 0, s2
	v_dual_mov_b32 v10, 0 :: v_dual_lshlrev_b32 v9, 2, v0
	v_cmp_gt_u32_e64 s2, 0x80, v0
	v_cmp_gt_u32_e64 s3, 64, v0
	;; [unrolled: 1-line block ×7, first 2 shown]
	v_cmp_eq_u32_e64 s9, 0, v0
	v_cmp_neq_f32_e64 s25, s24, 0
	s_add_u32 s11, s12, 8
	s_addc_u32 s33, s13, 0
	s_mov_b64 s[44:45], s[30:31]
	s_mov_b64 s[42:43], s[20:21]
	s_branch .LBB70_11
.LBB70_9:                               ;   in Loop: Header=BB70_11 Depth=1
	s_lshl_b64 s[46:47], s[42:43], 2
	s_delay_alu instid0(SALU_CYCLE_1)
	s_add_u32 s46, s26, s46
	s_addc_u32 s47, s27, s47
	s_waitcnt lgkmcnt(0)
	global_store_b32 v10, v1, s[46:47]
.LBB70_10:                              ;   in Loop: Header=BB70_11 Depth=1
	s_or_b32 exec_lo, exec_lo, s10
	s_add_u32 s42, s42, 1
	s_addc_u32 s43, s43, 0
	s_delay_alu instid0(SALU_CYCLE_1) | instskip(NEXT) | instid1(VALU_DEP_1)
	v_cmp_ge_i64_e64 s10, s[42:43], s[22:23]
	s_and_b32 vcc_lo, exec_lo, s10
	s_cbranch_vccnz .LBB70_34
.LBB70_11:                              ; =>This Loop Header: Depth=1
                                        ;     Child Loop BB70_13 Depth 2
	s_lshl_b64 s[46:47], s[42:43], 3
	s_mov_b64 s[48:49], s[44:45]
	s_add_u32 s46, s11, s46
	s_addc_u32 s47, s33, s47
	v_add_co_u32 v1, vcc_lo, s48, v7
	s_load_b64 s[44:45], s[46:47], 0x0
	v_add_co_ci_u32_e32 v2, vcc_lo, s49, v8, vcc_lo
	v_mov_b32_e32 v11, 0
	s_mov_b32 s37, exec_lo
	s_waitcnt lgkmcnt(0)
	s_sub_u32 s46, s44, s38
	s_subb_u32 s47, s45, 0
	s_delay_alu instid0(SALU_CYCLE_1)
	v_cmpx_gt_i64_e64 s[46:47], v[1:2]
	s_cbranch_execz .LBB70_15
; %bb.12:                               ;   in Loop: Header=BB70_11 Depth=1
	v_lshlrev_b64 v[3:4], 1, v[1:2]
	v_lshlrev_b64 v[5:6], 3, v[1:2]
	v_mov_b32_e32 v11, 0
	s_mov_b32 s39, 0
	s_delay_alu instid0(VALU_DEP_3) | instskip(NEXT) | instid1(VALU_DEP_4)
	v_add_co_u32 v3, vcc_lo, s16, v3
	v_add_co_ci_u32_e32 v4, vcc_lo, s17, v4, vcc_lo
	s_delay_alu instid0(VALU_DEP_4)
	v_add_co_u32 v5, vcc_lo, s14, v5
	v_add_co_ci_u32_e32 v6, vcc_lo, s15, v6, vcc_lo
	s_set_inst_prefetch_distance 0x1
	.p2align	6
.LBB70_13:                              ;   Parent Loop BB70_11 Depth=1
                                        ; =>  This Inner Loop Header: Depth=2
	global_load_b64 v[12:13], v[5:6], off
	global_load_u16 v14, v[3:4], off
	v_add_co_u32 v5, s10, 0x800, v5
	s_delay_alu instid0(VALU_DEP_1) | instskip(SKIP_3) | instid1(VALU_DEP_1)
	v_add_co_ci_u32_e64 v6, s10, 0, v6, s10
	s_waitcnt vmcnt(1)
	v_sub_co_u32 v12, vcc_lo, v12, s38
	v_subrev_co_ci_u32_e32 v13, vcc_lo, 0, v13, vcc_lo
	v_lshlrev_b64 v[12:13], 1, v[12:13]
	s_delay_alu instid0(VALU_DEP_1) | instskip(NEXT) | instid1(VALU_DEP_2)
	v_add_co_u32 v12, vcc_lo, s18, v12
	v_add_co_ci_u32_e32 v13, vcc_lo, s19, v13, vcc_lo
	v_add_co_u32 v1, vcc_lo, 0x100, v1
	v_add_co_ci_u32_e32 v2, vcc_lo, 0, v2, vcc_lo
	global_load_u16 v12, v[12:13], off
	s_waitcnt vmcnt(1)
	v_cvt_f32_f16_e32 v13, v14
	v_add_co_u32 v3, vcc_lo, 0x200, v3
	v_add_co_ci_u32_e32 v4, vcc_lo, 0, v4, vcc_lo
	s_delay_alu instid0(VALU_DEP_3) | instskip(SKIP_3) | instid1(VALU_DEP_2)
	v_mul_f32_e32 v13, s36, v13
	v_cmp_le_i64_e32 vcc_lo, s[46:47], v[1:2]
	s_or_b32 s39, vcc_lo, s39
	s_waitcnt vmcnt(0)
	v_fma_mix_f32 v11, v13, v12, v11 op_sel_hi:[0,1,0]
	s_and_not1_b32 exec_lo, exec_lo, s39
	s_cbranch_execnz .LBB70_13
; %bb.14:                               ;   in Loop: Header=BB70_11 Depth=1
	s_set_inst_prefetch_distance 0x2
	s_or_b32 exec_lo, exec_lo, s39
.LBB70_15:                              ;   in Loop: Header=BB70_11 Depth=1
	s_delay_alu instid0(SALU_CYCLE_1)
	s_or_b32 exec_lo, exec_lo, s37
	ds_store_b32 v9, v11
	s_waitcnt lgkmcnt(0)
	s_waitcnt_vscnt null, 0x0
	s_barrier
	buffer_gl0_inv
	s_and_saveexec_b32 s10, s2
	s_cbranch_execz .LBB70_17
; %bb.16:                               ;   in Loop: Header=BB70_11 Depth=1
	ds_load_2addr_stride64_b32 v[1:2], v9 offset1:2
	s_waitcnt lgkmcnt(0)
	v_add_f32_e32 v1, v1, v2
	ds_store_b32 v9, v1
.LBB70_17:                              ;   in Loop: Header=BB70_11 Depth=1
	s_or_b32 exec_lo, exec_lo, s10
	s_waitcnt lgkmcnt(0)
	s_barrier
	buffer_gl0_inv
	s_and_saveexec_b32 s10, s3
	s_cbranch_execz .LBB70_19
; %bb.18:                               ;   in Loop: Header=BB70_11 Depth=1
	ds_load_2addr_stride64_b32 v[1:2], v9 offset1:1
	s_waitcnt lgkmcnt(0)
	v_add_f32_e32 v1, v1, v2
	ds_store_b32 v9, v1
.LBB70_19:                              ;   in Loop: Header=BB70_11 Depth=1
	s_or_b32 exec_lo, exec_lo, s10
	s_waitcnt lgkmcnt(0)
	s_barrier
	buffer_gl0_inv
	s_and_saveexec_b32 s10, s4
	s_cbranch_execz .LBB70_21
; %bb.20:                               ;   in Loop: Header=BB70_11 Depth=1
	ds_load_2addr_b32 v[1:2], v9 offset1:32
	s_waitcnt lgkmcnt(0)
	v_add_f32_e32 v1, v1, v2
	ds_store_b32 v9, v1
.LBB70_21:                              ;   in Loop: Header=BB70_11 Depth=1
	s_or_b32 exec_lo, exec_lo, s10
	s_waitcnt lgkmcnt(0)
	s_barrier
	buffer_gl0_inv
	s_and_saveexec_b32 s10, s5
	s_cbranch_execz .LBB70_23
; %bb.22:                               ;   in Loop: Header=BB70_11 Depth=1
	ds_load_2addr_b32 v[1:2], v9 offset1:16
	s_waitcnt lgkmcnt(0)
	v_add_f32_e32 v1, v1, v2
	ds_store_b32 v9, v1
.LBB70_23:                              ;   in Loop: Header=BB70_11 Depth=1
	;; [unrolled: 12-line block ×5, first 2 shown]
	s_or_b32 exec_lo, exec_lo, s10
	s_waitcnt lgkmcnt(0)
	s_barrier
	buffer_gl0_inv
	s_and_saveexec_b32 s10, s9
	s_cbranch_execz .LBB70_31
; %bb.30:                               ;   in Loop: Header=BB70_11 Depth=1
	ds_load_b64 v[1:2], v10
	s_waitcnt lgkmcnt(0)
	v_add_f32_e32 v1, v1, v2
	ds_store_b32 v10, v1
.LBB70_31:                              ;   in Loop: Header=BB70_11 Depth=1
	s_or_b32 exec_lo, exec_lo, s10
	s_waitcnt lgkmcnt(0)
	s_barrier
	buffer_gl0_inv
	s_and_saveexec_b32 s10, s9
	s_cbranch_execz .LBB70_10
; %bb.32:                               ;   in Loop: Header=BB70_11 Depth=1
	ds_load_b32 v1, v10
	s_and_not1_b32 vcc_lo, exec_lo, s25
	s_cbranch_vccnz .LBB70_9
; %bb.33:                               ;   in Loop: Header=BB70_11 Depth=1
	s_lshl_b64 s[46:47], s[42:43], 2
	s_delay_alu instid0(SALU_CYCLE_1)
	s_add_u32 s46, s26, s46
	s_addc_u32 s47, s27, s47
	global_load_b32 v2, v10, s[46:47]
	s_waitcnt vmcnt(0) lgkmcnt(0)
	v_fmac_f32_e32 v1, s24, v2
	s_branch .LBB70_9
.LBB70_34:
	s_mov_b32 s2, 0
.LBB70_35:
	s_delay_alu instid0(SALU_CYCLE_1)
	s_and_not1_b32 vcc_lo, exec_lo, s2
	s_cbranch_vccnz .LBB70_71
; %bb.36:
	s_load_b64 s[6:7], s[0:1], 0x18
	s_sub_u32 s8, s40, s28
	s_subb_u32 s9, s41, s29
	s_lshl_b64 s[2:3], s[40:41], 2
	v_cmp_eq_u32_e32 vcc_lo, 0, v0
	v_mov_b32_e32 v7, 0
	s_waitcnt lgkmcnt(0)
	s_add_u32 s4, s6, s2
	s_addc_u32 s5, s7, s3
	s_cmp_eq_u64 s[28:29], 0
	s_load_b32 s25, s[4:5], 0x0
	s_cselect_b32 s2, -1, 0
	s_cmp_lg_u64 s[28:29], 0
	s_cselect_b32 s33, -1, 0
	s_and_b32 s2, vcc_lo, s2
	s_delay_alu instid0(SALU_CYCLE_1)
	s_and_saveexec_b32 s3, s2
	s_cbranch_execz .LBB70_40
; %bb.37:
	s_lshl_b64 s[40:41], s[20:21], 2
	s_mov_b32 s11, exec_lo
	s_add_u32 s40, s26, s40
	s_addc_u32 s41, s27, s41
	v_mbcnt_lo_u32_b32 v2, s11, 0
	s_load_b32 s10, s[40:41], 0x0
	v_add_f32_e64 v1, s24, -1.0
	s_mov_b32 s37, exec_lo
	s_waitcnt vmcnt(0) expcnt(0) lgkmcnt(0)
	s_waitcnt_vscnt null, 0x0
	v_cmpx_eq_u32_e32 0, v2
	s_cbranch_execz .LBB70_39
; %bb.38:
	s_lshl_b64 s[40:41], s[8:9], 2
	s_delay_alu instid0(SALU_CYCLE_1) | instskip(SKIP_2) | instid1(SALU_CYCLE_1)
	s_add_u32 s40, s6, s40
	s_addc_u32 s41, s7, s41
	s_bcnt1_i32_b32 s2, s11
	s_and_b32 s2, s2, 1
	s_delay_alu instid0(SALU_CYCLE_1)
	v_dual_mov_b32 v2, 0 :: v_dual_mov_b32 v3, s2
	global_atomic_xor_b32 v2, v3, s[40:41]
.LBB70_39:
	s_or_b32 exec_lo, exec_lo, s37
	v_mul_f32_e32 v7, s10, v1
.LBB70_40:
	s_or_b32 exec_lo, exec_lo, s3
	s_load_b64 s[10:11], s[34:35], 0x8
	s_mul_i32 s2, s29, 0xc00
	s_mul_hi_u32 s3, s28, 0xc00
	s_delay_alu instid0(SALU_CYCLE_1)
	s_add_i32 s3, s3, s2
	s_mul_i32 s2, s28, 0xc00
	s_sub_u32 s37, s30, s38
	s_subb_u32 s40, s31, 0
	s_add_u32 s39, s37, s2
	s_addc_u32 s3, s40, s3
	v_add_co_u32 v1, s2, s39, v0
	s_delay_alu instid0(VALU_DEP_1) | instskip(SKIP_4) | instid1(SALU_CYCLE_1)
	v_add_co_ci_u32_e64 v2, null, s3, 0, s2
	s_mov_b32 s37, exec_lo
	s_waitcnt lgkmcnt(0)
	s_sub_u32 s10, s10, s38
	s_subb_u32 s11, s11, 0
	v_cmpx_gt_i64_e64 s[10:11], v[1:2]
	s_cbranch_execz .LBB70_44
; %bb.41:
	s_add_u32 s40, s39, 0xc00
	v_lshlrev_b64 v[3:4], 1, v[1:2]
	s_addc_u32 s41, s3, 0
	v_lshlrev_b64 v[5:6], 3, v[1:2]
	v_cmp_lt_i64_e64 s3, s[40:41], s[10:11]
	s_mov_b32 s39, 0
	s_delay_alu instid0(VALU_DEP_3) | instskip(NEXT) | instid1(VALU_DEP_1)
	v_add_co_u32 v3, s2, s16, v3
	v_add_co_ci_u32_e64 v4, s2, s17, v4, s2
	s_delay_alu instid0(VALU_DEP_3) | instskip(SKIP_1) | instid1(VALU_DEP_1)
	s_and_b32 s2, s3, exec_lo
	v_add_co_u32 v5, s2, s14, v5
	v_add_co_ci_u32_e64 v6, s2, s15, v6, s2
	s_cselect_b32 s11, s41, s11
	s_cselect_b32 s10, s40, s10
	s_set_inst_prefetch_distance 0x1
	.p2align	6
.LBB70_42:                              ; =>This Inner Loop Header: Depth=1
	global_load_b64 v[8:9], v[5:6], off
	global_load_u16 v10, v[3:4], off
	v_add_co_u32 v5, s3, 0x800, v5
	s_delay_alu instid0(VALU_DEP_1) | instskip(SKIP_2) | instid1(VALU_DEP_1)
	v_add_co_ci_u32_e64 v6, s3, 0, v6, s3
	s_waitcnt vmcnt(1)
	v_sub_co_u32 v8, s2, v8, s38
	v_subrev_co_ci_u32_e64 v9, s2, 0, v9, s2
	s_delay_alu instid0(VALU_DEP_1) | instskip(NEXT) | instid1(VALU_DEP_1)
	v_lshlrev_b64 v[8:9], 1, v[8:9]
	v_add_co_u32 v8, s2, s18, v8
	s_delay_alu instid0(VALU_DEP_1) | instskip(SKIP_1) | instid1(VALU_DEP_1)
	v_add_co_ci_u32_e64 v9, s2, s19, v9, s2
	v_add_co_u32 v1, s2, 0x100, v1
	v_add_co_ci_u32_e64 v2, s2, 0, v2, s2
	global_load_u16 v8, v[8:9], off
	s_waitcnt vmcnt(1)
	v_cvt_f32_f16_e32 v9, v10
	v_add_co_u32 v3, s2, 0x200, v3
	s_delay_alu instid0(VALU_DEP_1) | instskip(NEXT) | instid1(VALU_DEP_3)
	v_add_co_ci_u32_e64 v4, s2, 0, v4, s2
	v_mul_f32_e32 v9, s36, v9
	v_cmp_le_i64_e64 s2, s[10:11], v[1:2]
	s_delay_alu instid0(VALU_DEP_1) | instskip(SKIP_1) | instid1(VALU_DEP_2)
	s_or_b32 s39, s2, s39
	s_waitcnt vmcnt(0)
	v_fma_mix_f32 v7, v9, v8, v7 op_sel_hi:[0,1,0]
	s_and_not1_b32 exec_lo, exec_lo, s39
	s_cbranch_execnz .LBB70_42
; %bb.43:
	s_set_inst_prefetch_distance 0x2
	s_or_b32 exec_lo, exec_lo, s39
.LBB70_44:
	s_delay_alu instid0(SALU_CYCLE_1)
	s_or_b32 exec_lo, exec_lo, s37
	v_lshlrev_b32_e32 v1, 2, v0
	s_mov_b32 s3, exec_lo
	ds_store_b32 v1, v7
	s_waitcnt lgkmcnt(0)
	s_waitcnt_vscnt null, 0x0
	s_barrier
	buffer_gl0_inv
	v_cmpx_gt_u32_e32 0x80, v0
	s_cbranch_execz .LBB70_46
; %bb.45:
	ds_load_2addr_stride64_b32 v[2:3], v1 offset1:2
	s_waitcnt lgkmcnt(0)
	v_add_f32_e32 v2, v2, v3
	ds_store_b32 v1, v2
.LBB70_46:
	s_or_b32 exec_lo, exec_lo, s3
	s_delay_alu instid0(SALU_CYCLE_1)
	s_mov_b32 s3, exec_lo
	s_waitcnt lgkmcnt(0)
	s_barrier
	buffer_gl0_inv
	v_cmpx_gt_u32_e32 64, v0
	s_cbranch_execz .LBB70_48
; %bb.47:
	ds_load_2addr_stride64_b32 v[2:3], v1 offset1:1
	s_waitcnt lgkmcnt(0)
	v_add_f32_e32 v2, v2, v3
	ds_store_b32 v1, v2
.LBB70_48:
	s_or_b32 exec_lo, exec_lo, s3
	s_delay_alu instid0(SALU_CYCLE_1)
	s_mov_b32 s3, exec_lo
	s_waitcnt lgkmcnt(0)
	s_barrier
	buffer_gl0_inv
	v_cmpx_gt_u32_e32 32, v0
	s_cbranch_execz .LBB70_50
; %bb.49:
	ds_load_2addr_b32 v[2:3], v1 offset1:32
	s_waitcnt lgkmcnt(0)
	v_add_f32_e32 v2, v2, v3
	ds_store_b32 v1, v2
.LBB70_50:
	s_or_b32 exec_lo, exec_lo, s3
	s_delay_alu instid0(SALU_CYCLE_1)
	s_mov_b32 s3, exec_lo
	s_waitcnt lgkmcnt(0)
	s_barrier
	buffer_gl0_inv
	v_cmpx_gt_u32_e32 16, v0
	s_cbranch_execz .LBB70_52
; %bb.51:
	ds_load_2addr_b32 v[2:3], v1 offset1:16
	s_waitcnt lgkmcnt(0)
	v_add_f32_e32 v2, v2, v3
	ds_store_b32 v1, v2
.LBB70_52:
	;; [unrolled: 14-line block ×5, first 2 shown]
	s_or_b32 exec_lo, exec_lo, s3
	s_waitcnt lgkmcnt(0)
	s_barrier
	buffer_gl0_inv
	s_and_saveexec_b32 s2, vcc_lo
	s_cbranch_execz .LBB70_60
; %bb.59:
	v_mov_b32_e32 v3, 0
	ds_load_b64 v[1:2], v3
	s_waitcnt lgkmcnt(0)
	v_add_f32_e32 v1, v1, v2
	ds_store_b32 v3, v1
.LBB70_60:
	s_or_b32 exec_lo, exec_lo, s2
	s_waitcnt lgkmcnt(0)
	s_barrier
	buffer_gl0_inv
	s_and_saveexec_b32 s10, vcc_lo
	s_cbranch_execz .LBB70_70
; %bb.61:
	s_and_not1_b32 vcc_lo, exec_lo, s33
	s_cbranch_vccnz .LBB70_67
; %bb.62:
	s_lshl_b64 s[2:3], s[8:9], 2
	v_mov_b32_e32 v1, 0
	s_add_u32 s2, s6, s2
	s_addc_u32 s3, s7, s3
	s_branch .LBB70_64
.LBB70_63:                              ;   in Loop: Header=BB70_64 Depth=1
	s_or_b32 exec_lo, exec_lo, s6
	s_waitcnt vmcnt(0)
	v_readfirstlane_b32 s6, v2
	s_delay_alu instid0(VALU_DEP_1)
	s_cmp_eq_u32 s6, s25
	s_cbranch_scc0 .LBB70_66
.LBB70_64:                              ; =>This Inner Loop Header: Depth=1
	v_mbcnt_lo_u32_b32 v2, exec_lo, 0
	s_delay_alu instid0(VALU_DEP_1)
	v_cmp_eq_u32_e32 vcc_lo, 0, v2
                                        ; implicit-def: $vgpr2
	s_and_saveexec_b32 s6, vcc_lo
	s_cbranch_execz .LBB70_63
; %bb.65:                               ;   in Loop: Header=BB70_64 Depth=1
	global_load_b32 v2, v1, s[2:3] glc
	s_branch .LBB70_63
.LBB70_66:
	v_mov_b32_e32 v1, 0
	global_load_b32 v2, v1, s[4:5]
	s_waitcnt vmcnt(0)
	v_xor_b32_e32 v2, 1, v2
	global_store_b32 v1, v2, s[4:5]
.LBB70_67:
	s_mov_b32 s5, exec_lo
	s_mov_b32 s4, 0
	v_mbcnt_lo_u32_b32 v1, s5, 0
	s_delay_alu instid0(VALU_DEP_1) | instskip(SKIP_1) | instid1(SALU_CYCLE_1)
	v_cmp_eq_u32_e32 vcc_lo, 0, v1
	s_and_b32 s2, exec_lo, vcc_lo
	s_mov_b32 exec_lo, s2
	s_cbranch_execz .LBB70_70
; %bb.68:
	s_lshl_b64 s[2:3], s[20:21], 2
	s_delay_alu instid0(SALU_CYCLE_1) | instskip(SKIP_2) | instid1(SALU_CYCLE_1)
	s_add_u32 s2, s26, s2
	s_addc_u32 s3, s27, s3
	s_bcnt1_i32_b32 s5, s5
	v_cvt_f32_ubyte0_e32 v4, s5
	v_mov_b32_e32 v3, 0
	global_load_b32 v2, v3, s[2:3]
	ds_load_b32 v1, v3
	s_waitcnt lgkmcnt(0)
	v_mul_f32_e32 v4, v1, v4
.LBB70_69:                              ; =>This Inner Loop Header: Depth=1
	s_waitcnt vmcnt(0)
	s_delay_alu instid0(VALU_DEP_1)
	v_add_f32_e32 v1, v2, v4
	global_atomic_cmpswap_b32 v1, v3, v[1:2], s[2:3] glc
	s_waitcnt vmcnt(0)
	v_cmp_eq_u32_e32 vcc_lo, v1, v2
	v_mov_b32_e32 v2, v1
	s_or_b32 s4, vcc_lo, s4
	s_delay_alu instid0(SALU_CYCLE_1)
	s_and_not1_b32 exec_lo, exec_lo, s4
	s_cbranch_execnz .LBB70_69
.LBB70_70:
	s_or_b32 exec_lo, exec_lo, s10
.LBB70_71:
	s_mov_b32 s4, 0
.LBB70_72:
	s_delay_alu instid0(SALU_CYCLE_1)
	s_and_not1_b32 vcc_lo, exec_lo, s4
	s_cbranch_vccnz .LBB70_116
; %bb.73:
	s_load_b64 s[0:1], s[0:1], 0x8
	v_sub_co_u32 v1, s2, v0, s38
	s_delay_alu instid0(VALU_DEP_1) | instskip(SKIP_1) | instid1(VALU_DEP_2)
	v_sub_co_ci_u32_e64 v2, null, 0, 0, s2
	s_waitcnt lgkmcnt(0)
	v_add_co_u32 v1, vcc_lo, s30, v1
	s_delay_alu instid0(VALU_DEP_2) | instskip(NEXT) | instid1(VALU_DEP_2)
	v_add_co_ci_u32_e32 v2, vcc_lo, s31, v2, vcc_lo
	v_add_co_u32 v3, vcc_lo, 0x300, v1
	s_delay_alu instid0(VALU_DEP_2) | instskip(NEXT) | instid1(VALU_DEP_1)
	v_add_co_ci_u32_e32 v4, vcc_lo, 0, v2, vcc_lo
	v_cmp_le_i64_e32 vcc_lo, s[0:1], v[3:4]
	s_and_saveexec_b32 s0, vcc_lo
	s_delay_alu instid0(SALU_CYCLE_1)
	s_xor_b32 s1, exec_lo, s0
	s_cbranch_execz .LBB70_78
; %bb.74:
	s_lshl_b64 s[2:3], s[22:23], 3
	s_mov_b32 s4, exec_lo
	s_add_u32 s2, s12, s2
	s_addc_u32 s3, s13, s3
	s_load_b64 s[2:3], s[2:3], 0x0
	s_waitcnt lgkmcnt(0)
	s_sub_u32 s2, s2, s38
	s_subb_u32 s3, s3, 0
	s_delay_alu instid0(SALU_CYCLE_1)
	v_cmpx_gt_i64_e64 s[2:3], v[1:2]
	s_cbranch_execz .LBB70_77
; %bb.75:
	v_lshlrev_b64 v[3:4], 1, v[1:2]
	v_lshlrev_b64 v[5:6], 3, v[1:2]
	v_lshlrev_b32_e32 v7, 2, v0
	s_mov_b32 s5, 0
	s_delay_alu instid0(VALU_DEP_3) | instskip(NEXT) | instid1(VALU_DEP_4)
	v_add_co_u32 v3, vcc_lo, s16, v3
	v_add_co_ci_u32_e32 v4, vcc_lo, s17, v4, vcc_lo
	s_delay_alu instid0(VALU_DEP_4)
	v_add_co_u32 v5, vcc_lo, s14, v5
	v_add_co_ci_u32_e32 v6, vcc_lo, s15, v6, vcc_lo
	s_set_inst_prefetch_distance 0x1
	.p2align	6
.LBB70_76:                              ; =>This Inner Loop Header: Depth=1
	global_load_b64 v[8:9], v[5:6], off
	global_load_u16 v10, v[3:4], off
	s_waitcnt vmcnt(1)
	v_sub_co_u32 v8, vcc_lo, v8, s38
	v_subrev_co_ci_u32_e32 v9, vcc_lo, 0, v9, vcc_lo
	s_delay_alu instid0(VALU_DEP_1) | instskip(NEXT) | instid1(VALU_DEP_1)
	v_lshlrev_b64 v[8:9], 1, v[8:9]
	v_add_co_u32 v8, vcc_lo, s18, v8
	s_delay_alu instid0(VALU_DEP_2)
	v_add_co_ci_u32_e32 v9, vcc_lo, s19, v9, vcc_lo
	v_add_co_u32 v1, vcc_lo, 0x100, v1
	v_add_co_ci_u32_e32 v2, vcc_lo, 0, v2, vcc_lo
	global_load_u16 v8, v[8:9], off
	s_waitcnt vmcnt(1)
	v_cvt_f32_f16_e32 v9, v10
	v_add_co_u32 v3, vcc_lo, 0x200, v3
	v_add_co_ci_u32_e32 v4, vcc_lo, 0, v4, vcc_lo
	s_delay_alu instid0(VALU_DEP_3) | instskip(SKIP_3) | instid1(VALU_DEP_3)
	v_mul_f32_e32 v9, s36, v9
	v_cmp_le_i64_e64 s0, s[2:3], v[1:2]
	v_add_co_u32 v5, vcc_lo, 0x800, v5
	v_add_co_ci_u32_e32 v6, vcc_lo, 0, v6, vcc_lo
	s_or_b32 s5, s0, s5
	s_waitcnt vmcnt(0)
	v_cvt_f32_f16_e32 v8, v8
	s_delay_alu instid0(VALU_DEP_1)
	v_mul_f32_e32 v8, v9, v8
	ds_store_b32 v7, v8
	v_add_nc_u32_e32 v7, 0x400, v7
	s_and_not1_b32 exec_lo, exec_lo, s5
	s_cbranch_execnz .LBB70_76
.LBB70_77:
	s_set_inst_prefetch_distance 0x2
	s_or_b32 exec_lo, exec_lo, s4
                                        ; implicit-def: $vgpr1_vgpr2
.LBB70_78:
	s_or_saveexec_b32 s0, s1
	v_lshlrev_b32_e32 v9, 2, v0
	s_xor_b32 exec_lo, exec_lo, s0
	s_cbranch_execz .LBB70_80
; %bb.79:
	v_lshlrev_b64 v[3:4], 3, v[1:2]
	v_lshlrev_b64 v[1:2], 1, v[1:2]
	s_delay_alu instid0(VALU_DEP_2) | instskip(NEXT) | instid1(VALU_DEP_3)
	v_add_co_u32 v3, vcc_lo, s14, v3
	v_add_co_ci_u32_e32 v4, vcc_lo, s15, v4, vcc_lo
	s_delay_alu instid0(VALU_DEP_2)
	v_add_co_u32 v7, vcc_lo, 0x1000, v3
	global_load_b64 v[5:6], v[3:4], off
	v_add_co_ci_u32_e32 v8, vcc_lo, 0, v4, vcc_lo
	v_add_co_u32 v1, vcc_lo, s16, v1
	s_clause 0x2
	global_load_b64 v[3:4], v[3:4], off offset:2048
	global_load_b64 v[10:11], v[7:8], off
	global_load_b64 v[7:8], v[7:8], off offset:2048
	v_add_co_ci_u32_e32 v2, vcc_lo, s17, v2, vcc_lo
	s_clause 0x3
	global_load_u16 v12, v[1:2], off
	global_load_u16 v13, v[1:2], off offset:512
	global_load_u16 v14, v[1:2], off offset:1024
	;; [unrolled: 1-line block ×3, first 2 shown]
	s_waitcnt vmcnt(7)
	v_sub_co_u32 v5, vcc_lo, v5, s38
	v_subrev_co_ci_u32_e32 v6, vcc_lo, 0, v6, vcc_lo
	s_waitcnt vmcnt(6)
	v_sub_co_u32 v3, vcc_lo, v3, s38
	v_subrev_co_ci_u32_e32 v4, vcc_lo, 0, v4, vcc_lo
	s_waitcnt vmcnt(5)
	v_sub_co_u32 v10, vcc_lo, v10, s38
	v_lshlrev_b64 v[5:6], 1, v[5:6]
	v_subrev_co_ci_u32_e32 v11, vcc_lo, 0, v11, vcc_lo
	s_waitcnt vmcnt(4)
	v_sub_co_u32 v7, vcc_lo, v7, s38
	v_lshlrev_b64 v[1:2], 1, v[3:4]
	v_subrev_co_ci_u32_e32 v8, vcc_lo, 0, v8, vcc_lo
	v_lshlrev_b64 v[3:4], 1, v[10:11]
	v_add_co_u32 v5, vcc_lo, s18, v5
	v_add_co_ci_u32_e32 v6, vcc_lo, s19, v6, vcc_lo
	s_delay_alu instid0(VALU_DEP_4)
	v_lshlrev_b64 v[7:8], 1, v[7:8]
	v_add_co_u32 v1, vcc_lo, s18, v1
	v_add_co_ci_u32_e32 v2, vcc_lo, s19, v2, vcc_lo
	v_add_co_u32 v3, vcc_lo, s18, v3
	v_add_co_ci_u32_e32 v4, vcc_lo, s19, v4, vcc_lo
	;; [unrolled: 2-line block ×3, first 2 shown]
	s_clause 0x3
	global_load_u16 v5, v[5:6], off
	global_load_u16 v1, v[1:2], off
	;; [unrolled: 1-line block ×4, first 2 shown]
	s_waitcnt vmcnt(7)
	v_cvt_f32_f16_e32 v4, v12
	s_waitcnt vmcnt(6)
	v_cvt_f32_f16_e32 v6, v13
	;; [unrolled: 2-line block ×3, first 2 shown]
	v_cvt_f32_f16_e32 v7, v14
	s_delay_alu instid0(VALU_DEP_1)
	v_dual_mul_f32 v4, s36, v4 :: v_dual_mul_f32 v7, s36, v7
	s_waitcnt vmcnt(3)
	v_cvt_f32_f16_e32 v5, v5
	s_waitcnt vmcnt(2)
	v_cvt_f32_f16_e32 v1, v1
	v_mul_f32_e32 v8, s36, v8
	s_waitcnt vmcnt(0)
	v_cvt_f32_f16_e32 v3, v3
	v_mul_f32_e32 v6, s36, v6
	v_cvt_f32_f16_e32 v2, v2
	v_mul_f32_e32 v4, v4, v5
	s_delay_alu instid0(VALU_DEP_4) | instskip(NEXT) | instid1(VALU_DEP_3)
	v_mul_f32_e32 v3, v8, v3
	v_dual_mul_f32 v1, v6, v1 :: v_dual_mul_f32 v2, v7, v2
	ds_store_2addr_stride64_b32 v9, v4, v1 offset1:4
	ds_store_2addr_stride64_b32 v9, v2, v3 offset0:8 offset1:12
.LBB70_80:
	s_or_b32 exec_lo, exec_lo, s0
	v_cmp_lt_i64_e64 s0, s[28:29], 2
	s_waitcnt lgkmcnt(0)
	s_waitcnt_vscnt null, 0x0
	s_barrier
	buffer_gl0_inv
	s_and_b32 vcc_lo, exec_lo, s0
	s_mov_b32 s0, -1
	s_cbranch_vccz .LBB70_91
; %bb.81:
	v_add_co_u32 v5, s0, s20, v0
	s_delay_alu instid0(VALU_DEP_1) | instskip(SKIP_1) | instid1(VALU_DEP_1)
	v_add_co_ci_u32_e64 v6, null, s21, 0, s0
	s_mov_b32 s1, exec_lo
	v_cmpx_gt_i64_e64 s[22:23], v[5:6]
	s_cbranch_execz .LBB70_90
; %bb.82:
	v_cmp_neq_f32_e64 s2, s24, 0
	s_lshl_b32 s0, s30, 2
	s_mov_b32 s3, 0
	s_sub_i32 s4, 0, s0
	s_branch .LBB70_84
.LBB70_83:                              ;   in Loop: Header=BB70_84 Depth=1
	v_add_co_u32 v5, vcc_lo, 0x100, v5
	v_add_co_ci_u32_e32 v6, vcc_lo, 0, v6, vcc_lo
	s_delay_alu instid0(VALU_DEP_3) | instskip(NEXT) | instid1(VALU_DEP_1)
	v_add_co_u32 v1, s0, s26, v1
	v_add_co_ci_u32_e64 v2, s0, s27, v2, s0
	s_delay_alu instid0(VALU_DEP_3) | instskip(SKIP_2) | instid1(SALU_CYCLE_1)
	v_cmp_le_i64_e32 vcc_lo, s[22:23], v[5:6]
	global_store_b32 v[1:2], v10, off
	s_or_b32 s3, vcc_lo, s3
	s_and_not1_b32 exec_lo, exec_lo, s3
	s_cbranch_execz .LBB70_90
.LBB70_84:                              ; =>This Loop Header: Depth=1
                                        ;     Child Loop BB70_86 Depth 2
	v_lshlrev_b64 v[1:2], 3, v[5:6]
	v_mov_b32_e32 v10, 0
	s_mov_b32 s0, exec_lo
	s_delay_alu instid0(VALU_DEP_2) | instskip(NEXT) | instid1(VALU_DEP_3)
	v_add_co_u32 v1, vcc_lo, s12, v1
	v_add_co_ci_u32_e32 v2, vcc_lo, s13, v2, vcc_lo
	global_load_b128 v[1:4], v[1:2], off
	s_waitcnt vmcnt(0)
	v_cmpx_lt_i64_e64 v[1:2], v[3:4]
	s_cbranch_execz .LBB70_88
; %bb.85:                               ;   in Loop: Header=BB70_84 Depth=1
	v_sub_co_u32 v3, vcc_lo, v3, s30
	v_subrev_co_ci_u32_e32 v4, vcc_lo, s31, v4, vcc_lo
	v_sub_co_u32 v7, vcc_lo, v1, s30
	v_subrev_co_ci_u32_e32 v8, vcc_lo, s31, v2, vcc_lo
	v_lshl_add_u32 v1, v1, 2, s4
	v_mov_b32_e32 v10, 0
	s_mov_b32 s5, 0
.LBB70_86:                              ;   Parent Loop BB70_84 Depth=1
                                        ; =>  This Inner Loop Header: Depth=2
	ds_load_b32 v2, v1
	v_add_co_u32 v7, vcc_lo, v7, 1
	v_add_co_ci_u32_e32 v8, vcc_lo, 0, v8, vcc_lo
	v_add_nc_u32_e32 v1, 4, v1
	s_delay_alu instid0(VALU_DEP_2)
	v_cmp_ge_i64_e32 vcc_lo, v[7:8], v[3:4]
	s_or_b32 s5, vcc_lo, s5
	s_waitcnt lgkmcnt(0)
	v_add_f32_e32 v10, v10, v2
	s_and_not1_b32 exec_lo, exec_lo, s5
	s_cbranch_execnz .LBB70_86
; %bb.87:                               ;   in Loop: Header=BB70_84 Depth=1
	s_or_b32 exec_lo, exec_lo, s5
.LBB70_88:                              ;   in Loop: Header=BB70_84 Depth=1
	s_delay_alu instid0(SALU_CYCLE_1)
	s_or_b32 exec_lo, exec_lo, s0
	v_lshlrev_b64 v[1:2], 2, v[5:6]
	s_and_b32 vcc_lo, exec_lo, s2
	s_cbranch_vccz .LBB70_83
; %bb.89:                               ;   in Loop: Header=BB70_84 Depth=1
	s_delay_alu instid0(VALU_DEP_1) | instskip(NEXT) | instid1(VALU_DEP_2)
	v_add_co_u32 v3, vcc_lo, s26, v1
	v_add_co_ci_u32_e32 v4, vcc_lo, s27, v2, vcc_lo
	global_load_b32 v3, v[3:4], off
	s_waitcnt vmcnt(0)
	v_fmac_f32_e32 v10, s24, v3
	s_branch .LBB70_83
.LBB70_90:
	s_or_b32 exec_lo, exec_lo, s1
	s_mov_b32 s0, 0
.LBB70_91:
	s_delay_alu instid0(SALU_CYCLE_1)
	s_and_not1_b32 vcc_lo, exec_lo, s0
	s_cbranch_vccnz .LBB70_116
; %bb.92:
	s_clz_i32_u32 s0, s28
	s_add_i32 s1, s28, -1
	s_min_u32 s0, s0, 32
	v_dual_mov_b32 v10, 0 :: v_dual_and_b32 v3, s1, v0
	s_sub_i32 s0, 31, s0
	s_mov_b32 s1, exec_lo
	v_lshrrev_b32_e32 v5, s0, v0
	s_delay_alu instid0(VALU_DEP_1) | instskip(NEXT) | instid1(VALU_DEP_1)
	v_add_co_u32 v1, s0, s20, v5
	v_add_co_ci_u32_e64 v2, null, s21, 0, s0
	v_and_b32_e64 v4, s0, 0
	s_delay_alu instid0(VALU_DEP_2)
	v_cmp_le_i64_e64 s0, s[22:23], v[1:2]
	v_cmpx_gt_i64_e64 s[22:23], v[1:2]
	s_cbranch_execz .LBB70_98
; %bb.93:
	v_lshlrev_b32_e32 v0, 3, v5
	s_mov_b32 s2, exec_lo
	global_load_b128 v[10:13], v0, s[34:35]
	v_sub_co_u32 v0, vcc_lo, v3, s30
	v_subrev_co_ci_u32_e32 v8, vcc_lo, s31, v4, vcc_lo
	s_waitcnt vmcnt(0)
	v_sub_co_u32 v5, vcc_lo, v12, s30
	v_subrev_co_ci_u32_e32 v6, vcc_lo, s31, v13, vcc_lo
	v_add_co_u32 v7, vcc_lo, v10, v0
	v_add_co_ci_u32_e32 v8, vcc_lo, v11, v8, vcc_lo
	v_mov_b32_e32 v10, 0
	s_delay_alu instid0(VALU_DEP_2)
	v_cmpx_lt_i64_e64 v[7:8], v[5:6]
	s_cbranch_execz .LBB70_97
; %bb.94:
	v_lshlrev_b32_e32 v0, 2, v7
	v_mov_b32_e32 v10, 0
	s_lshl_b32 s4, s28, 2
	s_mov_b32 s3, 0
.LBB70_95:                              ; =>This Inner Loop Header: Depth=1
	ds_load_b32 v11, v0
	v_add_co_u32 v7, vcc_lo, v7, s28
	v_add_co_ci_u32_e32 v8, vcc_lo, s29, v8, vcc_lo
	v_add_nc_u32_e32 v0, s4, v0
	s_delay_alu instid0(VALU_DEP_2)
	v_cmp_ge_i64_e32 vcc_lo, v[7:8], v[5:6]
	s_or_b32 s3, vcc_lo, s3
	s_waitcnt lgkmcnt(0)
	v_add_f32_e32 v10, v10, v11
	s_and_not1_b32 exec_lo, exec_lo, s3
	s_cbranch_execnz .LBB70_95
; %bb.96:
	s_or_b32 exec_lo, exec_lo, s3
.LBB70_97:
	s_delay_alu instid0(SALU_CYCLE_1)
	s_or_b32 exec_lo, exec_lo, s2
.LBB70_98:
	s_delay_alu instid0(SALU_CYCLE_1)
	s_or_b32 exec_lo, exec_lo, s1
	v_cmp_gt_i64_e64 s1, 0x81, s[28:29]
	s_waitcnt_vscnt null, 0x0
	s_barrier
	buffer_gl0_inv
	ds_store_b32 v9, v10
	s_waitcnt lgkmcnt(0)
	s_and_b32 vcc_lo, exec_lo, s1
	s_barrier
	buffer_gl0_inv
	s_cbranch_vccnz .LBB70_100
; %bb.99:
	ds_load_b32 v0, v9 offset:512
	s_waitcnt lgkmcnt(0)
	s_barrier
	buffer_gl0_inv
	v_add_f32_e32 v10, v10, v0
	ds_store_b32 v9, v10
.LBB70_100:
	v_cmp_gt_i64_e64 s1, 0x41, s[28:29]
	s_waitcnt lgkmcnt(0)
	s_barrier
	buffer_gl0_inv
	s_and_b32 vcc_lo, exec_lo, s1
	s_cbranch_vccnz .LBB70_102
; %bb.101:
	ds_load_b32 v0, v9 offset:256
	s_waitcnt lgkmcnt(0)
	s_barrier
	buffer_gl0_inv
	v_add_f32_e32 v10, v10, v0
	ds_store_b32 v9, v10
.LBB70_102:
	v_cmp_lt_i64_e64 s1, s[28:29], 33
	s_waitcnt lgkmcnt(0)
	s_barrier
	buffer_gl0_inv
	s_and_b32 vcc_lo, exec_lo, s1
	s_cbranch_vccnz .LBB70_104
; %bb.103:
	ds_load_b32 v0, v9 offset:128
	s_waitcnt lgkmcnt(0)
	s_barrier
	buffer_gl0_inv
	v_add_f32_e32 v10, v10, v0
	ds_store_b32 v9, v10
.LBB70_104:
	v_cmp_lt_i64_e64 s1, s[28:29], 17
	;; [unrolled: 14-line block ×4, first 2 shown]
	s_waitcnt lgkmcnt(0)
	s_barrier
	buffer_gl0_inv
	s_and_b32 vcc_lo, exec_lo, s1
	s_cbranch_vccnz .LBB70_110
; %bb.109:
	ds_load_b32 v0, v9 offset:16
	s_waitcnt lgkmcnt(0)
	s_barrier
	buffer_gl0_inv
	v_add_f32_e32 v10, v10, v0
	ds_store_b32 v9, v10
.LBB70_110:
	s_cmp_eq_u64 s[28:29], 2
	s_waitcnt lgkmcnt(0)
	s_barrier
	buffer_gl0_inv
	s_cbranch_scc1 .LBB70_112
; %bb.111:
	ds_load_b32 v0, v9 offset:8
	s_waitcnt lgkmcnt(0)
	s_barrier
	buffer_gl0_inv
	v_add_f32_e32 v10, v10, v0
	ds_store_b32 v9, v10
.LBB70_112:
	s_waitcnt lgkmcnt(0)
	s_barrier
	buffer_gl0_inv
	ds_load_b32 v0, v9 offset:4
	v_cmp_eq_u64_e32 vcc_lo, 0, v[3:4]
	s_xor_b32 s0, s0, -1
	s_waitcnt lgkmcnt(0)
	s_barrier
	buffer_gl0_inv
	s_and_b32 s0, vcc_lo, s0
	v_add_f32_e32 v3, v10, v0
	ds_store_b32 v9, v3
	s_and_saveexec_b32 s1, s0
	s_cbranch_execz .LBB70_116
; %bb.113:
	v_cmp_eq_f32_e64 s0, s24, 0
	v_lshlrev_b64 v[0:1], 2, v[1:2]
	s_delay_alu instid0(VALU_DEP_2)
	s_and_b32 vcc_lo, exec_lo, s0
	s_cbranch_vccnz .LBB70_115
; %bb.114:
	s_delay_alu instid0(VALU_DEP_1) | instskip(NEXT) | instid1(VALU_DEP_2)
	v_add_co_u32 v4, vcc_lo, s26, v0
	v_add_co_ci_u32_e32 v5, vcc_lo, s27, v1, vcc_lo
	global_load_b32 v2, v[4:5], off
	s_waitcnt vmcnt(0)
	v_fmac_f32_e32 v3, s24, v2
.LBB70_115:
	s_delay_alu instid0(VALU_DEP_1) | instskip(NEXT) | instid1(VALU_DEP_2)
	v_add_co_u32 v0, vcc_lo, s26, v0
	v_add_co_ci_u32_e32 v1, vcc_lo, s27, v1, vcc_lo
	global_store_b32 v[0:1], v3, off
.LBB70_116:
	s_nop 0
	s_sendmsg sendmsg(MSG_DEALLOC_VGPRS)
	s_endpgm
	.section	.rodata,"a",@progbits
	.p2align	6, 0x0
	.amdhsa_kernel _ZN9rocsparseL22csrmvn_adaptive_kernelIllDF16_DF16_ffEEvbT_PKS1_PjPKT0_NS_24const_host_device_scalarIT4_EES3_S7_PKT1_PKT2_SA_PT3_21rocsparse_index_base_b
		.amdhsa_group_segment_fixed_size 4096
		.amdhsa_private_segment_fixed_size 0
		.amdhsa_kernarg_size 104
		.amdhsa_user_sgpr_count 15
		.amdhsa_user_sgpr_dispatch_ptr 0
		.amdhsa_user_sgpr_queue_ptr 0
		.amdhsa_user_sgpr_kernarg_segment_ptr 1
		.amdhsa_user_sgpr_dispatch_id 0
		.amdhsa_user_sgpr_private_segment_size 0
		.amdhsa_wavefront_size32 1
		.amdhsa_uses_dynamic_stack 0
		.amdhsa_enable_private_segment 0
		.amdhsa_system_sgpr_workgroup_id_x 1
		.amdhsa_system_sgpr_workgroup_id_y 0
		.amdhsa_system_sgpr_workgroup_id_z 0
		.amdhsa_system_sgpr_workgroup_info 0
		.amdhsa_system_vgpr_workitem_id 0
		.amdhsa_next_free_vgpr 16
		.amdhsa_next_free_sgpr 50
		.amdhsa_reserve_vcc 1
		.amdhsa_float_round_mode_32 0
		.amdhsa_float_round_mode_16_64 0
		.amdhsa_float_denorm_mode_32 3
		.amdhsa_float_denorm_mode_16_64 3
		.amdhsa_dx10_clamp 1
		.amdhsa_ieee_mode 1
		.amdhsa_fp16_overflow 0
		.amdhsa_workgroup_processor_mode 1
		.amdhsa_memory_ordered 1
		.amdhsa_forward_progress 0
		.amdhsa_shared_vgpr_count 0
		.amdhsa_exception_fp_ieee_invalid_op 0
		.amdhsa_exception_fp_denorm_src 0
		.amdhsa_exception_fp_ieee_div_zero 0
		.amdhsa_exception_fp_ieee_overflow 0
		.amdhsa_exception_fp_ieee_underflow 0
		.amdhsa_exception_fp_ieee_inexact 0
		.amdhsa_exception_int_div_zero 0
	.end_amdhsa_kernel
	.section	.text._ZN9rocsparseL22csrmvn_adaptive_kernelIllDF16_DF16_ffEEvbT_PKS1_PjPKT0_NS_24const_host_device_scalarIT4_EES3_S7_PKT1_PKT2_SA_PT3_21rocsparse_index_base_b,"axG",@progbits,_ZN9rocsparseL22csrmvn_adaptive_kernelIllDF16_DF16_ffEEvbT_PKS1_PjPKT0_NS_24const_host_device_scalarIT4_EES3_S7_PKT1_PKT2_SA_PT3_21rocsparse_index_base_b,comdat
.Lfunc_end70:
	.size	_ZN9rocsparseL22csrmvn_adaptive_kernelIllDF16_DF16_ffEEvbT_PKS1_PjPKT0_NS_24const_host_device_scalarIT4_EES3_S7_PKT1_PKT2_SA_PT3_21rocsparse_index_base_b, .Lfunc_end70-_ZN9rocsparseL22csrmvn_adaptive_kernelIllDF16_DF16_ffEEvbT_PKS1_PjPKT0_NS_24const_host_device_scalarIT4_EES3_S7_PKT1_PKT2_SA_PT3_21rocsparse_index_base_b
                                        ; -- End function
	.section	.AMDGPU.csdata,"",@progbits
; Kernel info:
; codeLenInByte = 4884
; NumSgprs: 52
; NumVgprs: 16
; ScratchSize: 0
; MemoryBound: 0
; FloatMode: 240
; IeeeMode: 1
; LDSByteSize: 4096 bytes/workgroup (compile time only)
; SGPRBlocks: 6
; VGPRBlocks: 1
; NumSGPRsForWavesPerEU: 52
; NumVGPRsForWavesPerEU: 16
; Occupancy: 16
; WaveLimiterHint : 1
; COMPUTE_PGM_RSRC2:SCRATCH_EN: 0
; COMPUTE_PGM_RSRC2:USER_SGPR: 15
; COMPUTE_PGM_RSRC2:TRAP_HANDLER: 0
; COMPUTE_PGM_RSRC2:TGID_X_EN: 1
; COMPUTE_PGM_RSRC2:TGID_Y_EN: 0
; COMPUTE_PGM_RSRC2:TGID_Z_EN: 0
; COMPUTE_PGM_RSRC2:TIDIG_COMP_CNT: 0
	.section	.text._ZN9rocsparseL27csrmvn_symm_adaptive_kernelIllDF16_DF16_ffEEvbT_S1_PKS1_NS_24const_host_device_scalarIT4_EES3_PKT0_PKT1_PKT2_S6_PT3_21rocsparse_index_base_b,"axG",@progbits,_ZN9rocsparseL27csrmvn_symm_adaptive_kernelIllDF16_DF16_ffEEvbT_S1_PKS1_NS_24const_host_device_scalarIT4_EES3_PKT0_PKT1_PKT2_S6_PT3_21rocsparse_index_base_b,comdat
	.globl	_ZN9rocsparseL27csrmvn_symm_adaptive_kernelIllDF16_DF16_ffEEvbT_S1_PKS1_NS_24const_host_device_scalarIT4_EES3_PKT0_PKT1_PKT2_S6_PT3_21rocsparse_index_base_b ; -- Begin function _ZN9rocsparseL27csrmvn_symm_adaptive_kernelIllDF16_DF16_ffEEvbT_S1_PKS1_NS_24const_host_device_scalarIT4_EES3_PKT0_PKT1_PKT2_S6_PT3_21rocsparse_index_base_b
	.p2align	8
	.type	_ZN9rocsparseL27csrmvn_symm_adaptive_kernelIllDF16_DF16_ffEEvbT_S1_PKS1_NS_24const_host_device_scalarIT4_EES3_PKT0_PKT1_PKT2_S6_PT3_21rocsparse_index_base_b,@function
_ZN9rocsparseL27csrmvn_symm_adaptive_kernelIllDF16_DF16_ffEEvbT_S1_PKS1_NS_24const_host_device_scalarIT4_EES3_PKT0_PKT1_PKT2_S6_PT3_21rocsparse_index_base_b: ; @_ZN9rocsparseL27csrmvn_symm_adaptive_kernelIllDF16_DF16_ffEEvbT_S1_PKS1_NS_24const_host_device_scalarIT4_EES3_PKT0_PKT1_PKT2_S6_PT3_21rocsparse_index_base_b
; %bb.0:
	s_clause 0x2
	s_load_b64 s[24:25], s[0:1], 0x58
	s_load_b64 s[30:31], s[0:1], 0x20
	;; [unrolled: 1-line block ×3, first 2 shown]
	s_mov_b32 s2, s15
	s_waitcnt lgkmcnt(0)
	s_bitcmp1_b32 s25, 0
	s_cselect_b32 s3, -1, 0
	s_delay_alu instid0(SALU_CYCLE_1)
	s_and_b32 vcc_lo, exec_lo, s3
	s_xor_b32 s3, s3, -1
	s_cbranch_vccnz .LBB71_2
; %bb.1:
	s_load_b32 s30, s[30:31], 0x0
.LBB71_2:
	s_and_not1_b32 vcc_lo, exec_lo, s3
	s_cbranch_vccnz .LBB71_4
; %bb.3:
	s_load_b32 s4, s[4:5], 0x0
.LBB71_4:
	s_waitcnt lgkmcnt(0)
	v_cmp_neq_f32_e64 s3, s30, 0
	v_cmp_neq_f32_e64 s4, s4, 1.0
	s_delay_alu instid0(VALU_DEP_1) | instskip(NEXT) | instid1(SALU_CYCLE_1)
	s_or_b32 s3, s3, s4
	s_and_not1_b32 vcc_lo, exec_lo, s3
	s_cbranch_vccnz .LBB71_167
; %bb.5:
	s_load_b64 s[4:5], s[0:1], 0x18
	s_ashr_i32 s3, s2, 31
	v_dual_mov_b32 v1, 0 :: v_dual_lshlrev_b32 v14, 2, v0
	s_lshl_b64 s[2:3], s[2:3], 3
	ds_store_2addr_stride64_b32 v14, v1, v1 offset1:4
	ds_store_2addr_stride64_b32 v14, v1, v1 offset0:8 offset1:12
	s_waitcnt lgkmcnt(0)
	s_barrier
	buffer_gl0_inv
	s_add_u32 s2, s4, s2
	s_addc_u32 s3, s5, s3
	s_load_b128 s[16:19], s[2:3], 0x0
	s_clause 0x1
	s_load_b256 s[8:15], s[0:1], 0x28
	s_load_b64 s[20:21], s[0:1], 0x50
	s_waitcnt lgkmcnt(0)
	s_sub_u32 s22, s18, s16
	s_subb_u32 s23, s19, s17
	s_delay_alu instid0(SALU_CYCLE_1) | instskip(NEXT) | instid1(VALU_DEP_1)
	v_cmp_gt_i64_e64 s2, s[22:23], 2
	s_and_b32 vcc_lo, exec_lo, s2
	s_mov_b32 s2, -1
	s_cbranch_vccnz .LBB71_40
; %bb.6:
	v_cmp_gt_i64_e64 s2, s[18:19], s[16:17]
	v_sub_co_u32 v7, s3, v0, s24
	s_delay_alu instid0(VALU_DEP_1) | instskip(NEXT) | instid1(VALU_DEP_3)
	v_sub_co_ci_u32_e64 v8, null, 0, 0, s3
	s_and_b32 vcc_lo, exec_lo, s2
	s_mov_b32 s2, 0
	s_cbranch_vccnz .LBB71_8
; %bb.7:
	s_lshl_b64 s[4:5], s[16:17], 3
	s_delay_alu instid0(SALU_CYCLE_1)
	s_add_u32 s4, s8, s4
	s_addc_u32 s5, s9, s5
	s_load_b64 s[26:27], s[4:5], 0x0
	s_and_not1_b32 vcc_lo, exec_lo, s2
	s_cbranch_vccz .LBB71_9
	s_branch .LBB71_29
.LBB71_8:
                                        ; implicit-def: $sgpr26_sgpr27
.LBB71_9:
	s_lshl_b64 s[2:3], s[16:17], 3
	v_cmp_gt_u32_e64 s4, 16, v0
	s_add_u32 s2, s8, s2
	s_addc_u32 s3, s9, s3
	v_cmp_gt_u32_e64 s5, 4, v0
	s_waitcnt lgkmcnt(0)
	s_load_b64 s[26:27], s[2:3], 0x0
	v_cmp_gt_u32_e64 s2, 0x100, v0
	v_cmp_gt_u32_e64 s3, 64, v0
	v_cmp_eq_u32_e64 s6, 0, v0
	v_mov_b32_e32 v9, 0
	s_add_u32 s25, s8, 8
	s_addc_u32 s31, s9, 0
	s_mov_b64 s[28:29], s[16:17]
	s_waitcnt lgkmcnt(0)
	s_mov_b64 s[34:35], s[26:27]
	s_branch .LBB71_11
.LBB71_10:                              ;   in Loop: Header=BB71_11 Depth=1
	s_or_b32 exec_lo, exec_lo, s7
	s_add_u32 s28, s28, 1
	s_addc_u32 s29, s29, 0
	s_delay_alu instid0(SALU_CYCLE_1) | instskip(NEXT) | instid1(VALU_DEP_1)
	v_cmp_ge_i64_e64 s7, s[28:29], s[18:19]
	s_and_b32 vcc_lo, exec_lo, s7
	s_cbranch_vccnz .LBB71_29
.LBB71_11:                              ; =>This Loop Header: Depth=1
                                        ;     Child Loop BB71_13 Depth 2
                                        ;     Child Loop BB71_28 Depth 2
	s_lshl_b64 s[36:37], s[28:29], 3
	s_mov_b64 s[38:39], s[34:35]
	s_add_u32 s36, s25, s36
	s_addc_u32 s37, s31, s37
	v_add_co_u32 v1, vcc_lo, s38, v7
	s_load_b64 s[34:35], s[36:37], 0x0
	v_add_co_ci_u32_e32 v2, vcc_lo, s39, v8, vcc_lo
	v_mov_b32_e32 v10, 0
	s_mov_b32 s33, exec_lo
	s_waitcnt lgkmcnt(0)
	s_sub_u32 s36, s34, s24
	s_subb_u32 s37, s35, 0
	s_delay_alu instid0(SALU_CYCLE_1)
	v_cmpx_gt_i64_e64 s[36:37], v[1:2]
	s_cbranch_execz .LBB71_15
; %bb.12:                               ;   in Loop: Header=BB71_11 Depth=1
	v_lshlrev_b64 v[3:4], 3, v[1:2]
	v_lshlrev_b64 v[5:6], 1, v[1:2]
	v_mov_b32_e32 v10, 0
	s_mov_b32 s38, 0
	s_delay_alu instid0(VALU_DEP_3) | instskip(NEXT) | instid1(VALU_DEP_4)
	v_add_co_u32 v3, vcc_lo, s10, v3
	v_add_co_ci_u32_e32 v4, vcc_lo, s11, v4, vcc_lo
	s_delay_alu instid0(VALU_DEP_4)
	v_add_co_u32 v5, vcc_lo, s12, v5
	v_add_co_ci_u32_e32 v6, vcc_lo, s13, v6, vcc_lo
	s_set_inst_prefetch_distance 0x1
	.p2align	6
.LBB71_13:                              ;   Parent Loop BB71_11 Depth=1
                                        ; =>  This Inner Loop Header: Depth=2
	global_load_b64 v[11:12], v[3:4], off
	s_waitcnt vmcnt(0)
	v_sub_co_u32 v11, vcc_lo, v11, s24
	v_subrev_co_ci_u32_e32 v12, vcc_lo, 0, v12, vcc_lo
	s_delay_alu instid0(VALU_DEP_1) | instskip(NEXT) | instid1(VALU_DEP_1)
	v_lshlrev_b64 v[11:12], 1, v[11:12]
	v_add_co_u32 v11, vcc_lo, s14, v11
	s_delay_alu instid0(VALU_DEP_2)
	v_add_co_ci_u32_e32 v12, vcc_lo, s15, v12, vcc_lo
	v_add_co_u32 v1, vcc_lo, 0x100, v1
	global_load_u16 v13, v[5:6], off
	global_load_u16 v11, v[11:12], off
	v_add_co_ci_u32_e32 v2, vcc_lo, 0, v2, vcc_lo
	v_add_co_u32 v3, vcc_lo, 0x800, v3
	v_add_co_ci_u32_e32 v4, vcc_lo, 0, v4, vcc_lo
	s_delay_alu instid0(VALU_DEP_3) | instskip(SKIP_1) | instid1(VALU_DEP_1)
	v_cmp_le_i64_e32 vcc_lo, s[36:37], v[1:2]
	v_add_co_u32 v5, s7, 0x200, v5
	v_add_co_ci_u32_e64 v6, s7, 0, v6, s7
	s_or_b32 s38, vcc_lo, s38
	s_waitcnt vmcnt(0)
	v_fma_mix_f32 v10, v13, v11, v10 op_sel_hi:[1,1,0]
	s_and_not1_b32 exec_lo, exec_lo, s38
	s_cbranch_execnz .LBB71_13
; %bb.14:                               ;   in Loop: Header=BB71_11 Depth=1
	s_set_inst_prefetch_distance 0x2
	s_or_b32 exec_lo, exec_lo, s38
.LBB71_15:                              ;   in Loop: Header=BB71_11 Depth=1
	s_delay_alu instid0(SALU_CYCLE_1)
	s_or_b32 exec_lo, exec_lo, s33
	ds_store_b32 v14, v10
	s_waitcnt lgkmcnt(0)
	s_barrier
	buffer_gl0_inv
	s_and_saveexec_b32 s7, s2
	s_cbranch_execz .LBB71_17
; %bb.16:                               ;   in Loop: Header=BB71_11 Depth=1
	ds_load_2addr_stride64_b32 v[1:2], v14 offset1:4
	ds_load_2addr_stride64_b32 v[3:4], v14 offset0:8 offset1:12
	s_waitcnt lgkmcnt(0)
	v_add_f32_e32 v2, v2, v3
	s_delay_alu instid0(VALU_DEP_1) | instskip(NEXT) | instid1(VALU_DEP_1)
	v_add_f32_e32 v2, v2, v4
	v_add_f32_e32 v1, v1, v2
	ds_store_b32 v14, v1
.LBB71_17:                              ;   in Loop: Header=BB71_11 Depth=1
	s_or_b32 exec_lo, exec_lo, s7
	s_waitcnt lgkmcnt(0)
	s_barrier
	buffer_gl0_inv
	s_and_saveexec_b32 s7, s3
	s_cbranch_execz .LBB71_19
; %bb.18:                               ;   in Loop: Header=BB71_11 Depth=1
	ds_load_2addr_stride64_b32 v[1:2], v14 offset1:1
	ds_load_2addr_stride64_b32 v[3:4], v14 offset0:2 offset1:3
	s_waitcnt lgkmcnt(0)
	v_add_f32_e32 v2, v2, v3
	s_delay_alu instid0(VALU_DEP_1) | instskip(NEXT) | instid1(VALU_DEP_1)
	v_add_f32_e32 v2, v2, v4
	v_add_f32_e32 v1, v1, v2
	ds_store_b32 v14, v1
.LBB71_19:                              ;   in Loop: Header=BB71_11 Depth=1
	s_or_b32 exec_lo, exec_lo, s7
	s_waitcnt lgkmcnt(0)
	s_barrier
	buffer_gl0_inv
	s_and_saveexec_b32 s7, s4
	s_cbranch_execz .LBB71_21
; %bb.20:                               ;   in Loop: Header=BB71_11 Depth=1
	ds_load_2addr_b32 v[1:2], v14 offset1:16
	ds_load_2addr_b32 v[3:4], v14 offset0:32 offset1:48
	s_waitcnt lgkmcnt(0)
	v_add_f32_e32 v2, v2, v3
	s_delay_alu instid0(VALU_DEP_1) | instskip(NEXT) | instid1(VALU_DEP_1)
	v_add_f32_e32 v2, v2, v4
	v_add_f32_e32 v1, v1, v2
	ds_store_b32 v14, v1
.LBB71_21:                              ;   in Loop: Header=BB71_11 Depth=1
	s_or_b32 exec_lo, exec_lo, s7
	s_waitcnt lgkmcnt(0)
	s_barrier
	buffer_gl0_inv
	s_and_saveexec_b32 s7, s5
	s_cbranch_execz .LBB71_23
; %bb.22:                               ;   in Loop: Header=BB71_11 Depth=1
	ds_load_2addr_b32 v[1:2], v14 offset1:4
	ds_load_2addr_b32 v[3:4], v14 offset0:8 offset1:12
	s_waitcnt lgkmcnt(0)
	v_add_f32_e32 v2, v2, v3
	s_delay_alu instid0(VALU_DEP_1) | instskip(NEXT) | instid1(VALU_DEP_1)
	v_add_f32_e32 v2, v2, v4
	v_add_f32_e32 v1, v1, v2
	ds_store_b32 v14, v1
.LBB71_23:                              ;   in Loop: Header=BB71_11 Depth=1
	s_or_b32 exec_lo, exec_lo, s7
	s_waitcnt lgkmcnt(0)
	s_barrier
	buffer_gl0_inv
	s_and_saveexec_b32 s7, s6
	s_cbranch_execz .LBB71_25
; %bb.24:                               ;   in Loop: Header=BB71_11 Depth=1
	ds_load_2addr_b32 v[1:2], v9 offset0:1 offset1:2
	ds_load_b32 v3, v9 offset:12
	ds_load_b32 v4, v14
	s_waitcnt lgkmcnt(2)
	v_add_f32_e32 v1, v1, v2
	s_waitcnt lgkmcnt(1)
	s_delay_alu instid0(VALU_DEP_1) | instskip(SKIP_1) | instid1(VALU_DEP_1)
	v_add_f32_e32 v1, v1, v3
	s_waitcnt lgkmcnt(0)
	v_add_f32_e32 v1, v4, v1
	ds_store_b32 v14, v1
.LBB71_25:                              ;   in Loop: Header=BB71_11 Depth=1
	s_or_b32 exec_lo, exec_lo, s7
	s_waitcnt lgkmcnt(0)
	s_barrier
	buffer_gl0_inv
	s_and_saveexec_b32 s7, s6
	s_cbranch_execz .LBB71_10
; %bb.26:                               ;   in Loop: Header=BB71_11 Depth=1
	s_mov_b32 s33, exec_lo
	s_delay_alu instid0(SALU_CYCLE_1) | instskip(NEXT) | instid1(VALU_DEP_1)
	v_mbcnt_lo_u32_b32 v1, s33, 0
	v_cmp_eq_u32_e32 vcc_lo, 0, v1
	s_and_b32 s36, exec_lo, vcc_lo
	s_delay_alu instid0(SALU_CYCLE_1)
	s_mov_b32 exec_lo, s36
	s_cbranch_execz .LBB71_10
; %bb.27:                               ;   in Loop: Header=BB71_11 Depth=1
	s_lshl_b64 s[36:37], s[28:29], 2
	ds_load_b32 v1, v9
	s_add_u32 s36, s20, s36
	s_addc_u32 s37, s21, s37
	s_bcnt1_i32_b32 s33, s33
	global_load_b32 v2, v9, s[36:37]
	v_cvt_f32_ubyte0_e32 v3, s33
	s_mov_b32 s33, 0
	s_waitcnt lgkmcnt(0)
	v_mul_f32_e32 v1, s30, v1
	s_delay_alu instid0(VALU_DEP_1)
	v_mul_f32_e32 v3, v1, v3
.LBB71_28:                              ;   Parent Loop BB71_11 Depth=1
                                        ; =>  This Inner Loop Header: Depth=2
	s_waitcnt vmcnt(0)
	s_delay_alu instid0(VALU_DEP_1)
	v_add_f32_e32 v1, v2, v3
	global_atomic_cmpswap_b32 v1, v9, v[1:2], s[36:37] glc
	s_waitcnt vmcnt(0)
	v_cmp_eq_u32_e32 vcc_lo, v1, v2
	v_mov_b32_e32 v2, v1
	s_or_b32 s33, vcc_lo, s33
	s_delay_alu instid0(SALU_CYCLE_1)
	s_and_not1_b32 exec_lo, exec_lo, s33
	s_cbranch_execnz .LBB71_28
	s_branch .LBB71_10
.LBB71_29:
	s_lshl_b64 s[2:3], s[18:19], 3
	s_waitcnt lgkmcnt(0)
	v_add_co_u32 v1, vcc_lo, s26, v7
	s_add_u32 s2, s8, s2
	s_addc_u32 s3, s9, s3
	v_add_co_ci_u32_e32 v2, vcc_lo, s27, v8, vcc_lo
	s_load_b64 s[2:3], s[2:3], 0x0
	s_waitcnt lgkmcnt(0)
	s_sub_u32 s4, s2, s24
	s_subb_u32 s5, s3, 0
	s_mov_b32 s3, exec_lo
	v_cmpx_gt_i64_e64 s[4:5], v[1:2]
	s_cbranch_execz .LBB71_39
; %bb.30:
	s_add_u32 s6, s18, -1
	s_addc_u32 s7, s19, -1
	s_add_u32 s26, s18, -2
	v_cmp_gt_i64_e64 s2, s[6:7], s[16:17]
	s_addc_u32 s27, s19, -1
	s_delay_alu instid0(SALU_CYCLE_1)
	s_cmp_lg_u64 s[26:27], s[16:17]
	s_mov_b32 s26, 0
	s_cselect_b32 s25, -1, 0
	s_delay_alu instid0(VALU_DEP_1) | instid1(SALU_CYCLE_1)
	s_and_b32 s25, s2, s25
	s_branch .LBB71_32
.LBB71_31:                              ;   in Loop: Header=BB71_32 Depth=1
	s_or_b32 exec_lo, exec_lo, s2
	v_add_co_u32 v1, vcc_lo, 0x100, v1
	v_add_co_ci_u32_e32 v2, vcc_lo, 0, v2, vcc_lo
	s_delay_alu instid0(VALU_DEP_1) | instskip(SKIP_1) | instid1(SALU_CYCLE_1)
	v_cmp_le_i64_e32 vcc_lo, s[4:5], v[1:2]
	s_or_b32 s26, vcc_lo, s26
	s_and_not1_b32 exec_lo, exec_lo, s26
	s_cbranch_execz .LBB71_39
.LBB71_32:                              ; =>This Loop Header: Depth=1
                                        ;     Child Loop BB71_34 Depth 2
                                        ;     Child Loop BB71_38 Depth 2
	v_dual_mov_b32 v3, s16 :: v_dual_mov_b32 v4, s17
	v_dual_mov_b32 v5, s6 :: v_dual_mov_b32 v6, s7
	s_and_not1_b32 vcc_lo, exec_lo, s25
	s_cbranch_vccnz .LBB71_36
; %bb.33:                               ;   in Loop: Header=BB71_32 Depth=1
	v_dual_mov_b32 v3, s16 :: v_dual_mov_b32 v4, s17
	v_dual_mov_b32 v5, s6 :: v_dual_mov_b32 v6, s7
	s_mov_b32 s27, 0
	s_set_inst_prefetch_distance 0x1
	.p2align	6
.LBB71_34:                              ;   Parent Loop BB71_32 Depth=1
                                        ; =>  This Inner Loop Header: Depth=2
	s_delay_alu instid0(VALU_DEP_1) | instskip(NEXT) | instid1(VALU_DEP_2)
	v_add_co_u32 v7, vcc_lo, v5, v3
	v_add_co_ci_u32_e32 v8, vcc_lo, v6, v4, vcc_lo
	s_delay_alu instid0(VALU_DEP_1) | instskip(NEXT) | instid1(VALU_DEP_1)
	v_lshrrev_b32_e32 v9, 31, v8
	v_add_co_u32 v7, vcc_lo, v7, v9
	v_add_co_ci_u32_e32 v8, vcc_lo, 0, v8, vcc_lo
	s_delay_alu instid0(VALU_DEP_1) | instskip(NEXT) | instid1(VALU_DEP_1)
	v_ashrrev_i64 v[7:8], 1, v[7:8]
	v_lshlrev_b64 v[9:10], 3, v[7:8]
	s_delay_alu instid0(VALU_DEP_1) | instskip(NEXT) | instid1(VALU_DEP_2)
	v_add_co_u32 v9, vcc_lo, s8, v9
	v_add_co_ci_u32_e32 v10, vcc_lo, s9, v10, vcc_lo
	global_load_b64 v[9:10], v[9:10], off
	s_waitcnt vmcnt(0)
	v_sub_co_u32 v9, vcc_lo, v9, s24
	v_subrev_co_ci_u32_e32 v10, vcc_lo, 0, v10, vcc_lo
	s_delay_alu instid0(VALU_DEP_1) | instskip(SKIP_2) | instid1(VALU_DEP_2)
	v_cmp_gt_i64_e32 vcc_lo, v[9:10], v[1:2]
	v_dual_cndmask_b32 v6, v6, v8 :: v_dual_cndmask_b32 v5, v5, v7
	v_dual_cndmask_b32 v4, v8, v4 :: v_dual_cndmask_b32 v3, v7, v3
	v_add_co_u32 v7, vcc_lo, v5, -1
	s_delay_alu instid0(VALU_DEP_3) | instskip(NEXT) | instid1(VALU_DEP_3)
	v_add_co_ci_u32_e32 v8, vcc_lo, -1, v6, vcc_lo
	v_cmp_ge_i64_e32 vcc_lo, v[3:4], v[5:6]
	s_delay_alu instid0(VALU_DEP_2) | instskip(NEXT) | instid1(VALU_DEP_1)
	v_cmp_eq_u64_e64 s2, v[3:4], v[7:8]
	s_or_b32 s2, vcc_lo, s2
	s_delay_alu instid0(SALU_CYCLE_1) | instskip(NEXT) | instid1(SALU_CYCLE_1)
	s_and_b32 s2, exec_lo, s2
	s_or_b32 s27, s2, s27
	s_delay_alu instid0(SALU_CYCLE_1)
	s_and_not1_b32 exec_lo, exec_lo, s27
	s_cbranch_execnz .LBB71_34
; %bb.35:                               ;   in Loop: Header=BB71_32 Depth=1
	s_set_inst_prefetch_distance 0x2
	s_or_b32 exec_lo, exec_lo, s27
.LBB71_36:                              ;   in Loop: Header=BB71_32 Depth=1
	s_delay_alu instid0(VALU_DEP_1) | instskip(SKIP_2) | instid1(VALU_DEP_2)
	v_lshlrev_b64 v[7:8], 3, v[5:6]
	v_lshlrev_b64 v[9:10], 3, v[1:2]
	s_mov_b32 s2, exec_lo
	v_add_co_u32 v7, vcc_lo, s8, v7
	s_delay_alu instid0(VALU_DEP_3) | instskip(NEXT) | instid1(VALU_DEP_3)
	v_add_co_ci_u32_e32 v8, vcc_lo, s9, v8, vcc_lo
	v_add_co_u32 v9, vcc_lo, s10, v9
	s_delay_alu instid0(VALU_DEP_4)
	v_add_co_ci_u32_e32 v10, vcc_lo, s11, v10, vcc_lo
	global_load_b64 v[7:8], v[7:8], off
	global_load_b64 v[9:10], v[9:10], off
	s_waitcnt vmcnt(1)
	v_sub_co_u32 v7, vcc_lo, v7, s24
	v_subrev_co_ci_u32_e32 v8, vcc_lo, 0, v8, vcc_lo
	s_delay_alu instid0(VALU_DEP_1) | instskip(SKIP_4) | instid1(VALU_DEP_1)
	v_cmp_gt_i64_e32 vcc_lo, v[7:8], v[1:2]
	v_dual_cndmask_b32 v6, v6, v4 :: v_dual_cndmask_b32 v5, v5, v3
	s_waitcnt vmcnt(0)
	v_sub_co_u32 v3, vcc_lo, v9, s24
	v_subrev_co_ci_u32_e32 v4, vcc_lo, 0, v10, vcc_lo
	v_cmpx_ne_u64_e64 v[3:4], v[5:6]
	s_cbranch_execz .LBB71_31
; %bb.37:                               ;   in Loop: Header=BB71_32 Depth=1
	v_lshlrev_b64 v[7:8], 1, v[1:2]
	v_lshlrev_b64 v[5:6], 1, v[5:6]
	;; [unrolled: 1-line block ×3, first 2 shown]
	s_mov_b32 s27, 0
	s_delay_alu instid0(VALU_DEP_3) | instskip(NEXT) | instid1(VALU_DEP_4)
	v_add_co_u32 v7, vcc_lo, s12, v7
	v_add_co_ci_u32_e32 v8, vcc_lo, s13, v8, vcc_lo
	s_delay_alu instid0(VALU_DEP_4)
	v_add_co_u32 v5, vcc_lo, s14, v5
	v_add_co_ci_u32_e32 v6, vcc_lo, s15, v6, vcc_lo
	global_load_u16 v7, v[7:8], off
	v_add_co_u32 v3, vcc_lo, s20, v3
	global_load_u16 v5, v[5:6], off
	v_add_co_ci_u32_e32 v4, vcc_lo, s21, v4, vcc_lo
	global_load_b32 v6, v[3:4], off
	s_waitcnt vmcnt(2)
	v_cvt_f32_f16_e32 v7, v7
	s_waitcnt vmcnt(1)
	v_cvt_f32_f16_e32 v5, v5
	s_delay_alu instid0(VALU_DEP_2) | instskip(NEXT) | instid1(VALU_DEP_1)
	v_mul_f32_e32 v7, s30, v7
	v_mul_f32_e32 v7, v7, v5
.LBB71_38:                              ;   Parent Loop BB71_32 Depth=1
                                        ; =>  This Inner Loop Header: Depth=2
	s_waitcnt vmcnt(0)
	s_delay_alu instid0(VALU_DEP_1)
	v_add_f32_e32 v5, v6, v7
	global_atomic_cmpswap_b32 v5, v[3:4], v[5:6], off glc
	s_waitcnt vmcnt(0)
	v_cmp_eq_u32_e32 vcc_lo, v5, v6
	v_mov_b32_e32 v6, v5
	s_or_b32 s27, vcc_lo, s27
	s_delay_alu instid0(SALU_CYCLE_1)
	s_and_not1_b32 exec_lo, exec_lo, s27
	s_cbranch_execnz .LBB71_38
	s_branch .LBB71_31
.LBB71_39:
	s_or_b32 exec_lo, exec_lo, s3
	s_mov_b32 s2, 0
.LBB71_40:
	s_delay_alu instid0(SALU_CYCLE_1)
	s_and_b32 vcc_lo, exec_lo, s2
	s_cbranch_vccz .LBB71_167
; %bb.41:
	s_load_b32 s2, s[0:1], 0x6c
	s_mov_b32 s7, 0
	s_mov_b64 s[28:29], 0
	s_waitcnt lgkmcnt(0)
	s_and_b32 s6, s2, 0xffff
	s_delay_alu instid0(SALU_CYCLE_1) | instskip(NEXT) | instid1(VALU_DEP_1)
	v_cmp_lt_u64_e64 s2, s[6:7], s[22:23]
	s_and_b32 vcc_lo, exec_lo, s2
	s_cbranch_vccnz .LBB71_43
; %bb.42:
	v_cvt_f32_u32_e32 v1, s22
	s_sub_i32 s3, 0, s22
	s_delay_alu instid0(VALU_DEP_1) | instskip(SKIP_2) | instid1(VALU_DEP_1)
	v_rcp_iflag_f32_e32 v1, v1
	s_waitcnt_depctr 0xfff
	v_mul_f32_e32 v1, 0x4f7ffffe, v1
	v_cvt_u32_f32_e32 v1, v1
	s_delay_alu instid0(VALU_DEP_1) | instskip(NEXT) | instid1(VALU_DEP_1)
	v_readfirstlane_b32 s2, v1
	s_mul_i32 s3, s3, s2
	s_delay_alu instid0(SALU_CYCLE_1) | instskip(NEXT) | instid1(SALU_CYCLE_1)
	s_mul_hi_u32 s3, s2, s3
	s_add_i32 s2, s2, s3
	s_delay_alu instid0(SALU_CYCLE_1) | instskip(NEXT) | instid1(SALU_CYCLE_1)
	s_mul_hi_u32 s2, s6, s2
	s_mul_i32 s3, s2, s22
	s_add_i32 s4, s2, 1
	s_sub_i32 s3, s6, s3
	s_delay_alu instid0(SALU_CYCLE_1)
	s_sub_i32 s5, s3, s22
	s_cmp_ge_u32 s3, s22
	s_cselect_b32 s2, s4, s2
	s_cselect_b32 s3, s5, s3
	s_add_i32 s4, s2, 1
	s_cmp_ge_u32 s3, s22
	s_cselect_b32 s28, s4, s2
.LBB71_43:
	s_lshl_b64 s[2:3], s[16:17], 3
	v_sub_co_u32 v1, s7, v0, s24
	s_add_u32 s26, s8, s2
	s_addc_u32 s27, s9, s3
	s_load_b64 s[4:5], s[26:27], 0x0
	s_load_b128 s[0:3], s[0:1], 0x8
	v_sub_co_ci_u32_e64 v3, null, 0, 0, s7
	s_waitcnt lgkmcnt(0)
	v_add_co_u32 v2, vcc_lo, s4, v1
	s_delay_alu instid0(VALU_DEP_2) | instskip(SKIP_1) | instid1(VALU_DEP_3)
	v_add_co_ci_u32_e32 v3, vcc_lo, s5, v3, vcc_lo
	v_mov_b32_e32 v1, 0
	v_add_co_u32 v4, vcc_lo, 0x300, v2
	s_delay_alu instid0(VALU_DEP_3) | instskip(NEXT) | instid1(VALU_DEP_1)
	v_add_co_ci_u32_e32 v5, vcc_lo, 0, v3, vcc_lo
	v_cmp_le_i64_e32 vcc_lo, s[0:1], v[4:5]
	s_and_saveexec_b32 s0, vcc_lo
	s_delay_alu instid0(SALU_CYCLE_1)
	s_xor_b32 s7, exec_lo, s0
	s_cbranch_execnz .LBB71_46
; %bb.44:
	s_and_not1_saveexec_b32 s1, s7
	s_cbranch_execnz .LBB71_50
.LBB71_45:
	s_or_b32 exec_lo, exec_lo, s1
	s_delay_alu instid0(SALU_CYCLE_1)
	s_mov_b32 s1, exec_lo
	v_cmpx_gt_i64_e64 s[2:3], v[0:1]
	s_cbranch_execnz .LBB71_51
	s_branch .LBB71_53
.LBB71_46:
	s_lshl_b64 s[0:1], s[18:19], 3
	s_mov_b32 s25, exec_lo
	s_add_u32 s0, s8, s0
	s_addc_u32 s1, s9, s1
	s_load_b64 s[0:1], s[0:1], 0x0
	s_waitcnt lgkmcnt(0)
	s_sub_u32 s34, s0, s4
	s_subb_u32 s35, s1, s5
	s_delay_alu instid0(SALU_CYCLE_1)
	v_cmpx_gt_i64_e64 s[34:35], v[0:1]
	s_cbranch_execz .LBB71_49
; %bb.47:
	v_lshlrev_b64 v[6:7], 1, v[2:3]
	v_dual_mov_b32 v10, v14 :: v_dual_mov_b32 v9, v1
	v_mov_b32_e32 v8, v0
	s_mov_b32 s29, 0
	s_delay_alu instid0(VALU_DEP_3) | instskip(NEXT) | instid1(VALU_DEP_1)
	v_add_co_u32 v6, s0, s12, v6
	v_add_co_ci_u32_e64 v7, s0, s13, v7, s0
	.p2align	6
.LBB71_48:                              ; =>This Inner Loop Header: Depth=1
	global_load_u16 v11, v[6:7], off
	v_add_co_u32 v8, s0, 0x100, v8
	s_delay_alu instid0(VALU_DEP_1) | instskip(SKIP_1) | instid1(VALU_DEP_1)
	v_add_co_ci_u32_e64 v9, s0, 0, v9, s0
	v_add_co_u32 v6, s0, 0x200, v6
	v_add_co_ci_u32_e64 v7, s0, 0, v7, s0
	s_delay_alu instid0(VALU_DEP_3) | instskip(NEXT) | instid1(VALU_DEP_1)
	v_cmp_le_i64_e64 s1, s[34:35], v[8:9]
	s_or_b32 s29, s1, s29
	s_waitcnt vmcnt(0)
	v_cvt_f32_f16_e32 v11, v11
	s_delay_alu instid0(VALU_DEP_1)
	v_mul_f32_e32 v11, s30, v11
	ds_store_b32 v10, v11
	v_add_nc_u32_e32 v10, 0x400, v10
	s_and_not1_b32 exec_lo, exec_lo, s29
	s_cbranch_execnz .LBB71_48
.LBB71_49:
	s_or_b32 exec_lo, exec_lo, s25
	s_and_not1_saveexec_b32 s1, s7
	s_cbranch_execz .LBB71_45
.LBB71_50:
	v_lshlrev_b64 v[6:7], 1, v[2:3]
	s_delay_alu instid0(VALU_DEP_1) | instskip(NEXT) | instid1(VALU_DEP_1)
	v_add_co_u32 v6, s0, s12, v6
	v_add_co_ci_u32_e64 v7, s0, s13, v7, s0
	s_clause 0x3
	global_load_u16 v8, v[6:7], off
	global_load_u16 v9, v[6:7], off offset:512
	global_load_u16 v10, v[6:7], off offset:1024
	;; [unrolled: 1-line block ×3, first 2 shown]
	s_waitcnt vmcnt(3)
	v_cvt_f32_f16_e32 v7, v8
	s_waitcnt vmcnt(2)
	v_cvt_f32_f16_e32 v8, v9
	;; [unrolled: 2-line block ×4, first 2 shown]
	v_dual_mul_f32 v7, s30, v7 :: v_dual_mul_f32 v8, s30, v8
	s_delay_alu instid0(VALU_DEP_2) | instskip(SKIP_3) | instid1(SALU_CYCLE_1)
	v_dual_mul_f32 v9, s30, v9 :: v_dual_mul_f32 v6, s30, v6
	ds_store_2addr_stride64_b32 v14, v7, v8 offset1:4
	ds_store_2addr_stride64_b32 v14, v9, v6 offset0:8 offset1:12
	s_or_b32 exec_lo, exec_lo, s1
	s_mov_b32 s1, exec_lo
	v_cmpx_gt_i64_e64 s[2:3], v[0:1]
	s_cbranch_execz .LBB71_53
.LBB71_51:
	v_mov_b32_e32 v7, v1
	v_lshl_add_u32 v8, v0, 2, 0x1000
	v_dual_mov_b32 v9, 0 :: v_dual_mov_b32 v6, v0
	s_mov_b32 s7, 0
.LBB71_52:                              ; =>This Inner Loop Header: Depth=1
	s_delay_alu instid0(VALU_DEP_1) | instskip(NEXT) | instid1(VALU_DEP_1)
	v_add_co_u32 v6, s0, 0x100, v6
	v_add_co_ci_u32_e64 v7, s0, 0, v7, s0
	ds_store_b32 v8, v9
	v_add_nc_u32_e32 v8, 0x400, v8
	v_cmp_le_i64_e64 s0, s[2:3], v[6:7]
	s_delay_alu instid0(VALU_DEP_1) | instskip(NEXT) | instid1(SALU_CYCLE_1)
	s_or_b32 s7, s0, s7
	s_and_not1_b32 exec_lo, exec_lo, s7
	s_cbranch_execnz .LBB71_52
.LBB71_53:
	s_or_b32 exec_lo, exec_lo, s1
	v_cmp_ge_i64_e64 s0, s[18:19], s[2:3]
	s_sub_u32 s1, s18, s2
	s_subb_u32 s7, s19, s3
	s_waitcnt lgkmcnt(0)
	s_barrier
	buffer_gl0_inv
	s_and_b32 s0, s0, exec_lo
	s_cselect_b32 s13, s7, 0
	s_cselect_b32 s12, s1, 0
	s_and_saveexec_b32 s0, vcc_lo
	s_delay_alu instid0(SALU_CYCLE_1)
	s_xor_b32 s7, exec_lo, s0
	s_cbranch_execz .LBB71_72
; %bb.54:
	s_lshl_b64 s[0:1], s[18:19], 3
	s_mov_b32 s25, exec_lo
	s_add_u32 s0, s8, s0
	s_addc_u32 s1, s9, s1
	s_load_b64 s[0:1], s[0:1], 0x0
	s_waitcnt lgkmcnt(0)
	s_sub_u32 s30, s0, s4
	s_subb_u32 s31, s1, s5
	s_delay_alu instid0(SALU_CYCLE_1)
	v_cmpx_gt_i64_e64 s[30:31], v[0:1]
	s_cbranch_execz .LBB71_71
; %bb.55:
	s_add_u32 s34, s18, -1
	s_addc_u32 s35, s19, -1
	s_add_u32 s36, s18, -2
	v_cmp_gt_i64_e64 s29, s[34:35], s[16:17]
	s_addc_u32 s37, s19, -1
	s_mov_b64 s[38:39], 0
	s_cmp_lg_u64 s[36:37], s[16:17]
	s_cselect_b32 s33, -1, 0
	s_delay_alu instid0(VALU_DEP_1) | instid1(SALU_CYCLE_1)
	s_and_b32 s29, s29, s33
	s_sub_u32 s36, s0, s24
	s_subb_u32 s37, s1, 0
	s_mov_b32 s1, 0
	s_branch .LBB71_58
.LBB71_56:                              ;   in Loop: Header=BB71_58 Depth=1
	s_or_b32 exec_lo, exec_lo, s0
.LBB71_57:                              ;   in Loop: Header=BB71_58 Depth=1
	s_delay_alu instid0(SALU_CYCLE_1) | instskip(SKIP_3) | instid1(VALU_DEP_1)
	s_or_b32 exec_lo, exec_lo, s33
	v_lshlrev_b64 v[4:5], 1, v[4:5]
	s_add_u32 s38, s38, 0x100
	s_addc_u32 s39, s39, 0
	v_add_co_u32 v4, vcc_lo, s14, v4
	s_delay_alu instid0(VALU_DEP_2) | instskip(SKIP_2) | instid1(VALU_DEP_1)
	v_add_co_ci_u32_e32 v5, vcc_lo, s15, v5, vcc_lo
	global_load_u16 v6, v[4:5], off
	v_add_co_u32 v4, s0, s38, v0
	v_add_co_ci_u32_e64 v5, null, s39, 0, s0
	s_delay_alu instid0(VALU_DEP_1)
	v_cmp_le_i64_e32 vcc_lo, s[30:31], v[4:5]
	v_lshlrev_b32_e32 v4, 2, v10
	s_or_b32 s1, vcc_lo, s1
	s_waitcnt vmcnt(0)
	v_cvt_f32_f16_e32 v6, v6
	s_waitcnt lgkmcnt(0)
	s_delay_alu instid0(VALU_DEP_1)
	v_mul_f32_e32 v5, v11, v6
	ds_store_b32 v4, v5
	s_and_not1_b32 exec_lo, exec_lo, s1
	s_cbranch_execz .LBB71_71
.LBB71_58:                              ; =>This Loop Header: Depth=1
                                        ;     Child Loop BB71_60 Depth 2
                                        ;     Child Loop BB71_67 Depth 2
	v_add_co_u32 v6, vcc_lo, s38, v2
	v_add_co_ci_u32_e32 v7, vcc_lo, s39, v3, vcc_lo
	v_dual_mov_b32 v8, s16 :: v_dual_mov_b32 v9, s17
	v_dual_mov_b32 v10, s34 :: v_dual_mov_b32 v11, s35
	s_and_not1_b32 vcc_lo, exec_lo, s29
	s_cbranch_vccnz .LBB71_62
; %bb.59:                               ;   in Loop: Header=BB71_58 Depth=1
	v_dual_mov_b32 v8, s16 :: v_dual_mov_b32 v9, s17
	v_dual_mov_b32 v10, s34 :: v_dual_mov_b32 v11, s35
	s_mov_b32 s33, 0
	s_set_inst_prefetch_distance 0x1
	.p2align	6
.LBB71_60:                              ;   Parent Loop BB71_58 Depth=1
                                        ; =>  This Inner Loop Header: Depth=2
	s_delay_alu instid0(VALU_DEP_1) | instskip(NEXT) | instid1(VALU_DEP_2)
	v_add_co_u32 v4, vcc_lo, v10, v8
	v_add_co_ci_u32_e32 v5, vcc_lo, v11, v9, vcc_lo
	s_delay_alu instid0(VALU_DEP_1) | instskip(NEXT) | instid1(VALU_DEP_1)
	v_lshrrev_b32_e32 v12, 31, v5
	v_add_co_u32 v4, vcc_lo, v4, v12
	v_add_co_ci_u32_e32 v5, vcc_lo, 0, v5, vcc_lo
	s_delay_alu instid0(VALU_DEP_1) | instskip(NEXT) | instid1(VALU_DEP_1)
	v_ashrrev_i64 v[4:5], 1, v[4:5]
	v_lshlrev_b64 v[12:13], 3, v[4:5]
	s_delay_alu instid0(VALU_DEP_1) | instskip(NEXT) | instid1(VALU_DEP_2)
	v_add_co_u32 v12, vcc_lo, s8, v12
	v_add_co_ci_u32_e32 v13, vcc_lo, s9, v13, vcc_lo
	global_load_b64 v[12:13], v[12:13], off
	s_waitcnt vmcnt(0)
	v_sub_co_u32 v12, vcc_lo, v12, s24
	v_subrev_co_ci_u32_e32 v13, vcc_lo, 0, v13, vcc_lo
	s_delay_alu instid0(VALU_DEP_1) | instskip(SKIP_2) | instid1(VALU_DEP_2)
	v_cmp_gt_i64_e32 vcc_lo, v[12:13], v[6:7]
	v_dual_cndmask_b32 v11, v11, v5 :: v_dual_cndmask_b32 v10, v10, v4
	v_dual_cndmask_b32 v9, v5, v9 :: v_dual_cndmask_b32 v8, v4, v8
	v_add_co_u32 v4, vcc_lo, v10, -1
	s_delay_alu instid0(VALU_DEP_3) | instskip(NEXT) | instid1(VALU_DEP_3)
	v_add_co_ci_u32_e32 v5, vcc_lo, -1, v11, vcc_lo
	v_cmp_ge_i64_e32 vcc_lo, v[8:9], v[10:11]
	s_delay_alu instid0(VALU_DEP_2) | instskip(NEXT) | instid1(VALU_DEP_1)
	v_cmp_eq_u64_e64 s0, v[8:9], v[4:5]
	s_or_b32 s0, vcc_lo, s0
	s_delay_alu instid0(SALU_CYCLE_1) | instskip(NEXT) | instid1(SALU_CYCLE_1)
	s_and_b32 s0, exec_lo, s0
	s_or_b32 s33, s0, s33
	s_delay_alu instid0(SALU_CYCLE_1)
	s_and_not1_b32 exec_lo, exec_lo, s33
	s_cbranch_execnz .LBB71_60
; %bb.61:                               ;   in Loop: Header=BB71_58 Depth=1
	s_set_inst_prefetch_distance 0x2
	s_or_b32 exec_lo, exec_lo, s33
.LBB71_62:                              ;   in Loop: Header=BB71_58 Depth=1
	s_delay_alu instid0(VALU_DEP_1) | instskip(SKIP_1) | instid1(VALU_DEP_2)
	v_lshlrev_b64 v[4:5], 3, v[10:11]
	v_lshlrev_b64 v[12:13], 3, v[6:7]
	v_add_co_u32 v4, vcc_lo, s8, v4
	s_delay_alu instid0(VALU_DEP_3) | instskip(NEXT) | instid1(VALU_DEP_3)
	v_add_co_ci_u32_e32 v5, vcc_lo, s9, v5, vcc_lo
	v_add_co_u32 v12, vcc_lo, s10, v12
	s_delay_alu instid0(VALU_DEP_4)
	v_add_co_ci_u32_e32 v13, vcc_lo, s11, v13, vcc_lo
	global_load_b64 v[4:5], v[4:5], off
	global_load_b64 v[12:13], v[12:13], off
	s_waitcnt vmcnt(1)
	v_sub_co_u32 v4, vcc_lo, v4, s24
	v_subrev_co_ci_u32_e32 v5, vcc_lo, 0, v5, vcc_lo
	s_delay_alu instid0(VALU_DEP_1) | instskip(SKIP_2) | instid1(VALU_DEP_1)
	v_cmp_gt_i64_e32 vcc_lo, v[4:5], v[6:7]
	s_waitcnt vmcnt(0)
	v_sub_co_u32 v4, s0, v12, s24
	v_subrev_co_ci_u32_e64 v5, s0, 0, v13, s0
	v_cmp_le_i64_e64 s0, s[36:37], v[6:7]
	v_dual_cndmask_b32 v9, v11, v9 :: v_dual_cndmask_b32 v8, v10, v8
	v_add_co_u32 v10, null, s38, v0
                                        ; implicit-def: $vgpr11
	s_delay_alu instid0(VALU_DEP_2) | instskip(NEXT) | instid1(VALU_DEP_2)
	v_cmp_eq_u64_e32 vcc_lo, v[4:5], v[8:9]
	v_lshlrev_b32_e32 v12, 2, v10
	s_or_b32 s0, vcc_lo, s0
	s_delay_alu instid0(SALU_CYCLE_1) | instskip(NEXT) | instid1(SALU_CYCLE_1)
	s_and_saveexec_b32 s33, s0
	s_xor_b32 s0, exec_lo, s33
	s_cbranch_execz .LBB71_64
; %bb.63:                               ;   in Loop: Header=BB71_58 Depth=1
	ds_load_b32 v11, v12
                                        ; implicit-def: $vgpr12
                                        ; implicit-def: $vgpr8_vgpr9
.LBB71_64:                              ;   in Loop: Header=BB71_58 Depth=1
	s_and_not1_saveexec_b32 s33, s0
	s_cbranch_execz .LBB71_57
; %bb.65:                               ;   in Loop: Header=BB71_58 Depth=1
	v_cmp_gt_i64_e32 vcc_lo, s[12:13], v[4:5]
	v_cmp_le_i64_e64 s0, s[18:19], v[4:5]
	v_lshlrev_b64 v[6:7], 1, v[8:9]
                                        ; implicit-def: $vgpr11
	s_delay_alu instid0(VALU_DEP_2) | instskip(NEXT) | instid1(SALU_CYCLE_1)
	s_or_b32 s0, vcc_lo, s0
	s_and_saveexec_b32 s40, s0
	s_delay_alu instid0(SALU_CYCLE_1)
	s_xor_b32 s0, exec_lo, s40
	s_cbranch_execz .LBB71_69
; %bb.66:                               ;   in Loop: Header=BB71_58 Depth=1
	s_delay_alu instid0(VALU_DEP_1)
	v_add_co_u32 v6, vcc_lo, s14, v6
	v_add_co_ci_u32_e32 v7, vcc_lo, s15, v7, vcc_lo
	v_lshlrev_b64 v[8:9], 2, v[4:5]
	s_waitcnt lgkmcnt(0)
	ds_load_b32 v11, v12
	s_mov_b32 s40, 0
	global_load_u16 v13, v[6:7], off
	v_add_co_u32 v6, vcc_lo, s20, v8
	v_add_co_ci_u32_e32 v7, vcc_lo, s21, v9, vcc_lo
	global_load_b32 v9, v[6:7], off
	s_waitcnt vmcnt(1)
	v_cvt_f32_f16_e32 v8, v13
	s_waitcnt lgkmcnt(0)
	s_delay_alu instid0(VALU_DEP_1)
	v_mul_f32_e32 v12, v11, v8
.LBB71_67:                              ;   Parent Loop BB71_58 Depth=1
                                        ; =>  This Inner Loop Header: Depth=2
	s_waitcnt vmcnt(0)
	s_delay_alu instid0(VALU_DEP_1)
	v_add_f32_e32 v8, v9, v12
	global_atomic_cmpswap_b32 v8, v[6:7], v[8:9], off glc
	s_waitcnt vmcnt(0)
	v_cmp_eq_u32_e32 vcc_lo, v8, v9
	v_mov_b32_e32 v9, v8
	s_or_b32 s40, vcc_lo, s40
	s_delay_alu instid0(SALU_CYCLE_1)
	s_and_not1_b32 exec_lo, exec_lo, s40
	s_cbranch_execnz .LBB71_67
; %bb.68:                               ;   in Loop: Header=BB71_58 Depth=1
	s_or_b32 exec_lo, exec_lo, s40
                                        ; implicit-def: $vgpr12
                                        ; implicit-def: $vgpr6_vgpr7
.LBB71_69:                              ;   in Loop: Header=BB71_58 Depth=1
	s_and_not1_saveexec_b32 s0, s0
	s_cbranch_execz .LBB71_56
; %bb.70:                               ;   in Loop: Header=BB71_58 Depth=1
	v_add_co_u32 v6, vcc_lo, s14, v6
	v_add_co_ci_u32_e32 v7, vcc_lo, s15, v7, vcc_lo
	s_waitcnt lgkmcnt(0)
	ds_load_b32 v11, v12
	global_load_u16 v6, v[6:7], off
	v_subrev_nc_u32_e32 v7, s12, v4
	s_delay_alu instid0(VALU_DEP_1) | instskip(SKIP_3) | instid1(VALU_DEP_1)
	v_lshl_add_u32 v7, v7, 2, 0x1000
	s_waitcnt vmcnt(0)
	v_cvt_f32_f16_e32 v6, v6
	s_waitcnt lgkmcnt(0)
	v_mul_f32_e32 v6, v11, v6
	ds_add_f32 v7, v6
	s_branch .LBB71_56
.LBB71_71:
	s_or_b32 exec_lo, exec_lo, s25
                                        ; implicit-def: $vgpr4_vgpr5
                                        ; implicit-def: $vgpr2
.LBB71_72:
	s_and_not1_saveexec_b32 s1, s7
	s_cbranch_execz .LBB71_122
; %bb.73:
	s_add_u32 s30, s18, -1
	s_addc_u32 s31, s19, -1
	s_add_u32 s34, s18, -2
	v_cmp_le_i64_e64 s0, s[30:31], s[16:17]
	s_addc_u32 s35, s19, -1
	v_dual_mov_b32 v8, s16 :: v_dual_mov_b32 v9, s17
	s_cmp_eq_u64 s[34:35], s[16:17]
	v_dual_mov_b32 v10, s30 :: v_dual_mov_b32 v11, s31
	s_cselect_b32 s7, -1, 0
	s_delay_alu instid0(SALU_CYCLE_1) | instskip(NEXT) | instid1(SALU_CYCLE_1)
	s_or_b32 s7, s0, s7
	s_and_b32 vcc_lo, exec_lo, s7
	s_cbranch_vccnz .LBB71_77
; %bb.74:
	v_dual_mov_b32 v8, s16 :: v_dual_mov_b32 v9, s17
	v_dual_mov_b32 v10, s30 :: v_dual_mov_b32 v11, s31
	s_mov_b32 s25, 0
	s_set_inst_prefetch_distance 0x1
	.p2align	6
.LBB71_75:                              ; =>This Inner Loop Header: Depth=1
	s_delay_alu instid0(VALU_DEP_1) | instskip(NEXT) | instid1(VALU_DEP_2)
	v_add_co_u32 v6, vcc_lo, v10, v8
	v_add_co_ci_u32_e32 v7, vcc_lo, v11, v9, vcc_lo
	s_delay_alu instid0(VALU_DEP_1) | instskip(NEXT) | instid1(VALU_DEP_1)
	v_lshrrev_b32_e32 v12, 31, v7
	v_add_co_u32 v6, vcc_lo, v6, v12
	v_add_co_ci_u32_e32 v7, vcc_lo, 0, v7, vcc_lo
	s_delay_alu instid0(VALU_DEP_1) | instskip(NEXT) | instid1(VALU_DEP_1)
	v_ashrrev_i64 v[6:7], 1, v[6:7]
	v_lshlrev_b64 v[12:13], 3, v[6:7]
	s_delay_alu instid0(VALU_DEP_1) | instskip(NEXT) | instid1(VALU_DEP_2)
	v_add_co_u32 v12, vcc_lo, s8, v12
	v_add_co_ci_u32_e32 v13, vcc_lo, s9, v13, vcc_lo
	global_load_b64 v[12:13], v[12:13], off
	s_waitcnt vmcnt(0)
	v_sub_co_u32 v12, vcc_lo, v12, s24
	v_subrev_co_ci_u32_e32 v13, vcc_lo, 0, v13, vcc_lo
	s_delay_alu instid0(VALU_DEP_1) | instskip(SKIP_2) | instid1(VALU_DEP_2)
	v_cmp_gt_i64_e32 vcc_lo, v[12:13], v[2:3]
	v_dual_cndmask_b32 v11, v11, v7 :: v_dual_cndmask_b32 v10, v10, v6
	v_dual_cndmask_b32 v9, v7, v9 :: v_dual_cndmask_b32 v8, v6, v8
	v_add_co_u32 v6, vcc_lo, v10, -1
	s_delay_alu instid0(VALU_DEP_3) | instskip(NEXT) | instid1(VALU_DEP_3)
	v_add_co_ci_u32_e32 v7, vcc_lo, -1, v11, vcc_lo
	v_cmp_ge_i64_e32 vcc_lo, v[8:9], v[10:11]
	s_delay_alu instid0(VALU_DEP_2) | instskip(NEXT) | instid1(VALU_DEP_1)
	v_cmp_eq_u64_e64 s0, v[8:9], v[6:7]
	s_or_b32 s0, vcc_lo, s0
	s_delay_alu instid0(SALU_CYCLE_1) | instskip(NEXT) | instid1(SALU_CYCLE_1)
	s_and_b32 s0, exec_lo, s0
	s_or_b32 s25, s0, s25
	s_delay_alu instid0(SALU_CYCLE_1)
	s_and_not1_b32 exec_lo, exec_lo, s25
	s_cbranch_execnz .LBB71_75
; %bb.76:
	s_set_inst_prefetch_distance 0x2
	s_or_b32 exec_lo, exec_lo, s25
.LBB71_77:
	v_lshlrev_b64 v[6:7], 3, v[10:11]
	s_xor_b32 s7, s7, -1
	s_mov_b32 s25, exec_lo
	s_delay_alu instid0(VALU_DEP_1) | instskip(NEXT) | instid1(VALU_DEP_2)
	v_add_co_u32 v6, vcc_lo, s8, v6
	v_add_co_ci_u32_e32 v7, vcc_lo, s9, v7, vcc_lo
	global_load_b64 v[12:13], v[6:7], off
	v_lshlrev_b64 v[6:7], 3, v[2:3]
	s_delay_alu instid0(VALU_DEP_1) | instskip(NEXT) | instid1(VALU_DEP_2)
	v_add_co_u32 v6, vcc_lo, s10, v6
	v_add_co_ci_u32_e32 v7, vcc_lo, s11, v7, vcc_lo
	s_lshl_b64 s[10:11], s[18:19], 3
	s_delay_alu instid0(SALU_CYCLE_1)
	s_add_u32 s10, s8, s10
	global_load_b64 v[15:16], v[6:7], off
	s_addc_u32 s11, s9, s11
	s_waitcnt vmcnt(1)
	v_sub_co_u32 v12, vcc_lo, v12, s24
	v_subrev_co_ci_u32_e32 v13, vcc_lo, 0, v13, vcc_lo
	s_delay_alu instid0(VALU_DEP_1) | instskip(SKIP_4) | instid1(VALU_DEP_1)
	v_cmp_gt_i64_e32 vcc_lo, v[12:13], v[2:3]
	v_dual_cndmask_b32 v11, v11, v9 :: v_dual_cndmask_b32 v10, v10, v8
	s_waitcnt vmcnt(0)
	v_sub_co_u32 v8, vcc_lo, v15, s24
	v_subrev_co_ci_u32_e32 v9, vcc_lo, 0, v16, vcc_lo
	v_cmpx_ne_u64_e64 v[8:9], v[10:11]
	s_cbranch_execz .LBB71_85
; %bb.78:
	s_load_b64 s[34:35], s[10:11], 0x0
	s_waitcnt lgkmcnt(0)
	s_sub_u32 s34, s34, s24
	s_subb_u32 s35, s35, 0
	s_delay_alu instid0(SALU_CYCLE_1)
	v_cmp_gt_i64_e32 vcc_lo, s[34:35], v[2:3]
	s_and_b32 exec_lo, exec_lo, vcc_lo
	s_cbranch_execz .LBB71_85
; %bb.79:
	v_cmp_gt_i64_e32 vcc_lo, s[12:13], v[8:9]
	v_cmp_le_i64_e64 s0, s[18:19], v[8:9]
	v_lshlrev_b64 v[10:11], 1, v[10:11]
	s_delay_alu instid0(VALU_DEP_2) | instskip(NEXT) | instid1(SALU_CYCLE_1)
	s_or_b32 s0, vcc_lo, s0
	s_and_saveexec_b32 s29, s0
	s_delay_alu instid0(SALU_CYCLE_1)
	s_xor_b32 s0, exec_lo, s29
	s_cbranch_execz .LBB71_83
; %bb.80:
	s_delay_alu instid0(VALU_DEP_1)
	v_add_co_u32 v10, vcc_lo, s14, v10
	v_add_co_ci_u32_e32 v11, vcc_lo, s15, v11, vcc_lo
	v_lshlrev_b64 v[12:13], 2, v[8:9]
	s_mov_b32 s29, 0
	global_load_u16 v15, v[10:11], off
	v_add_co_u32 v10, vcc_lo, s20, v12
	v_add_co_ci_u32_e32 v11, vcc_lo, s21, v13, vcc_lo
	ds_load_b32 v12, v14
	global_load_b32 v13, v[10:11], off
	s_waitcnt vmcnt(1)
	v_cvt_f32_f16_e32 v15, v15
	s_waitcnt lgkmcnt(0)
	s_delay_alu instid0(VALU_DEP_1)
	v_mul_f32_e32 v15, v12, v15
.LBB71_81:                              ; =>This Inner Loop Header: Depth=1
	s_waitcnt vmcnt(0)
	s_delay_alu instid0(VALU_DEP_1)
	v_add_f32_e32 v12, v13, v15
	global_atomic_cmpswap_b32 v12, v[10:11], v[12:13], off glc
	s_waitcnt vmcnt(0)
	v_cmp_eq_u32_e32 vcc_lo, v12, v13
	v_mov_b32_e32 v13, v12
	s_or_b32 s29, vcc_lo, s29
	s_delay_alu instid0(SALU_CYCLE_1)
	s_and_not1_b32 exec_lo, exec_lo, s29
	s_cbranch_execnz .LBB71_81
; %bb.82:
	s_or_b32 exec_lo, exec_lo, s29
                                        ; implicit-def: $vgpr10_vgpr11
.LBB71_83:
	s_and_not1_saveexec_b32 s0, s0
	s_cbranch_execz .LBB71_85
; %bb.84:
	v_add_co_u32 v10, vcc_lo, s14, v10
	v_add_co_ci_u32_e32 v11, vcc_lo, s15, v11, vcc_lo
	v_subrev_nc_u32_e32 v12, s12, v8
	global_load_u16 v10, v[10:11], off
	ds_load_b32 v11, v14
	v_lshl_add_u32 v12, v12, 2, 0x1000
	s_waitcnt vmcnt(0)
	v_cvt_f32_f16_e32 v10, v10
	s_waitcnt lgkmcnt(0)
	s_delay_alu instid0(VALU_DEP_1)
	v_mul_f32_e32 v10, v11, v10
	ds_add_f32 v12, v10
.LBB71_85:
	s_or_b32 exec_lo, exec_lo, s25
	v_lshlrev_b64 v[8:9], 1, v[8:9]
	ds_load_b32 v10, v14
	v_mov_b32_e32 v12, s30
	v_cndmask_b32_e64 v15, 0, 1, s7
	v_mov_b32_e32 v13, s31
	v_add_co_u32 v8, vcc_lo, s14, v8
	v_add_co_ci_u32_e32 v9, vcc_lo, s15, v9, vcc_lo
	global_load_u16 v8, v[8:9], off
	s_waitcnt vmcnt(0)
	v_cvt_f32_f16_e32 v11, v8
	v_add_co_u32 v8, vcc_lo, 0x100, v2
	v_add_co_ci_u32_e32 v9, vcc_lo, 0, v3, vcc_lo
	s_waitcnt lgkmcnt(0)
	s_delay_alu instid0(VALU_DEP_3)
	v_mul_f32_e32 v16, v10, v11
	v_dual_mov_b32 v10, s16 :: v_dual_mov_b32 v11, s17
	s_and_not1_b32 vcc_lo, exec_lo, s7
	ds_store_b32 v14, v16
	s_cbranch_vccnz .LBB71_89
; %bb.86:
	v_dual_mov_b32 v10, s16 :: v_dual_mov_b32 v11, s17
	v_dual_mov_b32 v12, s30 :: v_dual_mov_b32 v13, s31
	s_mov_b32 s7, 0
	s_set_inst_prefetch_distance 0x1
	.p2align	6
.LBB71_87:                              ; =>This Inner Loop Header: Depth=1
	s_delay_alu instid0(VALU_DEP_1) | instskip(NEXT) | instid1(VALU_DEP_2)
	v_add_co_u32 v16, vcc_lo, v12, v10
	v_add_co_ci_u32_e32 v17, vcc_lo, v13, v11, vcc_lo
	s_delay_alu instid0(VALU_DEP_1) | instskip(NEXT) | instid1(VALU_DEP_1)
	v_lshrrev_b32_e32 v18, 31, v17
	v_add_co_u32 v16, vcc_lo, v16, v18
	v_add_co_ci_u32_e32 v17, vcc_lo, 0, v17, vcc_lo
	s_delay_alu instid0(VALU_DEP_1) | instskip(NEXT) | instid1(VALU_DEP_1)
	v_ashrrev_i64 v[16:17], 1, v[16:17]
	v_lshlrev_b64 v[18:19], 3, v[16:17]
	s_delay_alu instid0(VALU_DEP_1) | instskip(NEXT) | instid1(VALU_DEP_2)
	v_add_co_u32 v18, vcc_lo, s8, v18
	v_add_co_ci_u32_e32 v19, vcc_lo, s9, v19, vcc_lo
	global_load_b64 v[18:19], v[18:19], off
	s_waitcnt vmcnt(0)
	v_sub_co_u32 v18, vcc_lo, v18, s24
	v_subrev_co_ci_u32_e32 v19, vcc_lo, 0, v19, vcc_lo
	s_delay_alu instid0(VALU_DEP_1) | instskip(SKIP_2) | instid1(VALU_DEP_2)
	v_cmp_gt_i64_e32 vcc_lo, v[18:19], v[8:9]
	v_dual_cndmask_b32 v13, v13, v17 :: v_dual_cndmask_b32 v12, v12, v16
	v_dual_cndmask_b32 v11, v17, v11 :: v_dual_cndmask_b32 v10, v16, v10
	v_add_co_u32 v16, vcc_lo, v12, -1
	s_delay_alu instid0(VALU_DEP_3) | instskip(NEXT) | instid1(VALU_DEP_3)
	v_add_co_ci_u32_e32 v17, vcc_lo, -1, v13, vcc_lo
	v_cmp_ge_i64_e32 vcc_lo, v[10:11], v[12:13]
	s_delay_alu instid0(VALU_DEP_2) | instskip(NEXT) | instid1(VALU_DEP_1)
	v_cmp_eq_u64_e64 s0, v[10:11], v[16:17]
	s_or_b32 s0, vcc_lo, s0
	s_delay_alu instid0(SALU_CYCLE_1) | instskip(NEXT) | instid1(SALU_CYCLE_1)
	s_and_b32 s0, exec_lo, s0
	s_or_b32 s7, s0, s7
	s_delay_alu instid0(SALU_CYCLE_1)
	s_and_not1_b32 exec_lo, exec_lo, s7
	s_cbranch_execnz .LBB71_87
; %bb.88:
	s_set_inst_prefetch_distance 0x2
	s_or_b32 exec_lo, exec_lo, s7
.LBB71_89:
	v_lshlrev_b64 v[16:17], 3, v[12:13]
	s_mov_b32 s7, exec_lo
	s_delay_alu instid0(VALU_DEP_1) | instskip(NEXT) | instid1(VALU_DEP_2)
	v_add_co_u32 v16, vcc_lo, s8, v16
	v_add_co_ci_u32_e32 v17, vcc_lo, s9, v17, vcc_lo
	global_load_b64 v[16:17], v[16:17], off
	global_load_b64 v[18:19], v[6:7], off offset:2048
	s_waitcnt vmcnt(1)
	v_sub_co_u32 v16, vcc_lo, v16, s24
	v_subrev_co_ci_u32_e32 v17, vcc_lo, 0, v17, vcc_lo
	s_delay_alu instid0(VALU_DEP_1) | instskip(SKIP_4) | instid1(VALU_DEP_1)
	v_cmp_gt_i64_e32 vcc_lo, v[16:17], v[8:9]
	v_dual_cndmask_b32 v13, v13, v11 :: v_dual_cndmask_b32 v12, v12, v10
	s_waitcnt vmcnt(0)
	v_sub_co_u32 v10, vcc_lo, v18, s24
	v_subrev_co_ci_u32_e32 v11, vcc_lo, 0, v19, vcc_lo
	v_cmpx_ne_u64_e64 v[10:11], v[12:13]
	s_cbranch_execz .LBB71_97
; %bb.90:
	s_load_b64 s[34:35], s[10:11], 0x0
	s_waitcnt lgkmcnt(0)
	s_sub_u32 s34, s34, s24
	s_subb_u32 s35, s35, 0
	s_delay_alu instid0(SALU_CYCLE_1)
	v_cmp_gt_i64_e32 vcc_lo, s[34:35], v[8:9]
	s_and_b32 exec_lo, exec_lo, vcc_lo
	s_cbranch_execz .LBB71_97
; %bb.91:
	v_cmp_gt_i64_e32 vcc_lo, s[12:13], v[10:11]
	v_cmp_le_i64_e64 s0, s[18:19], v[10:11]
	v_lshlrev_b64 v[8:9], 1, v[12:13]
	s_delay_alu instid0(VALU_DEP_2) | instskip(NEXT) | instid1(SALU_CYCLE_1)
	s_or_b32 s0, vcc_lo, s0
	s_and_saveexec_b32 s25, s0
	s_delay_alu instid0(SALU_CYCLE_1)
	s_xor_b32 s0, exec_lo, s25
	s_cbranch_execz .LBB71_95
; %bb.92:
	s_delay_alu instid0(VALU_DEP_1)
	v_add_co_u32 v8, vcc_lo, s14, v8
	v_add_co_ci_u32_e32 v9, vcc_lo, s15, v9, vcc_lo
	v_lshlrev_b64 v[12:13], 2, v[10:11]
	s_mov_b32 s25, 0
	global_load_u16 v16, v[8:9], off
	v_add_co_u32 v8, vcc_lo, s20, v12
	v_add_co_ci_u32_e32 v9, vcc_lo, s21, v13, vcc_lo
	ds_load_b32 v12, v14 offset:1024
	global_load_b32 v13, v[8:9], off
	s_waitcnt vmcnt(1)
	v_cvt_f32_f16_e32 v16, v16
	s_waitcnt lgkmcnt(0)
	s_delay_alu instid0(VALU_DEP_1)
	v_mul_f32_e32 v16, v12, v16
.LBB71_93:                              ; =>This Inner Loop Header: Depth=1
	s_waitcnt vmcnt(0)
	s_delay_alu instid0(VALU_DEP_1)
	v_add_f32_e32 v12, v13, v16
	global_atomic_cmpswap_b32 v12, v[8:9], v[12:13], off glc
	s_waitcnt vmcnt(0)
	v_cmp_eq_u32_e32 vcc_lo, v12, v13
	v_mov_b32_e32 v13, v12
	s_or_b32 s25, vcc_lo, s25
	s_delay_alu instid0(SALU_CYCLE_1)
	s_and_not1_b32 exec_lo, exec_lo, s25
	s_cbranch_execnz .LBB71_93
; %bb.94:
	s_or_b32 exec_lo, exec_lo, s25
                                        ; implicit-def: $vgpr8_vgpr9
.LBB71_95:
	s_and_not1_saveexec_b32 s0, s0
	s_cbranch_execz .LBB71_97
; %bb.96:
	v_add_co_u32 v8, vcc_lo, s14, v8
	v_add_co_ci_u32_e32 v9, vcc_lo, s15, v9, vcc_lo
	v_subrev_nc_u32_e32 v12, s12, v10
	global_load_u16 v8, v[8:9], off
	ds_load_b32 v9, v14 offset:1024
	v_lshl_add_u32 v12, v12, 2, 0x1000
	s_waitcnt vmcnt(0)
	v_cvt_f32_f16_e32 v8, v8
	s_waitcnt lgkmcnt(0)
	s_delay_alu instid0(VALU_DEP_1)
	v_mul_f32_e32 v8, v9, v8
	ds_add_f32 v12, v8
.LBB71_97:
	s_or_b32 exec_lo, exec_lo, s7
	v_lshlrev_b64 v[8:9], 1, v[10:11]
	ds_load_b32 v10, v14 offset:1024
	v_dual_mov_b32 v12, s30 :: v_dual_mov_b32 v13, s31
	v_add_co_u32 v8, vcc_lo, s14, v8
	v_add_co_ci_u32_e32 v9, vcc_lo, s15, v9, vcc_lo
	global_load_u16 v8, v[8:9], off
	s_waitcnt vmcnt(0)
	v_cvt_f32_f16_e32 v11, v8
	v_add_co_u32 v8, vcc_lo, 0x200, v2
	v_add_co_ci_u32_e32 v9, vcc_lo, 0, v3, vcc_lo
	v_cmp_ne_u32_e32 vcc_lo, 1, v15
	s_waitcnt lgkmcnt(0)
	v_mul_f32_e32 v2, v10, v11
	v_dual_mov_b32 v10, s16 :: v_dual_mov_b32 v11, s17
	ds_store_b32 v14, v2 offset:1024
	s_cbranch_vccnz .LBB71_101
; %bb.98:
	v_dual_mov_b32 v10, s16 :: v_dual_mov_b32 v11, s17
	v_dual_mov_b32 v12, s30 :: v_dual_mov_b32 v13, s31
	s_mov_b32 s7, 0
	s_set_inst_prefetch_distance 0x1
	.p2align	6
.LBB71_99:                              ; =>This Inner Loop Header: Depth=1
	s_delay_alu instid0(VALU_DEP_1) | instskip(NEXT) | instid1(VALU_DEP_2)
	v_add_co_u32 v2, vcc_lo, v12, v10
	v_add_co_ci_u32_e32 v3, vcc_lo, v13, v11, vcc_lo
	s_delay_alu instid0(VALU_DEP_1) | instskip(NEXT) | instid1(VALU_DEP_1)
	v_lshrrev_b32_e32 v16, 31, v3
	v_add_co_u32 v2, vcc_lo, v2, v16
	v_add_co_ci_u32_e32 v3, vcc_lo, 0, v3, vcc_lo
	s_delay_alu instid0(VALU_DEP_1) | instskip(NEXT) | instid1(VALU_DEP_1)
	v_ashrrev_i64 v[2:3], 1, v[2:3]
	v_lshlrev_b64 v[16:17], 3, v[2:3]
	s_delay_alu instid0(VALU_DEP_1) | instskip(NEXT) | instid1(VALU_DEP_2)
	v_add_co_u32 v16, vcc_lo, s8, v16
	v_add_co_ci_u32_e32 v17, vcc_lo, s9, v17, vcc_lo
	global_load_b64 v[16:17], v[16:17], off
	s_waitcnt vmcnt(0)
	v_sub_co_u32 v16, vcc_lo, v16, s24
	v_subrev_co_ci_u32_e32 v17, vcc_lo, 0, v17, vcc_lo
	s_delay_alu instid0(VALU_DEP_1) | instskip(SKIP_2) | instid1(VALU_DEP_2)
	v_cmp_gt_i64_e32 vcc_lo, v[16:17], v[8:9]
	v_dual_cndmask_b32 v13, v13, v3 :: v_dual_cndmask_b32 v12, v12, v2
	v_dual_cndmask_b32 v11, v3, v11 :: v_dual_cndmask_b32 v10, v2, v10
	v_add_co_u32 v2, vcc_lo, v12, -1
	s_delay_alu instid0(VALU_DEP_3) | instskip(NEXT) | instid1(VALU_DEP_3)
	v_add_co_ci_u32_e32 v3, vcc_lo, -1, v13, vcc_lo
	v_cmp_ge_i64_e32 vcc_lo, v[10:11], v[12:13]
	s_delay_alu instid0(VALU_DEP_2) | instskip(NEXT) | instid1(VALU_DEP_1)
	v_cmp_eq_u64_e64 s0, v[10:11], v[2:3]
	s_or_b32 s0, vcc_lo, s0
	s_delay_alu instid0(SALU_CYCLE_1) | instskip(NEXT) | instid1(SALU_CYCLE_1)
	s_and_b32 s0, exec_lo, s0
	s_or_b32 s7, s0, s7
	s_delay_alu instid0(SALU_CYCLE_1)
	s_and_not1_b32 exec_lo, exec_lo, s7
	s_cbranch_execnz .LBB71_99
; %bb.100:
	s_set_inst_prefetch_distance 0x2
	s_or_b32 exec_lo, exec_lo, s7
.LBB71_101:
	v_lshlrev_b64 v[2:3], 3, v[12:13]
	s_mov_b32 s7, exec_lo
	s_delay_alu instid0(VALU_DEP_1) | instskip(NEXT) | instid1(VALU_DEP_2)
	v_add_co_u32 v2, vcc_lo, s8, v2
	v_add_co_ci_u32_e32 v3, vcc_lo, s9, v3, vcc_lo
	global_load_b64 v[16:17], v[2:3], off
	v_add_co_u32 v2, vcc_lo, 0x1000, v6
	v_add_co_ci_u32_e32 v3, vcc_lo, 0, v7, vcc_lo
	global_load_b64 v[6:7], v[2:3], off
	s_waitcnt vmcnt(1)
	v_sub_co_u32 v16, vcc_lo, v16, s24
	v_subrev_co_ci_u32_e32 v17, vcc_lo, 0, v17, vcc_lo
	s_delay_alu instid0(VALU_DEP_1) | instskip(SKIP_4) | instid1(VALU_DEP_1)
	v_cmp_gt_i64_e32 vcc_lo, v[16:17], v[8:9]
	v_dual_cndmask_b32 v11, v13, v11 :: v_dual_cndmask_b32 v10, v12, v10
	s_waitcnt vmcnt(0)
	v_sub_co_u32 v6, vcc_lo, v6, s24
	v_subrev_co_ci_u32_e32 v7, vcc_lo, 0, v7, vcc_lo
	v_cmpx_ne_u64_e64 v[6:7], v[10:11]
	s_cbranch_execz .LBB71_109
; %bb.102:
	s_load_b64 s[34:35], s[10:11], 0x0
	s_waitcnt lgkmcnt(0)
	s_sub_u32 s34, s34, s24
	s_subb_u32 s35, s35, 0
	s_delay_alu instid0(SALU_CYCLE_1)
	v_cmp_gt_i64_e32 vcc_lo, s[34:35], v[8:9]
	s_and_b32 exec_lo, exec_lo, vcc_lo
	s_cbranch_execz .LBB71_109
; %bb.103:
	v_cmp_gt_i64_e32 vcc_lo, s[12:13], v[6:7]
	v_cmp_le_i64_e64 s0, s[18:19], v[6:7]
	v_lshlrev_b64 v[8:9], 1, v[10:11]
	s_delay_alu instid0(VALU_DEP_2) | instskip(NEXT) | instid1(SALU_CYCLE_1)
	s_or_b32 s0, vcc_lo, s0
	s_and_saveexec_b32 s25, s0
	s_delay_alu instid0(SALU_CYCLE_1)
	s_xor_b32 s0, exec_lo, s25
	s_cbranch_execz .LBB71_107
; %bb.104:
	s_delay_alu instid0(VALU_DEP_1)
	v_add_co_u32 v8, vcc_lo, s14, v8
	v_add_co_ci_u32_e32 v9, vcc_lo, s15, v9, vcc_lo
	v_lshlrev_b64 v[10:11], 2, v[6:7]
	s_mov_b32 s25, 0
	global_load_u16 v12, v[8:9], off
	v_add_co_u32 v8, vcc_lo, s20, v10
	v_add_co_ci_u32_e32 v9, vcc_lo, s21, v11, vcc_lo
	ds_load_b32 v10, v14 offset:2048
	global_load_b32 v11, v[8:9], off
	s_waitcnt vmcnt(1)
	v_cvt_f32_f16_e32 v12, v12
	s_waitcnt lgkmcnt(0)
	s_delay_alu instid0(VALU_DEP_1)
	v_mul_f32_e32 v12, v10, v12
.LBB71_105:                             ; =>This Inner Loop Header: Depth=1
	s_waitcnt vmcnt(0)
	s_delay_alu instid0(VALU_DEP_1)
	v_add_f32_e32 v10, v11, v12
	global_atomic_cmpswap_b32 v10, v[8:9], v[10:11], off glc
	s_waitcnt vmcnt(0)
	v_cmp_eq_u32_e32 vcc_lo, v10, v11
	v_mov_b32_e32 v11, v10
	s_or_b32 s25, vcc_lo, s25
	s_delay_alu instid0(SALU_CYCLE_1)
	s_and_not1_b32 exec_lo, exec_lo, s25
	s_cbranch_execnz .LBB71_105
; %bb.106:
	s_or_b32 exec_lo, exec_lo, s25
                                        ; implicit-def: $vgpr8_vgpr9
.LBB71_107:
	s_and_not1_saveexec_b32 s0, s0
	s_cbranch_execz .LBB71_109
; %bb.108:
	v_add_co_u32 v8, vcc_lo, s14, v8
	v_add_co_ci_u32_e32 v9, vcc_lo, s15, v9, vcc_lo
	v_subrev_nc_u32_e32 v10, s12, v6
	global_load_u16 v8, v[8:9], off
	ds_load_b32 v9, v14 offset:2048
	v_lshl_add_u32 v10, v10, 2, 0x1000
	s_waitcnt vmcnt(0)
	v_cvt_f32_f16_e32 v8, v8
	s_waitcnt lgkmcnt(0)
	s_delay_alu instid0(VALU_DEP_1)
	v_mul_f32_e32 v8, v9, v8
	ds_add_f32 v10, v8
.LBB71_109:
	s_or_b32 exec_lo, exec_lo, s7
	v_lshlrev_b64 v[6:7], 1, v[6:7]
	v_dual_mov_b32 v8, s30 :: v_dual_mov_b32 v9, s31
	s_delay_alu instid0(VALU_DEP_2) | instskip(NEXT) | instid1(VALU_DEP_3)
	v_add_co_u32 v6, vcc_lo, s14, v6
	v_add_co_ci_u32_e32 v7, vcc_lo, s15, v7, vcc_lo
	v_cmp_ne_u32_e32 vcc_lo, 1, v15
	global_load_u16 v6, v[6:7], off
	ds_load_b32 v7, v14 offset:2048
	s_and_b32 vcc_lo, exec_lo, vcc_lo
	s_waitcnt vmcnt(0)
	v_cvt_f32_f16_e32 v6, v6
	s_waitcnt lgkmcnt(0)
	s_delay_alu instid0(VALU_DEP_1)
	v_mul_f32_e32 v10, v7, v6
	v_dual_mov_b32 v6, s16 :: v_dual_mov_b32 v7, s17
	ds_store_b32 v14, v10 offset:2048
	s_cbranch_vccnz .LBB71_113
; %bb.110:
	v_dual_mov_b32 v6, s16 :: v_dual_mov_b32 v7, s17
	v_dual_mov_b32 v8, s30 :: v_dual_mov_b32 v9, s31
	s_mov_b32 s7, 0
	s_set_inst_prefetch_distance 0x1
	.p2align	6
.LBB71_111:                             ; =>This Inner Loop Header: Depth=1
	s_delay_alu instid0(VALU_DEP_1) | instskip(NEXT) | instid1(VALU_DEP_2)
	v_add_co_u32 v10, vcc_lo, v8, v6
	v_add_co_ci_u32_e32 v11, vcc_lo, v9, v7, vcc_lo
	s_delay_alu instid0(VALU_DEP_1) | instskip(NEXT) | instid1(VALU_DEP_1)
	v_lshrrev_b32_e32 v12, 31, v11
	v_add_co_u32 v10, vcc_lo, v10, v12
	v_add_co_ci_u32_e32 v11, vcc_lo, 0, v11, vcc_lo
	s_delay_alu instid0(VALU_DEP_1) | instskip(NEXT) | instid1(VALU_DEP_1)
	v_ashrrev_i64 v[10:11], 1, v[10:11]
	v_lshlrev_b64 v[12:13], 3, v[10:11]
	s_delay_alu instid0(VALU_DEP_1) | instskip(NEXT) | instid1(VALU_DEP_2)
	v_add_co_u32 v12, vcc_lo, s8, v12
	v_add_co_ci_u32_e32 v13, vcc_lo, s9, v13, vcc_lo
	global_load_b64 v[12:13], v[12:13], off
	s_waitcnt vmcnt(0)
	v_sub_co_u32 v12, vcc_lo, v12, s24
	v_subrev_co_ci_u32_e32 v13, vcc_lo, 0, v13, vcc_lo
	s_delay_alu instid0(VALU_DEP_1) | instskip(SKIP_2) | instid1(VALU_DEP_2)
	v_cmp_gt_i64_e32 vcc_lo, v[12:13], v[4:5]
	v_dual_cndmask_b32 v9, v9, v11 :: v_dual_cndmask_b32 v8, v8, v10
	v_dual_cndmask_b32 v7, v11, v7 :: v_dual_cndmask_b32 v6, v10, v6
	v_add_co_u32 v10, vcc_lo, v8, -1
	s_delay_alu instid0(VALU_DEP_3) | instskip(NEXT) | instid1(VALU_DEP_3)
	v_add_co_ci_u32_e32 v11, vcc_lo, -1, v9, vcc_lo
	v_cmp_ge_i64_e32 vcc_lo, v[6:7], v[8:9]
	s_delay_alu instid0(VALU_DEP_2) | instskip(NEXT) | instid1(VALU_DEP_1)
	v_cmp_eq_u64_e64 s0, v[6:7], v[10:11]
	s_or_b32 s0, vcc_lo, s0
	s_delay_alu instid0(SALU_CYCLE_1) | instskip(NEXT) | instid1(SALU_CYCLE_1)
	s_and_b32 s0, exec_lo, s0
	s_or_b32 s7, s0, s7
	s_delay_alu instid0(SALU_CYCLE_1)
	s_and_not1_b32 exec_lo, exec_lo, s7
	s_cbranch_execnz .LBB71_111
; %bb.112:
	s_set_inst_prefetch_distance 0x2
	s_or_b32 exec_lo, exec_lo, s7
.LBB71_113:
	v_lshlrev_b64 v[10:11], 3, v[8:9]
	s_mov_b32 s7, exec_lo
	s_delay_alu instid0(VALU_DEP_1) | instskip(NEXT) | instid1(VALU_DEP_2)
	v_add_co_u32 v10, vcc_lo, s8, v10
	v_add_co_ci_u32_e32 v11, vcc_lo, s9, v11, vcc_lo
	global_load_b64 v[10:11], v[10:11], off
	global_load_b64 v[2:3], v[2:3], off offset:2048
	s_waitcnt vmcnt(1)
	v_sub_co_u32 v10, vcc_lo, v10, s24
	v_subrev_co_ci_u32_e32 v11, vcc_lo, 0, v11, vcc_lo
	s_delay_alu instid0(VALU_DEP_1) | instskip(SKIP_4) | instid1(VALU_DEP_1)
	v_cmp_gt_i64_e32 vcc_lo, v[10:11], v[4:5]
	v_dual_cndmask_b32 v7, v9, v7 :: v_dual_cndmask_b32 v6, v8, v6
	s_waitcnt vmcnt(0)
	v_sub_co_u32 v2, vcc_lo, v2, s24
	v_subrev_co_ci_u32_e32 v3, vcc_lo, 0, v3, vcc_lo
	v_cmpx_ne_u64_e64 v[2:3], v[6:7]
	s_cbranch_execz .LBB71_121
; %bb.114:
	s_load_b64 s[10:11], s[10:11], 0x0
	s_waitcnt lgkmcnt(0)
	s_sub_u32 s10, s10, s24
	s_subb_u32 s11, s11, 0
	s_delay_alu instid0(SALU_CYCLE_1)
	v_cmp_gt_i64_e32 vcc_lo, s[10:11], v[4:5]
	s_and_b32 exec_lo, exec_lo, vcc_lo
	s_cbranch_execz .LBB71_121
; %bb.115:
	v_cmp_gt_i64_e32 vcc_lo, s[12:13], v[2:3]
	v_cmp_le_i64_e64 s0, s[18:19], v[2:3]
	v_lshlrev_b64 v[4:5], 1, v[6:7]
	s_delay_alu instid0(VALU_DEP_2) | instskip(NEXT) | instid1(SALU_CYCLE_1)
	s_or_b32 s0, vcc_lo, s0
	s_and_saveexec_b32 s10, s0
	s_delay_alu instid0(SALU_CYCLE_1)
	s_xor_b32 s0, exec_lo, s10
	s_cbranch_execz .LBB71_119
; %bb.116:
	s_delay_alu instid0(VALU_DEP_1)
	v_add_co_u32 v4, vcc_lo, s14, v4
	v_add_co_ci_u32_e32 v5, vcc_lo, s15, v5, vcc_lo
	v_lshlrev_b64 v[6:7], 2, v[2:3]
	s_mov_b32 s10, 0
	global_load_u16 v8, v[4:5], off
	v_add_co_u32 v4, vcc_lo, s20, v6
	v_add_co_ci_u32_e32 v5, vcc_lo, s21, v7, vcc_lo
	ds_load_b32 v6, v14 offset:3072
	global_load_b32 v7, v[4:5], off
	s_waitcnt vmcnt(1)
	v_cvt_f32_f16_e32 v8, v8
	s_waitcnt lgkmcnt(0)
	s_delay_alu instid0(VALU_DEP_1)
	v_mul_f32_e32 v8, v6, v8
.LBB71_117:                             ; =>This Inner Loop Header: Depth=1
	s_waitcnt vmcnt(0)
	s_delay_alu instid0(VALU_DEP_1)
	v_add_f32_e32 v6, v7, v8
	global_atomic_cmpswap_b32 v6, v[4:5], v[6:7], off glc
	s_waitcnt vmcnt(0)
	v_cmp_eq_u32_e32 vcc_lo, v6, v7
	v_mov_b32_e32 v7, v6
	s_or_b32 s10, vcc_lo, s10
	s_delay_alu instid0(SALU_CYCLE_1)
	s_and_not1_b32 exec_lo, exec_lo, s10
	s_cbranch_execnz .LBB71_117
; %bb.118:
	s_or_b32 exec_lo, exec_lo, s10
                                        ; implicit-def: $vgpr4_vgpr5
.LBB71_119:
	s_and_not1_saveexec_b32 s0, s0
	s_cbranch_execz .LBB71_121
; %bb.120:
	v_add_co_u32 v4, vcc_lo, s14, v4
	v_add_co_ci_u32_e32 v5, vcc_lo, s15, v5, vcc_lo
	v_subrev_nc_u32_e32 v6, s12, v2
	global_load_u16 v4, v[4:5], off
	ds_load_b32 v5, v14 offset:3072
	v_lshl_add_u32 v6, v6, 2, 0x1000
	s_waitcnt vmcnt(0)
	v_cvt_f32_f16_e32 v4, v4
	s_waitcnt lgkmcnt(0)
	s_delay_alu instid0(VALU_DEP_1)
	v_mul_f32_e32 v4, v5, v4
	ds_add_f32 v6, v4
.LBB71_121:
	s_or_b32 exec_lo, exec_lo, s7
	v_lshlrev_b64 v[2:3], 1, v[2:3]
	s_delay_alu instid0(VALU_DEP_1) | instskip(NEXT) | instid1(VALU_DEP_2)
	v_add_co_u32 v2, vcc_lo, s14, v2
	v_add_co_ci_u32_e32 v3, vcc_lo, s15, v3, vcc_lo
	global_load_u16 v2, v[2:3], off
	ds_load_b32 v3, v14 offset:3072
	s_waitcnt vmcnt(0)
	v_cvt_f32_f16_e32 v2, v2
	s_waitcnt lgkmcnt(0)
	s_delay_alu instid0(VALU_DEP_1)
	v_mul_f32_e32 v2, v3, v2
	ds_store_b32 v14, v2 offset:3072
.LBB71_122:
	s_or_b32 exec_lo, exec_lo, s1
	v_cmp_lt_i64_e64 s0, s[18:19], s[2:3]
	s_waitcnt lgkmcnt(0)
	s_barrier
	buffer_gl0_inv
	s_and_b32 s0, s0, exec_lo
	s_cselect_b32 s1, s18, s2
	s_cselect_b32 s0, s19, s3
	s_sub_u32 s2, s1, s22
	s_subb_u32 s3, s0, s23
	s_mov_b32 s0, exec_lo
	v_cmpx_gt_i64_e64 s[2:3], v[0:1]
	s_cbranch_execz .LBB71_127
; %bb.123:
	s_lshl_b64 s[10:11], s[12:13], 2
	v_dual_mov_b32 v3, v1 :: v_dual_mov_b32 v2, v0
	s_add_u32 s7, s20, s10
	s_addc_u32 s10, s21, s11
	s_mov_b32 s11, 0
	.p2align	6
.LBB71_124:                             ; =>This Loop Header: Depth=1
                                        ;     Child Loop BB71_125 Depth 2
	s_delay_alu instid0(VALU_DEP_1)
	v_lshlrev_b64 v[4:5], 2, v[2:3]
	v_lshl_add_u32 v6, v2, 2, 0x1000
	s_mov_b32 s12, 0
	ds_load_b32 v8, v6
	v_add_co_u32 v4, vcc_lo, s7, v4
	v_add_co_ci_u32_e32 v5, vcc_lo, s10, v5, vcc_lo
	global_load_b32 v7, v[4:5], off
.LBB71_125:                             ;   Parent Loop BB71_124 Depth=1
                                        ; =>  This Inner Loop Header: Depth=2
	s_waitcnt vmcnt(0) lgkmcnt(0)
	v_add_f32_e32 v6, v7, v8
	global_atomic_cmpswap_b32 v6, v[4:5], v[6:7], off glc
	s_waitcnt vmcnt(0)
	v_cmp_eq_u32_e32 vcc_lo, v6, v7
	v_mov_b32_e32 v7, v6
	s_or_b32 s12, vcc_lo, s12
	s_delay_alu instid0(SALU_CYCLE_1)
	s_and_not1_b32 exec_lo, exec_lo, s12
	s_cbranch_execnz .LBB71_125
; %bb.126:                              ;   in Loop: Header=BB71_124 Depth=1
	s_or_b32 exec_lo, exec_lo, s12
	v_add_co_u32 v2, vcc_lo, 0x100, v2
	v_add_co_ci_u32_e32 v3, vcc_lo, 0, v3, vcc_lo
	s_delay_alu instid0(VALU_DEP_1) | instskip(SKIP_1) | instid1(SALU_CYCLE_1)
	v_cmp_le_i64_e32 vcc_lo, s[2:3], v[2:3]
	s_or_b32 s11, vcc_lo, s11
	s_and_not1_b32 exec_lo, exec_lo, s11
	s_cbranch_execnz .LBB71_124
.LBB71_127:
	s_or_b32 exec_lo, exec_lo, s0
	s_add_i32 s0, s28, -1
	v_add_co_u32 v6, s10, s16, v0
	s_ashr_i32 s3, s0, 1
	v_add_co_ci_u32_e64 v7, null, s17, 0, s10
	s_or_b32 s0, s3, s0
	s_delay_alu instid0(SALU_CYCLE_1) | instskip(SKIP_4) | instid1(SALU_CYCLE_1)
	s_ashr_i32 s3, s0, 2
	s_barrier
	s_or_b32 s0, s3, s0
	buffer_gl0_inv
	s_ashr_i32 s3, s0, 4
	s_or_b32 s0, s3, s0
	s_delay_alu instid0(SALU_CYCLE_1) | instskip(NEXT) | instid1(SALU_CYCLE_1)
	s_ashr_i32 s3, s0, 8
	s_or_b32 s0, s3, s0
	s_delay_alu instid0(SALU_CYCLE_1) | instskip(NEXT) | instid1(SALU_CYCLE_1)
	s_ashr_i32 s3, s0, 16
	s_or_b32 s3, s3, s0
	s_mov_b32 s0, -1
	s_add_i32 s3, s3, 1
	s_delay_alu instid0(SALU_CYCLE_1) | instskip(NEXT) | instid1(SALU_CYCLE_1)
	s_ashr_i32 s7, s3, 1
	s_cmp_gt_i32 s7, 1
	s_cbranch_scc1 .LBB71_138
; %bb.128:
	s_mov_b32 s0, exec_lo
	v_cmpx_gt_i64_e64 s[18:19], v[6:7]
	s_cbranch_execz .LBB71_137
; %bb.129:
	s_sub_i32 s1, s1, s18
	v_dual_mov_b32 v9, v7 :: v_dual_mov_b32 v8, v6
	s_lshl_b32 s11, s4, 2
	s_lshl_b32 s1, s1, 2
	s_mov_b32 s10, 0
	s_addk_i32 s1, 0x1000
	s_sub_i32 s11, 0, s11
.LBB71_130:                             ; =>This Loop Header: Depth=1
                                        ;     Child Loop BB71_132 Depth 2
                                        ;     Child Loop BB71_135 Depth 2
	v_lshlrev_b64 v[2:3], 3, v[8:9]
	v_mov_b32_e32 v12, 0
	s_mov_b32 s12, exec_lo
	s_delay_alu instid0(VALU_DEP_2) | instskip(NEXT) | instid1(VALU_DEP_3)
	v_add_co_u32 v2, vcc_lo, s8, v2
	v_add_co_ci_u32_e32 v3, vcc_lo, s9, v3, vcc_lo
	global_load_b128 v[2:5], v[2:3], off
	s_waitcnt vmcnt(0)
	v_cmpx_lt_i64_e64 v[2:3], v[4:5]
	s_cbranch_execz .LBB71_134
; %bb.131:                              ;   in Loop: Header=BB71_130 Depth=1
	v_sub_co_u32 v4, vcc_lo, v4, s4
	v_subrev_co_ci_u32_e32 v5, vcc_lo, s5, v5, vcc_lo
	v_sub_co_u32 v10, vcc_lo, v2, s4
	v_subrev_co_ci_u32_e32 v11, vcc_lo, s5, v3, vcc_lo
	v_lshl_add_u32 v2, v2, 2, s11
	v_mov_b32_e32 v12, 0
	s_mov_b32 s13, 0
.LBB71_132:                             ;   Parent Loop BB71_130 Depth=1
                                        ; =>  This Inner Loop Header: Depth=2
	ds_load_b32 v3, v2
	v_add_co_u32 v10, vcc_lo, v10, 1
	v_add_co_ci_u32_e32 v11, vcc_lo, 0, v11, vcc_lo
	v_add_nc_u32_e32 v2, 4, v2
	s_delay_alu instid0(VALU_DEP_2)
	v_cmp_ge_i64_e32 vcc_lo, v[10:11], v[4:5]
	s_or_b32 s13, vcc_lo, s13
	s_waitcnt lgkmcnt(0)
	v_add_f32_e32 v12, v12, v3
	s_and_not1_b32 exec_lo, exec_lo, s13
	s_cbranch_execnz .LBB71_132
; %bb.133:                              ;   in Loop: Header=BB71_130 Depth=1
	s_or_b32 exec_lo, exec_lo, s13
.LBB71_134:                             ;   in Loop: Header=BB71_130 Depth=1
	s_delay_alu instid0(SALU_CYCLE_1)
	s_or_b32 exec_lo, exec_lo, s12
	v_lshlrev_b64 v[2:3], 2, v[8:9]
	v_lshl_add_u32 v4, v8, 2, s1
	s_mov_b32 s12, 0
	ds_load_b32 v4, v4
	v_add_co_u32 v2, vcc_lo, s20, v2
	v_add_co_ci_u32_e32 v3, vcc_lo, s21, v3, vcc_lo
	global_load_b32 v5, v[2:3], off
	s_waitcnt lgkmcnt(0)
	v_add_f32_e32 v10, v12, v4
.LBB71_135:                             ;   Parent Loop BB71_130 Depth=1
                                        ; =>  This Inner Loop Header: Depth=2
	s_waitcnt vmcnt(0)
	s_delay_alu instid0(VALU_DEP_1)
	v_add_f32_e32 v4, v5, v10
	global_atomic_cmpswap_b32 v4, v[2:3], v[4:5], off glc
	s_waitcnt vmcnt(0)
	v_cmp_eq_u32_e32 vcc_lo, v4, v5
	v_mov_b32_e32 v5, v4
	s_or_b32 s12, vcc_lo, s12
	s_delay_alu instid0(SALU_CYCLE_1)
	s_and_not1_b32 exec_lo, exec_lo, s12
	s_cbranch_execnz .LBB71_135
; %bb.136:                              ;   in Loop: Header=BB71_130 Depth=1
	s_or_b32 exec_lo, exec_lo, s12
	v_add_co_u32 v8, vcc_lo, v8, s6
	v_add_co_ci_u32_e32 v9, vcc_lo, 0, v9, vcc_lo
	s_delay_alu instid0(VALU_DEP_1) | instskip(SKIP_1) | instid1(SALU_CYCLE_1)
	v_cmp_le_i64_e32 vcc_lo, s[18:19], v[8:9]
	s_or_b32 s10, vcc_lo, s10
	s_and_not1_b32 exec_lo, exec_lo, s10
	s_cbranch_execnz .LBB71_130
.LBB71_137:
	s_or_b32 exec_lo, exec_lo, s0
	s_mov_b32 s0, 0
.LBB71_138:
	s_delay_alu instid0(SALU_CYCLE_1)
	s_and_not1_b32 vcc_lo, exec_lo, s0
	s_cbranch_vccnz .LBB71_167
; %bb.139:
	v_cvt_f32_u32_e32 v13, s7
	s_sub_i32 s1, 0, s7
	v_mov_b32_e32 v11, 0
	s_delay_alu instid0(VALU_DEP_2) | instskip(SKIP_2) | instid1(VALU_DEP_1)
	v_rcp_iflag_f32_e32 v2, v13
	s_waitcnt_depctr 0xfff
	v_mul_f32_e32 v2, 0x4f7ffffe, v2
	v_cvt_u32_f32_e32 v2, v2
	s_delay_alu instid0(VALU_DEP_1) | instskip(NEXT) | instid1(VALU_DEP_1)
	v_mul_lo_u32 v3, s1, v2
	v_mul_hi_u32 v3, v2, v3
	s_delay_alu instid0(VALU_DEP_1) | instskip(NEXT) | instid1(VALU_DEP_1)
	v_add_nc_u32_e32 v2, v2, v3
	v_mul_hi_u32 v2, v0, v2
	s_delay_alu instid0(VALU_DEP_1) | instskip(SKIP_1) | instid1(VALU_DEP_2)
	v_mul_lo_u32 v3, v2, s7
	v_add_nc_u32_e32 v4, 1, v2
	v_sub_nc_u32_e32 v3, v0, v3
	s_delay_alu instid0(VALU_DEP_1) | instskip(SKIP_1) | instid1(VALU_DEP_2)
	v_subrev_nc_u32_e32 v5, s7, v3
	v_cmp_le_u32_e32 vcc_lo, s7, v3
	v_dual_cndmask_b32 v2, v2, v4 :: v_dual_cndmask_b32 v3, v3, v5
	s_delay_alu instid0(VALU_DEP_1) | instskip(NEXT) | instid1(VALU_DEP_2)
	v_add_nc_u32_e32 v4, 1, v2
	v_cmp_le_u32_e32 vcc_lo, s7, v3
	s_delay_alu instid0(VALU_DEP_2) | instskip(NEXT) | instid1(VALU_DEP_1)
	v_cndmask_b32_e32 v10, v2, v4, vcc_lo
	v_lshlrev_b64 v[2:3], 3, v[10:11]
	s_delay_alu instid0(VALU_DEP_1) | instskip(NEXT) | instid1(VALU_DEP_2)
	v_add_co_u32 v2, vcc_lo, s26, v2
	v_add_co_ci_u32_e32 v3, vcc_lo, s27, v3, vcc_lo
	global_load_b128 v[2:5], v[2:3], off
	s_waitcnt vmcnt(0)
	v_sub_co_u32 v8, vcc_lo, v2, s4
	v_subrev_co_ci_u32_e32 v9, vcc_lo, s5, v3, vcc_lo
	v_sub_co_u32 v15, vcc_lo, v4, s4
	v_subrev_co_ci_u32_e32 v16, vcc_lo, s5, v5, vcc_lo
	v_mov_b32_e32 v4, v11
	s_delay_alu instid0(VALU_DEP_3) | instskip(NEXT) | instid1(VALU_DEP_3)
	v_sub_co_u32 v12, vcc_lo, v15, v8
	v_sub_co_ci_u32_e32 v5, vcc_lo, v16, v9, vcc_lo
	s_delay_alu instid0(VALU_DEP_1) | instskip(SKIP_1) | instid1(SALU_CYCLE_1)
	v_cmp_ne_u64_e32 vcc_lo, 0, v[4:5]
                                        ; implicit-def: $vgpr3_vgpr4
	s_and_saveexec_b32 s0, vcc_lo
	s_xor_b32 s5, exec_lo, s0
	s_cbranch_execz .LBB71_141
; %bb.140:
	v_cvt_f32_ubyte0_e32 v3, 0
	s_sub_u32 s0, 0, s7
	s_subb_u32 s6, 0, 0
	s_delay_alu instid0(VALU_DEP_1) | instskip(NEXT) | instid1(VALU_DEP_1)
	v_fmamk_f32 v3, v3, 0x4f800000, v13
	v_rcp_f32_e32 v3, v3
	s_waitcnt_depctr 0xfff
	v_mul_f32_e32 v3, 0x5f7ffffc, v3
	s_delay_alu instid0(VALU_DEP_1) | instskip(NEXT) | instid1(VALU_DEP_1)
	v_mul_f32_e32 v4, 0x2f800000, v3
	v_trunc_f32_e32 v4, v4
	s_delay_alu instid0(VALU_DEP_1) | instskip(SKIP_1) | instid1(VALU_DEP_2)
	v_fmamk_f32 v3, v4, 0xcf800000, v3
	v_cvt_u32_f32_e32 v4, v4
	v_cvt_u32_f32_e32 v3, v3
	s_delay_alu instid0(VALU_DEP_2) | instskip(NEXT) | instid1(VALU_DEP_2)
	v_mul_lo_u32 v13, s0, v4
	v_mul_hi_u32 v17, s0, v3
	v_mul_lo_u32 v18, s6, v3
	s_delay_alu instid0(VALU_DEP_2) | instskip(SKIP_1) | instid1(VALU_DEP_2)
	v_add_nc_u32_e32 v13, v17, v13
	v_mul_lo_u32 v17, s0, v3
	v_add_nc_u32_e32 v13, v13, v18
	s_delay_alu instid0(VALU_DEP_2) | instskip(NEXT) | instid1(VALU_DEP_2)
	v_mul_hi_u32 v18, v3, v17
	v_mul_lo_u32 v19, v3, v13
	v_mul_hi_u32 v20, v3, v13
	v_mul_hi_u32 v21, v4, v17
	v_mul_lo_u32 v17, v4, v17
	v_mul_hi_u32 v22, v4, v13
	v_mul_lo_u32 v13, v4, v13
	v_add_co_u32 v18, vcc_lo, v18, v19
	v_add_co_ci_u32_e32 v19, vcc_lo, 0, v20, vcc_lo
	s_delay_alu instid0(VALU_DEP_2) | instskip(NEXT) | instid1(VALU_DEP_2)
	v_add_co_u32 v17, vcc_lo, v18, v17
	v_add_co_ci_u32_e32 v17, vcc_lo, v19, v21, vcc_lo
	v_add_co_ci_u32_e32 v18, vcc_lo, 0, v22, vcc_lo
	v_ashrrev_i32_e32 v21, 31, v5
	s_delay_alu instid0(VALU_DEP_3) | instskip(NEXT) | instid1(VALU_DEP_3)
	v_add_co_u32 v13, vcc_lo, v17, v13
	v_add_co_ci_u32_e32 v17, vcc_lo, 0, v18, vcc_lo
	s_delay_alu instid0(VALU_DEP_2) | instskip(NEXT) | instid1(VALU_DEP_2)
	v_add_co_u32 v3, vcc_lo, v3, v13
	v_add_co_ci_u32_e32 v4, vcc_lo, v4, v17, vcc_lo
	s_delay_alu instid0(VALU_DEP_2) | instskip(SKIP_1) | instid1(VALU_DEP_3)
	v_mul_hi_u32 v13, s0, v3
	v_mul_lo_u32 v18, s6, v3
	v_mul_lo_u32 v17, s0, v4
	s_delay_alu instid0(VALU_DEP_1) | instskip(SKIP_1) | instid1(VALU_DEP_2)
	v_add_nc_u32_e32 v13, v13, v17
	v_mul_lo_u32 v17, s0, v3
	v_add_nc_u32_e32 v13, v13, v18
	s_delay_alu instid0(VALU_DEP_2) | instskip(NEXT) | instid1(VALU_DEP_2)
	v_mul_hi_u32 v18, v3, v17
	v_mul_lo_u32 v19, v3, v13
	v_mul_hi_u32 v20, v3, v13
	v_mul_hi_u32 v22, v4, v17
	v_mul_lo_u32 v17, v4, v17
	v_mul_hi_u32 v23, v4, v13
	v_mul_lo_u32 v13, v4, v13
	v_add_co_u32 v18, vcc_lo, v18, v19
	v_add_co_ci_u32_e32 v19, vcc_lo, 0, v20, vcc_lo
	s_delay_alu instid0(VALU_DEP_2) | instskip(NEXT) | instid1(VALU_DEP_2)
	v_add_co_u32 v17, vcc_lo, v18, v17
	v_add_co_ci_u32_e32 v17, vcc_lo, v19, v22, vcc_lo
	v_add_co_ci_u32_e32 v18, vcc_lo, 0, v23, vcc_lo
	v_add_co_u32 v12, vcc_lo, v12, v21
	v_add_co_ci_u32_e32 v5, vcc_lo, v5, v21, vcc_lo
	s_delay_alu instid0(VALU_DEP_4) | instskip(NEXT) | instid1(VALU_DEP_4)
	v_add_co_u32 v13, vcc_lo, v17, v13
	v_add_co_ci_u32_e32 v17, vcc_lo, 0, v18, vcc_lo
	s_delay_alu instid0(VALU_DEP_4) | instskip(NEXT) | instid1(VALU_DEP_3)
	v_xor_b32_e32 v19, v12, v21
	v_add_co_u32 v18, vcc_lo, v3, v13
	s_delay_alu instid0(VALU_DEP_3) | instskip(SKIP_1) | instid1(VALU_DEP_3)
	v_add_co_ci_u32_e32 v20, vcc_lo, v4, v17, vcc_lo
	v_xor_b32_e32 v5, v5, v21
	v_mul_hi_u32 v22, v19, v18
	s_delay_alu instid0(VALU_DEP_3) | instskip(NEXT) | instid1(VALU_DEP_3)
	v_mad_u64_u32 v[3:4], null, v19, v20, 0
	v_mad_u64_u32 v[12:13], null, v5, v18, 0
	;; [unrolled: 1-line block ×3, first 2 shown]
	s_delay_alu instid0(VALU_DEP_3) | instskip(NEXT) | instid1(VALU_DEP_4)
	v_add_co_u32 v3, vcc_lo, v22, v3
	v_add_co_ci_u32_e32 v4, vcc_lo, 0, v4, vcc_lo
	s_delay_alu instid0(VALU_DEP_2) | instskip(NEXT) | instid1(VALU_DEP_2)
	v_add_co_u32 v3, vcc_lo, v3, v12
	v_add_co_ci_u32_e32 v3, vcc_lo, v4, v13, vcc_lo
	v_add_co_ci_u32_e32 v4, vcc_lo, 0, v18, vcc_lo
	s_delay_alu instid0(VALU_DEP_2) | instskip(NEXT) | instid1(VALU_DEP_2)
	v_add_co_u32 v17, vcc_lo, v3, v17
	v_add_co_ci_u32_e32 v18, vcc_lo, 0, v4, vcc_lo
	s_delay_alu instid0(VALU_DEP_2) | instskip(NEXT) | instid1(VALU_DEP_1)
	v_mad_u64_u32 v[3:4], null, s7, v17, 0
	v_mad_u64_u32 v[12:13], null, s7, v18, v[4:5]
	s_delay_alu instid0(VALU_DEP_2) | instskip(NEXT) | instid1(VALU_DEP_2)
	v_sub_co_u32 v3, vcc_lo, v19, v3
	v_sub_co_ci_u32_e32 v4, vcc_lo, v5, v12, vcc_lo
	s_delay_alu instid0(VALU_DEP_2) | instskip(NEXT) | instid1(VALU_DEP_2)
	v_sub_co_u32 v5, vcc_lo, v3, s7
	v_subrev_co_ci_u32_e32 v12, vcc_lo, 0, v4, vcc_lo
	s_delay_alu instid0(VALU_DEP_2)
	v_cmp_le_u32_e32 vcc_lo, s7, v5
	v_cmp_eq_u32_e64 s0, 0, v4
	v_cndmask_b32_e64 v5, 0, -1, vcc_lo
	v_add_co_u32 v13, vcc_lo, v17, 2
	v_add_co_ci_u32_e32 v19, vcc_lo, 0, v18, vcc_lo
	v_cmp_le_u32_e32 vcc_lo, s7, v3
	v_cndmask_b32_e64 v3, 0, -1, vcc_lo
	v_cmp_eq_u32_e32 vcc_lo, 0, v12
	s_delay_alu instid0(VALU_DEP_2) | instskip(SKIP_3) | instid1(VALU_DEP_3)
	v_cndmask_b32_e64 v3, -1, v3, s0
	v_cndmask_b32_e32 v5, -1, v5, vcc_lo
	v_add_co_u32 v12, vcc_lo, v17, 1
	v_add_co_ci_u32_e32 v20, vcc_lo, 0, v18, vcc_lo
	v_cmp_ne_u32_e32 vcc_lo, 0, v5
	s_delay_alu instid0(VALU_DEP_2) | instskip(NEXT) | instid1(VALU_DEP_4)
	v_cndmask_b32_e32 v4, v20, v19, vcc_lo
	v_cndmask_b32_e32 v5, v12, v13, vcc_lo
	v_cmp_ne_u32_e32 vcc_lo, 0, v3
                                        ; implicit-def: $vgpr12
	s_delay_alu instid0(VALU_DEP_2) | instskip(NEXT) | instid1(VALU_DEP_1)
	v_dual_cndmask_b32 v3, v18, v4 :: v_dual_cndmask_b32 v4, v17, v5
	v_xor_b32_e32 v5, v3, v21
	s_delay_alu instid0(VALU_DEP_2) | instskip(NEXT) | instid1(VALU_DEP_1)
	v_xor_b32_e32 v4, v4, v21
	v_sub_co_u32 v3, vcc_lo, v4, v21
	s_delay_alu instid0(VALU_DEP_3)
	v_sub_co_ci_u32_e32 v4, vcc_lo, v5, v21, vcc_lo
.LBB71_141:
	s_and_not1_saveexec_b32 s0, s5
	s_cbranch_execz .LBB71_143
; %bb.142:
	v_cvt_f32_u32_e32 v3, s7
	s_delay_alu instid0(VALU_DEP_1) | instskip(SKIP_2) | instid1(VALU_DEP_1)
	v_rcp_iflag_f32_e32 v3, v3
	s_waitcnt_depctr 0xfff
	v_mul_f32_e32 v3, 0x4f7ffffe, v3
	v_cvt_u32_f32_e32 v3, v3
	s_delay_alu instid0(VALU_DEP_1) | instskip(NEXT) | instid1(VALU_DEP_1)
	v_mul_lo_u32 v4, s1, v3
	v_mul_hi_u32 v4, v3, v4
	s_delay_alu instid0(VALU_DEP_1) | instskip(NEXT) | instid1(VALU_DEP_1)
	v_add_nc_u32_e32 v3, v3, v4
	v_mul_hi_u32 v3, v12, v3
	s_delay_alu instid0(VALU_DEP_1) | instskip(SKIP_1) | instid1(VALU_DEP_2)
	v_mul_lo_u32 v4, v3, s7
	v_add_nc_u32_e32 v5, 1, v3
	v_sub_nc_u32_e32 v4, v12, v4
	s_delay_alu instid0(VALU_DEP_1) | instskip(SKIP_1) | instid1(VALU_DEP_2)
	v_subrev_nc_u32_e32 v12, s7, v4
	v_cmp_le_u32_e32 vcc_lo, s7, v4
	v_dual_cndmask_b32 v4, v4, v12 :: v_dual_cndmask_b32 v3, v3, v5
	s_delay_alu instid0(VALU_DEP_1) | instskip(NEXT) | instid1(VALU_DEP_2)
	v_cmp_le_u32_e32 vcc_lo, s7, v4
	v_dual_mov_b32 v4, 0 :: v_dual_add_nc_u32 v5, 1, v3
	s_delay_alu instid0(VALU_DEP_1)
	v_cndmask_b32_e32 v3, v3, v5, vcc_lo
.LBB71_143:
	s_or_b32 exec_lo, exec_lo, s0
	v_mov_b32_e32 v5, 0
	s_mov_b32 s5, exec_lo
	v_cmpx_gt_i64_e64 s[22:23], v[10:11]
	s_cbranch_execz .LBB71_157
; %bb.144:
	s_add_i32 s0, s7, -1
	s_mov_b32 s6, exec_lo
	v_dual_mov_b32 v5, 0 :: v_dual_and_b32 v10, s0, v0
	v_cmpx_lt_i64_e32 0, v[3:4]
	s_cbranch_execz .LBB71_154
; %bb.145:
	v_mov_b32_e32 v11, 0
	v_dual_mov_b32 v12, 0 :: v_dual_mov_b32 v5, 0
	s_mov_b32 s8, exec_lo
	v_cmpx_lt_u64_e32 3, v[3:4]
	s_cbranch_execz .LBB71_149
; %bb.146:
	v_lshlrev_b32_e32 v5, 2, v2
	s_lshl_b32 s0, s7, 2
	s_lshl_b32 s1, s4, 2
	v_and_b32_e32 v12, 0x7fffffff, v4
	v_and_b32_e32 v11, -4, v3
	v_lshl_add_u32 v13, v10, 2, v5
	v_mov_b32_e32 v5, 0
	s_sub_i32 s9, s0, s1
	s_lshl_b32 s0, s7, 3
	s_mul_i32 s12, s7, 12
	s_lshl_b32 s10, s7, 4
	s_sub_i32 s11, s0, s1
	s_sub_i32 s12, s12, s1
	s_mov_b32 s13, 0
	s_sub_i32 s14, 0, s1
	s_mov_b64 s[0:1], 0
	.p2align	6
.LBB71_147:                             ; =>This Inner Loop Header: Depth=1
	v_add_nc_u32_e32 v17, s14, v13
	v_add_nc_u32_e32 v18, s9, v13
	;; [unrolled: 1-line block ×3, first 2 shown]
	s_add_u32 s0, s0, 4
	s_addc_u32 s1, s1, 0
	ds_load_b32 v17, v17
	ds_load_b32 v18, v18
	v_cmp_eq_u64_e32 vcc_lo, s[0:1], v[11:12]
	s_or_b32 s13, vcc_lo, s13
	s_waitcnt lgkmcnt(1)
	v_add_f32_e32 v5, v5, v17
	v_add_nc_u32_e32 v20, s12, v13
	v_add_nc_u32_e32 v13, s10, v13
	s_waitcnt lgkmcnt(0)
	s_delay_alu instid0(VALU_DEP_3)
	v_add_f32_e32 v5, v5, v18
	ds_load_b32 v19, v19
	ds_load_b32 v20, v20
	s_waitcnt lgkmcnt(1)
	v_add_f32_e32 v5, v5, v19
	s_waitcnt lgkmcnt(0)
	s_delay_alu instid0(VALU_DEP_1)
	v_add_f32_e32 v5, v5, v20
	s_and_not1_b32 exec_lo, exec_lo, s13
	s_cbranch_execnz .LBB71_147
; %bb.148:
	s_or_b32 exec_lo, exec_lo, s13
.LBB71_149:
	s_delay_alu instid0(SALU_CYCLE_1) | instskip(SKIP_2) | instid1(VALU_DEP_1)
	s_or_b32 exec_lo, exec_lo, s8
	v_dual_mov_b32 v13, 0 :: v_dual_and_b32 v12, 3, v3
	s_mov_b32 s0, exec_lo
	v_cmpx_ne_u64_e32 0, v[12:13]
	s_cbranch_execz .LBB71_153
; %bb.150:
	v_mul_lo_u32 v11, s7, v11
	s_mov_b32 s1, 0
	s_delay_alu instid0(VALU_DEP_1) | instskip(NEXT) | instid1(VALU_DEP_1)
	v_add3_u32 v2, v10, v11, v2
	v_subrev_nc_u32_e32 v2, s4, v2
	s_lshl_b32 s4, s7, 2
	s_delay_alu instid0(VALU_DEP_1)
	v_lshlrev_b32_e32 v2, 2, v2
.LBB71_151:                             ; =>This Inner Loop Header: Depth=1
	ds_load_b32 v11, v2
	v_add_co_u32 v12, vcc_lo, v12, -1
	v_add_co_ci_u32_e32 v13, vcc_lo, -1, v13, vcc_lo
	v_add_nc_u32_e32 v2, s4, v2
	s_delay_alu instid0(VALU_DEP_2)
	v_cmp_eq_u64_e32 vcc_lo, 0, v[12:13]
	s_or_b32 s1, vcc_lo, s1
	s_waitcnt lgkmcnt(0)
	v_add_f32_e32 v5, v5, v11
	s_and_not1_b32 exec_lo, exec_lo, s1
	s_cbranch_execnz .LBB71_151
; %bb.152:
	s_or_b32 exec_lo, exec_lo, s1
.LBB71_153:
	s_delay_alu instid0(SALU_CYCLE_1)
	s_or_b32 exec_lo, exec_lo, s0
.LBB71_154:
	s_delay_alu instid0(SALU_CYCLE_1) | instskip(SKIP_3) | instid1(VALU_DEP_2)
	s_or_b32 exec_lo, exec_lo, s6
	v_mad_u64_u32 v[12:13], null, v3, s7, v[8:9]
	v_mov_b32_e32 v11, 0
	s_mov_b32 s0, exec_lo
	v_mov_b32_e32 v2, v13
	s_delay_alu instid0(VALU_DEP_1) | instskip(NEXT) | instid1(VALU_DEP_4)
	v_mad_u64_u32 v[8:9], null, v4, s7, v[2:3]
	v_sub_co_u32 v2, vcc_lo, v15, v12
	s_delay_alu instid0(VALU_DEP_2) | instskip(NEXT) | instid1(VALU_DEP_1)
	v_mov_b32_e32 v3, v8
	v_sub_co_ci_u32_e32 v3, vcc_lo, v16, v3, vcc_lo
	s_delay_alu instid0(VALU_DEP_1)
	v_cmpx_gt_i64_e64 v[2:3], v[10:11]
	s_cbranch_execz .LBB71_156
; %bb.155:
	v_add_lshl_u32 v2, v10, v12, 2
	ds_load_b32 v2, v2
	s_waitcnt lgkmcnt(0)
	v_add_f32_e32 v5, v5, v2
.LBB71_156:
	s_or_b32 exec_lo, exec_lo, s0
.LBB71_157:
	s_delay_alu instid0(SALU_CYCLE_1)
	s_or_b32 exec_lo, exec_lo, s5
	s_barrier
	buffer_gl0_inv
	ds_store_b32 v14, v5
	s_waitcnt lgkmcnt(0)
	s_barrier
	buffer_gl0_inv
	s_mov_b32 s0, exec_lo
	v_cmpx_gt_i64_e64 s[22:23], v[0:1]
	s_cbranch_execz .LBB71_167
; %bb.158:
	v_mul_lo_u32 v1, s7, v0
	s_cmp_lt_u32 s7, 8
	s_cbranch_scc1 .LBB71_161
; %bb.159:
	s_delay_alu instid0(VALU_DEP_1)
	v_dual_mov_b32 v3, 0 :: v_dual_lshlrev_b32 v2, 2, v1
	s_and_b32 s0, s7, 0x7ffffff8
	s_mov_b32 s1, 0
	.p2align	6
.LBB71_160:                             ; =>This Inner Loop Header: Depth=1
	ds_load_2addr_b32 v[4:5], v2 offset1:1
	ds_load_2addr_b32 v[8:9], v2 offset0:2 offset1:3
	ds_load_2addr_b32 v[10:11], v2 offset0:4 offset1:5
	;; [unrolled: 1-line block ×3, first 2 shown]
	s_add_i32 s1, s1, 8
	v_add_nc_u32_e32 v2, 32, v2
	s_cmp_eq_u32 s0, s1
	s_waitcnt lgkmcnt(3)
	v_add_f32_e32 v3, v3, v4
	s_delay_alu instid0(VALU_DEP_1) | instskip(SKIP_1) | instid1(VALU_DEP_1)
	v_add_f32_e32 v3, v3, v5
	s_waitcnt lgkmcnt(2)
	v_add_f32_e32 v3, v3, v8
	s_delay_alu instid0(VALU_DEP_1) | instskip(SKIP_1) | instid1(VALU_DEP_1)
	v_add_f32_e32 v3, v3, v9
	;; [unrolled: 4-line block ×3, first 2 shown]
	s_waitcnt lgkmcnt(0)
	v_add_f32_e32 v3, v3, v12
	s_delay_alu instid0(VALU_DEP_1)
	v_add_f32_e32 v3, v3, v13
	s_cbranch_scc0 .LBB71_160
	s_branch .LBB71_162
.LBB71_161:
	v_mov_b32_e32 v3, 0
	s_mov_b32 s0, 0
.LBB71_162:
	s_bfe_u32 s1, s3, 0x30001
	s_delay_alu instid0(SALU_CYCLE_1)
	s_cmp_eq_u32 s1, 0
	s_cbranch_scc1 .LBB71_165
; %bb.163:
	v_add_lshl_u32 v1, s0, v1, 2
.LBB71_164:                             ; =>This Inner Loop Header: Depth=1
	ds_load_b32 v2, v1
	v_add_nc_u32_e32 v1, 4, v1
	s_add_i32 s1, s1, -1
	s_delay_alu instid0(SALU_CYCLE_1)
	s_cmp_lg_u32 s1, 0
	s_waitcnt lgkmcnt(0)
	v_add_f32_e32 v3, v3, v2
	s_cbranch_scc1 .LBB71_164
.LBB71_165:
	v_lshlrev_b64 v[1:2], 2, v[6:7]
	v_lshlrev_b32_e32 v0, 2, v0
	s_lshl_b32 s0, s2, 2
	s_delay_alu instid0(VALU_DEP_1) | instid1(SALU_CYCLE_1)
	v_add3_u32 v0, 0x1000, s0, v0
	s_delay_alu instid0(VALU_DEP_3) | instskip(NEXT) | instid1(VALU_DEP_4)
	v_add_co_u32 v1, vcc_lo, s20, v1
	v_add_co_ci_u32_e32 v2, vcc_lo, s21, v2, vcc_lo
	ds_load_b32 v0, v0
	s_mov_b32 s0, 0
	global_load_b32 v4, v[1:2], off
	s_waitcnt lgkmcnt(0)
	v_add_f32_e32 v0, v3, v0
.LBB71_166:                             ; =>This Inner Loop Header: Depth=1
	s_waitcnt vmcnt(0)
	s_delay_alu instid0(VALU_DEP_1)
	v_add_f32_e32 v3, v4, v0
	global_atomic_cmpswap_b32 v3, v[1:2], v[3:4], off glc
	s_waitcnt vmcnt(0)
	v_cmp_eq_u32_e32 vcc_lo, v3, v4
	v_mov_b32_e32 v4, v3
	s_or_b32 s0, vcc_lo, s0
	s_delay_alu instid0(SALU_CYCLE_1)
	s_and_not1_b32 exec_lo, exec_lo, s0
	s_cbranch_execnz .LBB71_166
.LBB71_167:
	s_endpgm
	.section	.rodata,"a",@progbits
	.p2align	6, 0x0
	.amdhsa_kernel _ZN9rocsparseL27csrmvn_symm_adaptive_kernelIllDF16_DF16_ffEEvbT_S1_PKS1_NS_24const_host_device_scalarIT4_EES3_PKT0_PKT1_PKT2_S6_PT3_21rocsparse_index_base_b
		.amdhsa_group_segment_fixed_size 4096
		.amdhsa_private_segment_fixed_size 0
		.amdhsa_kernarg_size 352
		.amdhsa_user_sgpr_count 15
		.amdhsa_user_sgpr_dispatch_ptr 0
		.amdhsa_user_sgpr_queue_ptr 0
		.amdhsa_user_sgpr_kernarg_segment_ptr 1
		.amdhsa_user_sgpr_dispatch_id 0
		.amdhsa_user_sgpr_private_segment_size 0
		.amdhsa_wavefront_size32 1
		.amdhsa_uses_dynamic_stack 0
		.amdhsa_enable_private_segment 0
		.amdhsa_system_sgpr_workgroup_id_x 1
		.amdhsa_system_sgpr_workgroup_id_y 0
		.amdhsa_system_sgpr_workgroup_id_z 0
		.amdhsa_system_sgpr_workgroup_info 0
		.amdhsa_system_vgpr_workitem_id 0
		.amdhsa_next_free_vgpr 24
		.amdhsa_next_free_sgpr 41
		.amdhsa_reserve_vcc 1
		.amdhsa_float_round_mode_32 0
		.amdhsa_float_round_mode_16_64 0
		.amdhsa_float_denorm_mode_32 3
		.amdhsa_float_denorm_mode_16_64 3
		.amdhsa_dx10_clamp 1
		.amdhsa_ieee_mode 1
		.amdhsa_fp16_overflow 0
		.amdhsa_workgroup_processor_mode 1
		.amdhsa_memory_ordered 1
		.amdhsa_forward_progress 0
		.amdhsa_shared_vgpr_count 0
		.amdhsa_exception_fp_ieee_invalid_op 0
		.amdhsa_exception_fp_denorm_src 0
		.amdhsa_exception_fp_ieee_div_zero 0
		.amdhsa_exception_fp_ieee_overflow 0
		.amdhsa_exception_fp_ieee_underflow 0
		.amdhsa_exception_fp_ieee_inexact 0
		.amdhsa_exception_int_div_zero 0
	.end_amdhsa_kernel
	.section	.text._ZN9rocsparseL27csrmvn_symm_adaptive_kernelIllDF16_DF16_ffEEvbT_S1_PKS1_NS_24const_host_device_scalarIT4_EES3_PKT0_PKT1_PKT2_S6_PT3_21rocsparse_index_base_b,"axG",@progbits,_ZN9rocsparseL27csrmvn_symm_adaptive_kernelIllDF16_DF16_ffEEvbT_S1_PKS1_NS_24const_host_device_scalarIT4_EES3_PKT0_PKT1_PKT2_S6_PT3_21rocsparse_index_base_b,comdat
.Lfunc_end71:
	.size	_ZN9rocsparseL27csrmvn_symm_adaptive_kernelIllDF16_DF16_ffEEvbT_S1_PKS1_NS_24const_host_device_scalarIT4_EES3_PKT0_PKT1_PKT2_S6_PT3_21rocsparse_index_base_b, .Lfunc_end71-_ZN9rocsparseL27csrmvn_symm_adaptive_kernelIllDF16_DF16_ffEEvbT_S1_PKS1_NS_24const_host_device_scalarIT4_EES3_PKT0_PKT1_PKT2_S6_PT3_21rocsparse_index_base_b
                                        ; -- End function
	.section	.AMDGPU.csdata,"",@progbits
; Kernel info:
; codeLenInByte = 9484
; NumSgprs: 43
; NumVgprs: 24
; ScratchSize: 0
; MemoryBound: 0
; FloatMode: 240
; IeeeMode: 1
; LDSByteSize: 4096 bytes/workgroup (compile time only)
; SGPRBlocks: 5
; VGPRBlocks: 2
; NumSGPRsForWavesPerEU: 43
; NumVGPRsForWavesPerEU: 24
; Occupancy: 16
; WaveLimiterHint : 1
; COMPUTE_PGM_RSRC2:SCRATCH_EN: 0
; COMPUTE_PGM_RSRC2:USER_SGPR: 15
; COMPUTE_PGM_RSRC2:TRAP_HANDLER: 0
; COMPUTE_PGM_RSRC2:TGID_X_EN: 1
; COMPUTE_PGM_RSRC2:TGID_Y_EN: 0
; COMPUTE_PGM_RSRC2:TGID_Z_EN: 0
; COMPUTE_PGM_RSRC2:TIDIG_COMP_CNT: 0
	.section	.text._ZL33csrmvn_symm_large_adaptive_kernelIllDF16_DF16_ffEvbT_PKS0_N9rocsparse24const_host_device_scalarIT4_EES2_PKT0_PKT1_PKT2_S6_PT3_21rocsparse_index_base_b,"axG",@progbits,_ZL33csrmvn_symm_large_adaptive_kernelIllDF16_DF16_ffEvbT_PKS0_N9rocsparse24const_host_device_scalarIT4_EES2_PKT0_PKT1_PKT2_S6_PT3_21rocsparse_index_base_b,comdat
	.globl	_ZL33csrmvn_symm_large_adaptive_kernelIllDF16_DF16_ffEvbT_PKS0_N9rocsparse24const_host_device_scalarIT4_EES2_PKT0_PKT1_PKT2_S6_PT3_21rocsparse_index_base_b ; -- Begin function _ZL33csrmvn_symm_large_adaptive_kernelIllDF16_DF16_ffEvbT_PKS0_N9rocsparse24const_host_device_scalarIT4_EES2_PKT0_PKT1_PKT2_S6_PT3_21rocsparse_index_base_b
	.p2align	8
	.type	_ZL33csrmvn_symm_large_adaptive_kernelIllDF16_DF16_ffEvbT_PKS0_N9rocsparse24const_host_device_scalarIT4_EES2_PKT0_PKT1_PKT2_S6_PT3_21rocsparse_index_base_b,@function
_ZL33csrmvn_symm_large_adaptive_kernelIllDF16_DF16_ffEvbT_PKS0_N9rocsparse24const_host_device_scalarIT4_EES2_PKT0_PKT1_PKT2_S6_PT3_21rocsparse_index_base_b: ; @_ZL33csrmvn_symm_large_adaptive_kernelIllDF16_DF16_ffEvbT_PKS0_N9rocsparse24const_host_device_scalarIT4_EES2_PKT0_PKT1_PKT2_S6_PT3_21rocsparse_index_base_b
; %bb.0:
	s_clause 0x2
	s_load_b64 s[6:7], s[0:1], 0x50
	s_load_b64 s[20:21], s[0:1], 0x18
	;; [unrolled: 1-line block ×3, first 2 shown]
	s_mov_b32 s2, s15
	s_waitcnt lgkmcnt(0)
	s_bitcmp1_b32 s7, 0
	s_cselect_b32 s3, -1, 0
	s_delay_alu instid0(SALU_CYCLE_1)
	s_and_b32 vcc_lo, exec_lo, s3
	s_xor_b32 s3, s3, -1
	s_cbranch_vccnz .LBB72_2
; %bb.1:
	s_load_b32 s20, s[20:21], 0x0
.LBB72_2:
	s_and_not1_b32 vcc_lo, exec_lo, s3
	s_cbranch_vccnz .LBB72_4
; %bb.3:
	s_load_b32 s4, s[4:5], 0x0
.LBB72_4:
	s_waitcnt lgkmcnt(0)
	v_cmp_neq_f32_e64 s3, s20, 0
	v_cmp_neq_f32_e64 s4, s4, 1.0
	s_delay_alu instid0(VALU_DEP_1) | instskip(NEXT) | instid1(SALU_CYCLE_1)
	s_or_b32 s3, s3, s4
	s_and_not1_b32 vcc_lo, exec_lo, s3
	s_cbranch_vccnz .LBB72_38
; %bb.5:
	s_load_b64 s[4:5], s[0:1], 0x10
	s_ashr_i32 s3, s2, 31
	v_dual_mov_b32 v1, 0 :: v_dual_lshlrev_b32 v6, 2, v0
	s_lshl_b64 s[2:3], s[2:3], 3
	ds_store_2addr_stride64_b32 v6, v1, v1 offset1:4
	ds_store_2addr_stride64_b32 v6, v1, v1 offset0:8 offset1:12
	s_waitcnt lgkmcnt(0)
	s_barrier
	buffer_gl0_inv
	s_add_u32 s2, s4, s2
	s_addc_u32 s3, s5, s3
	s_load_b128 s[16:19], s[2:3], 0x0
	s_clause 0x1
	s_load_b256 s[8:15], s[0:1], 0x20
	s_load_b64 s[22:23], s[0:1], 0x48
	v_sub_co_u32 v7, s1, v0, s6
	s_delay_alu instid0(VALU_DEP_1) | instskip(SKIP_2) | instid1(VALU_DEP_1)
	v_sub_co_ci_u32_e64 v8, null, 0, 0, s1
	s_waitcnt lgkmcnt(0)
	v_cmp_lt_i64_e64 s0, s[16:17], s[18:19]
	s_and_b32 vcc_lo, exec_lo, s0
	s_cbranch_vccnz .LBB72_7
; %bb.6:
	s_lshl_b64 s[0:1], s[16:17], 3
	s_delay_alu instid0(SALU_CYCLE_1)
	s_add_u32 s0, s8, s0
	s_addc_u32 s1, s9, s1
	s_load_b64 s[24:25], s[0:1], 0x0
	s_cbranch_execz .LBB72_8
	s_branch .LBB72_28
.LBB72_7:
                                        ; implicit-def: $sgpr24_sgpr25
.LBB72_8:
	s_lshl_b64 s[0:1], s[16:17], 3
	v_cmp_gt_u32_e64 s2, 16, v0
	s_add_u32 s0, s8, s0
	s_addc_u32 s1, s9, s1
	v_cmp_gt_u32_e64 s3, 4, v0
	s_waitcnt lgkmcnt(0)
	s_load_b64 s[24:25], s[0:1], 0x0
	v_cmp_gt_u32_e64 s0, 0x100, v0
	v_cmp_gt_u32_e64 s1, 64, v0
	v_cmp_eq_u32_e64 s4, 0, v0
	v_mov_b32_e32 v9, 0
	s_add_u32 s7, s8, 8
	s_addc_u32 s21, s9, 0
	s_mov_b64 s[26:27], s[16:17]
	s_waitcnt lgkmcnt(0)
	s_mov_b64 s[28:29], s[24:25]
	s_branch .LBB72_10
.LBB72_9:                               ;   in Loop: Header=BB72_10 Depth=1
	s_or_b32 exec_lo, exec_lo, s5
	s_add_u32 s26, s26, 1
	s_addc_u32 s27, s27, 0
	s_delay_alu instid0(SALU_CYCLE_1) | instskip(NEXT) | instid1(VALU_DEP_1)
	v_cmp_ge_i64_e64 s5, s[26:27], s[18:19]
	s_and_b32 vcc_lo, exec_lo, s5
	s_cbranch_vccnz .LBB72_28
.LBB72_10:                              ; =>This Loop Header: Depth=1
                                        ;     Child Loop BB72_12 Depth 2
                                        ;     Child Loop BB72_27 Depth 2
	s_lshl_b64 s[30:31], s[26:27], 3
	s_mov_b64 s[34:35], s[28:29]
	s_add_u32 s30, s7, s30
	s_addc_u32 s31, s21, s31
	v_add_co_u32 v0, vcc_lo, s34, v7
	s_load_b64 s[28:29], s[30:31], 0x0
	v_add_co_ci_u32_e32 v1, vcc_lo, s35, v8, vcc_lo
	v_mov_b32_e32 v10, 0
	s_mov_b32 s33, exec_lo
	s_waitcnt lgkmcnt(0)
	s_sub_u32 s30, s28, s6
	s_subb_u32 s31, s29, 0
	s_delay_alu instid0(SALU_CYCLE_1)
	v_cmpx_gt_i64_e64 s[30:31], v[0:1]
	s_cbranch_execz .LBB72_14
; %bb.11:                               ;   in Loop: Header=BB72_10 Depth=1
	v_lshlrev_b64 v[2:3], 3, v[0:1]
	v_lshlrev_b64 v[4:5], 1, v[0:1]
	v_mov_b32_e32 v10, 0
	s_mov_b32 s34, 0
	s_delay_alu instid0(VALU_DEP_3) | instskip(NEXT) | instid1(VALU_DEP_4)
	v_add_co_u32 v2, vcc_lo, s10, v2
	v_add_co_ci_u32_e32 v3, vcc_lo, s11, v3, vcc_lo
	s_delay_alu instid0(VALU_DEP_4)
	v_add_co_u32 v4, vcc_lo, s12, v4
	v_add_co_ci_u32_e32 v5, vcc_lo, s13, v5, vcc_lo
	s_set_inst_prefetch_distance 0x1
	.p2align	6
.LBB72_12:                              ;   Parent Loop BB72_10 Depth=1
                                        ; =>  This Inner Loop Header: Depth=2
	global_load_b64 v[11:12], v[2:3], off
	s_waitcnt vmcnt(0)
	v_sub_co_u32 v11, vcc_lo, v11, s6
	v_subrev_co_ci_u32_e32 v12, vcc_lo, 0, v12, vcc_lo
	s_delay_alu instid0(VALU_DEP_1) | instskip(NEXT) | instid1(VALU_DEP_1)
	v_lshlrev_b64 v[11:12], 1, v[11:12]
	v_add_co_u32 v11, vcc_lo, s14, v11
	s_delay_alu instid0(VALU_DEP_2)
	v_add_co_ci_u32_e32 v12, vcc_lo, s15, v12, vcc_lo
	v_add_co_u32 v0, vcc_lo, 0x100, v0
	global_load_u16 v13, v[4:5], off
	global_load_u16 v11, v[11:12], off
	v_add_co_ci_u32_e32 v1, vcc_lo, 0, v1, vcc_lo
	v_add_co_u32 v2, vcc_lo, 0x800, v2
	v_add_co_ci_u32_e32 v3, vcc_lo, 0, v3, vcc_lo
	s_delay_alu instid0(VALU_DEP_3) | instskip(SKIP_1) | instid1(VALU_DEP_1)
	v_cmp_le_i64_e32 vcc_lo, s[30:31], v[0:1]
	v_add_co_u32 v4, s5, 0x200, v4
	v_add_co_ci_u32_e64 v5, s5, 0, v5, s5
	s_or_b32 s34, vcc_lo, s34
	s_waitcnt vmcnt(0)
	v_fma_mix_f32 v10, v13, v11, v10 op_sel_hi:[1,1,0]
	s_and_not1_b32 exec_lo, exec_lo, s34
	s_cbranch_execnz .LBB72_12
; %bb.13:                               ;   in Loop: Header=BB72_10 Depth=1
	s_set_inst_prefetch_distance 0x2
	s_or_b32 exec_lo, exec_lo, s34
.LBB72_14:                              ;   in Loop: Header=BB72_10 Depth=1
	s_delay_alu instid0(SALU_CYCLE_1)
	s_or_b32 exec_lo, exec_lo, s33
	ds_store_b32 v6, v10
	s_waitcnt lgkmcnt(0)
	s_barrier
	buffer_gl0_inv
	s_and_saveexec_b32 s5, s0
	s_cbranch_execz .LBB72_16
; %bb.15:                               ;   in Loop: Header=BB72_10 Depth=1
	ds_load_2addr_stride64_b32 v[0:1], v6 offset1:4
	ds_load_2addr_stride64_b32 v[2:3], v6 offset0:8 offset1:12
	s_waitcnt lgkmcnt(0)
	v_add_f32_e32 v1, v1, v2
	s_delay_alu instid0(VALU_DEP_1) | instskip(NEXT) | instid1(VALU_DEP_1)
	v_add_f32_e32 v1, v1, v3
	v_add_f32_e32 v0, v0, v1
	ds_store_b32 v6, v0
.LBB72_16:                              ;   in Loop: Header=BB72_10 Depth=1
	s_or_b32 exec_lo, exec_lo, s5
	s_waitcnt lgkmcnt(0)
	s_barrier
	buffer_gl0_inv
	s_and_saveexec_b32 s5, s1
	s_cbranch_execz .LBB72_18
; %bb.17:                               ;   in Loop: Header=BB72_10 Depth=1
	ds_load_2addr_stride64_b32 v[0:1], v6 offset1:1
	ds_load_2addr_stride64_b32 v[2:3], v6 offset0:2 offset1:3
	s_waitcnt lgkmcnt(0)
	v_add_f32_e32 v1, v1, v2
	s_delay_alu instid0(VALU_DEP_1) | instskip(NEXT) | instid1(VALU_DEP_1)
	v_add_f32_e32 v1, v1, v3
	v_add_f32_e32 v0, v0, v1
	ds_store_b32 v6, v0
.LBB72_18:                              ;   in Loop: Header=BB72_10 Depth=1
	s_or_b32 exec_lo, exec_lo, s5
	s_waitcnt lgkmcnt(0)
	s_barrier
	buffer_gl0_inv
	s_and_saveexec_b32 s5, s2
	s_cbranch_execz .LBB72_20
; %bb.19:                               ;   in Loop: Header=BB72_10 Depth=1
	ds_load_2addr_b32 v[0:1], v6 offset1:16
	ds_load_2addr_b32 v[2:3], v6 offset0:32 offset1:48
	s_waitcnt lgkmcnt(0)
	v_add_f32_e32 v1, v1, v2
	s_delay_alu instid0(VALU_DEP_1) | instskip(NEXT) | instid1(VALU_DEP_1)
	v_add_f32_e32 v1, v1, v3
	v_add_f32_e32 v0, v0, v1
	ds_store_b32 v6, v0
.LBB72_20:                              ;   in Loop: Header=BB72_10 Depth=1
	s_or_b32 exec_lo, exec_lo, s5
	s_waitcnt lgkmcnt(0)
	s_barrier
	buffer_gl0_inv
	s_and_saveexec_b32 s5, s3
	s_cbranch_execz .LBB72_22
; %bb.21:                               ;   in Loop: Header=BB72_10 Depth=1
	ds_load_2addr_b32 v[0:1], v6 offset1:4
	ds_load_2addr_b32 v[2:3], v6 offset0:8 offset1:12
	s_waitcnt lgkmcnt(0)
	v_add_f32_e32 v1, v1, v2
	s_delay_alu instid0(VALU_DEP_1) | instskip(NEXT) | instid1(VALU_DEP_1)
	v_add_f32_e32 v1, v1, v3
	v_add_f32_e32 v0, v0, v1
	ds_store_b32 v6, v0
.LBB72_22:                              ;   in Loop: Header=BB72_10 Depth=1
	s_or_b32 exec_lo, exec_lo, s5
	s_waitcnt lgkmcnt(0)
	s_barrier
	buffer_gl0_inv
	s_and_saveexec_b32 s5, s4
	s_cbranch_execz .LBB72_24
; %bb.23:                               ;   in Loop: Header=BB72_10 Depth=1
	ds_load_2addr_b32 v[0:1], v9 offset0:1 offset1:2
	ds_load_b32 v2, v9 offset:12
	ds_load_b32 v3, v6
	s_waitcnt lgkmcnt(2)
	v_add_f32_e32 v0, v0, v1
	s_waitcnt lgkmcnt(1)
	s_delay_alu instid0(VALU_DEP_1) | instskip(SKIP_1) | instid1(VALU_DEP_1)
	v_add_f32_e32 v0, v0, v2
	s_waitcnt lgkmcnt(0)
	v_add_f32_e32 v0, v3, v0
	ds_store_b32 v6, v0
.LBB72_24:                              ;   in Loop: Header=BB72_10 Depth=1
	s_or_b32 exec_lo, exec_lo, s5
	s_waitcnt lgkmcnt(0)
	s_barrier
	buffer_gl0_inv
	s_and_saveexec_b32 s5, s4
	s_cbranch_execz .LBB72_9
; %bb.25:                               ;   in Loop: Header=BB72_10 Depth=1
	s_mov_b32 s33, exec_lo
	s_delay_alu instid0(SALU_CYCLE_1) | instskip(NEXT) | instid1(VALU_DEP_1)
	v_mbcnt_lo_u32_b32 v0, s33, 0
	v_cmp_eq_u32_e32 vcc_lo, 0, v0
	s_and_b32 s30, exec_lo, vcc_lo
	s_delay_alu instid0(SALU_CYCLE_1)
	s_mov_b32 exec_lo, s30
	s_cbranch_execz .LBB72_9
; %bb.26:                               ;   in Loop: Header=BB72_10 Depth=1
	s_lshl_b64 s[30:31], s[26:27], 2
	ds_load_b32 v0, v9
	s_add_u32 s30, s22, s30
	s_addc_u32 s31, s23, s31
	s_bcnt1_i32_b32 s33, s33
	global_load_b32 v1, v9, s[30:31]
	v_cvt_f32_ubyte0_e32 v2, s33
	s_mov_b32 s33, 0
	s_waitcnt lgkmcnt(0)
	v_mul_f32_e32 v0, s20, v0
	s_delay_alu instid0(VALU_DEP_1)
	v_mul_f32_e32 v2, v0, v2
.LBB72_27:                              ;   Parent Loop BB72_10 Depth=1
                                        ; =>  This Inner Loop Header: Depth=2
	s_waitcnt vmcnt(0)
	s_delay_alu instid0(VALU_DEP_1)
	v_add_f32_e32 v0, v1, v2
	global_atomic_cmpswap_b32 v0, v9, v[0:1], s[30:31] glc
	s_waitcnt vmcnt(0)
	v_cmp_eq_u32_e32 vcc_lo, v0, v1
	v_mov_b32_e32 v1, v0
	s_or_b32 s33, vcc_lo, s33
	s_delay_alu instid0(SALU_CYCLE_1)
	s_and_not1_b32 exec_lo, exec_lo, s33
	s_cbranch_execnz .LBB72_27
	s_branch .LBB72_9
.LBB72_28:
	s_lshl_b64 s[0:1], s[18:19], 3
	s_waitcnt lgkmcnt(0)
	v_add_co_u32 v0, vcc_lo, s24, v7
	s_add_u32 s0, s8, s0
	s_addc_u32 s1, s9, s1
	v_add_co_ci_u32_e32 v1, vcc_lo, s25, v8, vcc_lo
	s_load_b64 s[0:1], s[0:1], 0x0
	s_waitcnt lgkmcnt(0)
	s_sub_u32 s2, s0, s6
	s_subb_u32 s3, s1, 0
	s_mov_b32 s0, exec_lo
	v_cmpx_gt_i64_e64 s[2:3], v[0:1]
	s_cbranch_execz .LBB72_38
; %bb.29:
	s_add_u32 s4, s18, -1
	s_addc_u32 s5, s19, -1
	s_add_u32 s0, s18, -2
	v_cmp_gt_i64_e64 s7, s[4:5], s[16:17]
	s_addc_u32 s1, s19, -1
	s_delay_alu instid0(SALU_CYCLE_1)
	s_cmp_lg_u64 s[0:1], s[16:17]
	s_cselect_b32 s0, -1, 0
	s_delay_alu instid0(VALU_DEP_1) | instid1(SALU_CYCLE_1)
	s_and_b32 s1, s7, s0
	s_mov_b32 s7, 0
	s_branch .LBB72_31
.LBB72_30:                              ;   in Loop: Header=BB72_31 Depth=1
	s_or_b32 exec_lo, exec_lo, s0
	v_add_co_u32 v0, vcc_lo, 0x100, v0
	v_add_co_ci_u32_e32 v1, vcc_lo, 0, v1, vcc_lo
	s_delay_alu instid0(VALU_DEP_1) | instskip(SKIP_1) | instid1(SALU_CYCLE_1)
	v_cmp_le_i64_e32 vcc_lo, s[2:3], v[0:1]
	s_or_b32 s7, vcc_lo, s7
	s_and_not1_b32 exec_lo, exec_lo, s7
	s_cbranch_execz .LBB72_38
.LBB72_31:                              ; =>This Loop Header: Depth=1
                                        ;     Child Loop BB72_33 Depth 2
                                        ;     Child Loop BB72_37 Depth 2
	v_dual_mov_b32 v2, s16 :: v_dual_mov_b32 v3, s17
	v_dual_mov_b32 v4, s4 :: v_dual_mov_b32 v5, s5
	s_and_not1_b32 vcc_lo, exec_lo, s1
	s_cbranch_vccnz .LBB72_35
; %bb.32:                               ;   in Loop: Header=BB72_31 Depth=1
	v_dual_mov_b32 v2, s16 :: v_dual_mov_b32 v3, s17
	v_dual_mov_b32 v4, s4 :: v_dual_mov_b32 v5, s5
	s_mov_b32 s18, 0
	s_set_inst_prefetch_distance 0x1
	.p2align	6
.LBB72_33:                              ;   Parent Loop BB72_31 Depth=1
                                        ; =>  This Inner Loop Header: Depth=2
	s_delay_alu instid0(VALU_DEP_1) | instskip(NEXT) | instid1(VALU_DEP_2)
	v_add_co_u32 v6, vcc_lo, v4, v2
	v_add_co_ci_u32_e32 v7, vcc_lo, v5, v3, vcc_lo
	s_delay_alu instid0(VALU_DEP_1) | instskip(NEXT) | instid1(VALU_DEP_1)
	v_lshrrev_b32_e32 v8, 31, v7
	v_add_co_u32 v6, vcc_lo, v6, v8
	v_add_co_ci_u32_e32 v7, vcc_lo, 0, v7, vcc_lo
	s_delay_alu instid0(VALU_DEP_1) | instskip(NEXT) | instid1(VALU_DEP_1)
	v_ashrrev_i64 v[6:7], 1, v[6:7]
	v_lshlrev_b64 v[8:9], 3, v[6:7]
	s_delay_alu instid0(VALU_DEP_1) | instskip(NEXT) | instid1(VALU_DEP_2)
	v_add_co_u32 v8, vcc_lo, s8, v8
	v_add_co_ci_u32_e32 v9, vcc_lo, s9, v9, vcc_lo
	global_load_b64 v[8:9], v[8:9], off
	s_waitcnt vmcnt(0)
	v_sub_co_u32 v8, vcc_lo, v8, s6
	v_subrev_co_ci_u32_e32 v9, vcc_lo, 0, v9, vcc_lo
	s_delay_alu instid0(VALU_DEP_1) | instskip(SKIP_2) | instid1(VALU_DEP_2)
	v_cmp_gt_i64_e32 vcc_lo, v[8:9], v[0:1]
	v_dual_cndmask_b32 v5, v5, v7 :: v_dual_cndmask_b32 v4, v4, v6
	v_dual_cndmask_b32 v3, v7, v3 :: v_dual_cndmask_b32 v2, v6, v2
	v_add_co_u32 v6, vcc_lo, v4, -1
	s_delay_alu instid0(VALU_DEP_3) | instskip(NEXT) | instid1(VALU_DEP_3)
	v_add_co_ci_u32_e32 v7, vcc_lo, -1, v5, vcc_lo
	v_cmp_ge_i64_e32 vcc_lo, v[2:3], v[4:5]
	s_delay_alu instid0(VALU_DEP_2) | instskip(NEXT) | instid1(VALU_DEP_1)
	v_cmp_eq_u64_e64 s0, v[2:3], v[6:7]
	s_or_b32 s0, vcc_lo, s0
	s_delay_alu instid0(SALU_CYCLE_1) | instskip(NEXT) | instid1(SALU_CYCLE_1)
	s_and_b32 s0, exec_lo, s0
	s_or_b32 s18, s0, s18
	s_delay_alu instid0(SALU_CYCLE_1)
	s_and_not1_b32 exec_lo, exec_lo, s18
	s_cbranch_execnz .LBB72_33
; %bb.34:                               ;   in Loop: Header=BB72_31 Depth=1
	s_set_inst_prefetch_distance 0x2
	s_or_b32 exec_lo, exec_lo, s18
.LBB72_35:                              ;   in Loop: Header=BB72_31 Depth=1
	s_delay_alu instid0(VALU_DEP_1) | instskip(SKIP_2) | instid1(VALU_DEP_2)
	v_lshlrev_b64 v[6:7], 3, v[4:5]
	v_lshlrev_b64 v[8:9], 3, v[0:1]
	s_mov_b32 s0, exec_lo
	v_add_co_u32 v6, vcc_lo, s8, v6
	s_delay_alu instid0(VALU_DEP_3) | instskip(NEXT) | instid1(VALU_DEP_3)
	v_add_co_ci_u32_e32 v7, vcc_lo, s9, v7, vcc_lo
	v_add_co_u32 v8, vcc_lo, s10, v8
	s_delay_alu instid0(VALU_DEP_4)
	v_add_co_ci_u32_e32 v9, vcc_lo, s11, v9, vcc_lo
	global_load_b64 v[6:7], v[6:7], off
	global_load_b64 v[8:9], v[8:9], off
	s_waitcnt vmcnt(1)
	v_sub_co_u32 v6, vcc_lo, v6, s6
	v_subrev_co_ci_u32_e32 v7, vcc_lo, 0, v7, vcc_lo
	s_delay_alu instid0(VALU_DEP_1) | instskip(SKIP_4) | instid1(VALU_DEP_1)
	v_cmp_gt_i64_e32 vcc_lo, v[6:7], v[0:1]
	v_dual_cndmask_b32 v5, v5, v3 :: v_dual_cndmask_b32 v4, v4, v2
	s_waitcnt vmcnt(0)
	v_sub_co_u32 v2, vcc_lo, v8, s6
	v_subrev_co_ci_u32_e32 v3, vcc_lo, 0, v9, vcc_lo
	v_cmpx_ne_u64_e64 v[2:3], v[4:5]
	s_cbranch_execz .LBB72_30
; %bb.36:                               ;   in Loop: Header=BB72_31 Depth=1
	v_lshlrev_b64 v[6:7], 1, v[0:1]
	v_lshlrev_b64 v[4:5], 1, v[4:5]
	;; [unrolled: 1-line block ×3, first 2 shown]
	s_mov_b32 s18, 0
	s_delay_alu instid0(VALU_DEP_3) | instskip(NEXT) | instid1(VALU_DEP_4)
	v_add_co_u32 v6, vcc_lo, s12, v6
	v_add_co_ci_u32_e32 v7, vcc_lo, s13, v7, vcc_lo
	s_delay_alu instid0(VALU_DEP_4)
	v_add_co_u32 v4, vcc_lo, s14, v4
	v_add_co_ci_u32_e32 v5, vcc_lo, s15, v5, vcc_lo
	global_load_u16 v6, v[6:7], off
	v_add_co_u32 v2, vcc_lo, s22, v2
	global_load_u16 v4, v[4:5], off
	v_add_co_ci_u32_e32 v3, vcc_lo, s23, v3, vcc_lo
	global_load_b32 v5, v[2:3], off
	s_waitcnt vmcnt(2)
	v_cvt_f32_f16_e32 v6, v6
	s_waitcnt vmcnt(1)
	v_cvt_f32_f16_e32 v4, v4
	s_delay_alu instid0(VALU_DEP_2) | instskip(NEXT) | instid1(VALU_DEP_1)
	v_mul_f32_e32 v6, s20, v6
	v_mul_f32_e32 v6, v6, v4
.LBB72_37:                              ;   Parent Loop BB72_31 Depth=1
                                        ; =>  This Inner Loop Header: Depth=2
	s_waitcnt vmcnt(0)
	s_delay_alu instid0(VALU_DEP_1)
	v_add_f32_e32 v4, v5, v6
	global_atomic_cmpswap_b32 v4, v[2:3], v[4:5], off glc
	s_waitcnt vmcnt(0)
	v_cmp_eq_u32_e32 vcc_lo, v4, v5
	v_mov_b32_e32 v5, v4
	s_or_b32 s18, vcc_lo, s18
	s_delay_alu instid0(SALU_CYCLE_1)
	s_and_not1_b32 exec_lo, exec_lo, s18
	s_cbranch_execnz .LBB72_37
	s_branch .LBB72_30
.LBB72_38:
	s_endpgm
	.section	.rodata,"a",@progbits
	.p2align	6, 0x0
	.amdhsa_kernel _ZL33csrmvn_symm_large_adaptive_kernelIllDF16_DF16_ffEvbT_PKS0_N9rocsparse24const_host_device_scalarIT4_EES2_PKT0_PKT1_PKT2_S6_PT3_21rocsparse_index_base_b
		.amdhsa_group_segment_fixed_size 4096
		.amdhsa_private_segment_fixed_size 0
		.amdhsa_kernarg_size 88
		.amdhsa_user_sgpr_count 15
		.amdhsa_user_sgpr_dispatch_ptr 0
		.amdhsa_user_sgpr_queue_ptr 0
		.amdhsa_user_sgpr_kernarg_segment_ptr 1
		.amdhsa_user_sgpr_dispatch_id 0
		.amdhsa_user_sgpr_private_segment_size 0
		.amdhsa_wavefront_size32 1
		.amdhsa_uses_dynamic_stack 0
		.amdhsa_enable_private_segment 0
		.amdhsa_system_sgpr_workgroup_id_x 1
		.amdhsa_system_sgpr_workgroup_id_y 0
		.amdhsa_system_sgpr_workgroup_id_z 0
		.amdhsa_system_sgpr_workgroup_info 0
		.amdhsa_system_vgpr_workitem_id 0
		.amdhsa_next_free_vgpr 14
		.amdhsa_next_free_sgpr 36
		.amdhsa_reserve_vcc 1
		.amdhsa_float_round_mode_32 0
		.amdhsa_float_round_mode_16_64 0
		.amdhsa_float_denorm_mode_32 3
		.amdhsa_float_denorm_mode_16_64 3
		.amdhsa_dx10_clamp 1
		.amdhsa_ieee_mode 1
		.amdhsa_fp16_overflow 0
		.amdhsa_workgroup_processor_mode 1
		.amdhsa_memory_ordered 1
		.amdhsa_forward_progress 0
		.amdhsa_shared_vgpr_count 0
		.amdhsa_exception_fp_ieee_invalid_op 0
		.amdhsa_exception_fp_denorm_src 0
		.amdhsa_exception_fp_ieee_div_zero 0
		.amdhsa_exception_fp_ieee_overflow 0
		.amdhsa_exception_fp_ieee_underflow 0
		.amdhsa_exception_fp_ieee_inexact 0
		.amdhsa_exception_int_div_zero 0
	.end_amdhsa_kernel
	.section	.text._ZL33csrmvn_symm_large_adaptive_kernelIllDF16_DF16_ffEvbT_PKS0_N9rocsparse24const_host_device_scalarIT4_EES2_PKT0_PKT1_PKT2_S6_PT3_21rocsparse_index_base_b,"axG",@progbits,_ZL33csrmvn_symm_large_adaptive_kernelIllDF16_DF16_ffEvbT_PKS0_N9rocsparse24const_host_device_scalarIT4_EES2_PKT0_PKT1_PKT2_S6_PT3_21rocsparse_index_base_b,comdat
.Lfunc_end72:
	.size	_ZL33csrmvn_symm_large_adaptive_kernelIllDF16_DF16_ffEvbT_PKS0_N9rocsparse24const_host_device_scalarIT4_EES2_PKT0_PKT1_PKT2_S6_PT3_21rocsparse_index_base_b, .Lfunc_end72-_ZL33csrmvn_symm_large_adaptive_kernelIllDF16_DF16_ffEvbT_PKS0_N9rocsparse24const_host_device_scalarIT4_EES2_PKT0_PKT1_PKT2_S6_PT3_21rocsparse_index_base_b
                                        ; -- End function
	.section	.AMDGPU.csdata,"",@progbits
; Kernel info:
; codeLenInByte = 1968
; NumSgprs: 38
; NumVgprs: 14
; ScratchSize: 0
; MemoryBound: 0
; FloatMode: 240
; IeeeMode: 1
; LDSByteSize: 4096 bytes/workgroup (compile time only)
; SGPRBlocks: 4
; VGPRBlocks: 1
; NumSGPRsForWavesPerEU: 38
; NumVGPRsForWavesPerEU: 14
; Occupancy: 16
; WaveLimiterHint : 1
; COMPUTE_PGM_RSRC2:SCRATCH_EN: 0
; COMPUTE_PGM_RSRC2:USER_SGPR: 15
; COMPUTE_PGM_RSRC2:TRAP_HANDLER: 0
; COMPUTE_PGM_RSRC2:TGID_X_EN: 1
; COMPUTE_PGM_RSRC2:TGID_Y_EN: 0
; COMPUTE_PGM_RSRC2:TGID_Z_EN: 0
; COMPUTE_PGM_RSRC2:TIDIG_COMP_CNT: 0
	.section	.text._ZN9rocsparseL22csrmvn_adaptive_kernelIii18rocsparse_bfloat16S1_ffEEvbT_PKS2_PjPKT0_NS_24const_host_device_scalarIT4_EES4_S8_PKT1_PKT2_SB_PT3_21rocsparse_index_base_b,"axG",@progbits,_ZN9rocsparseL22csrmvn_adaptive_kernelIii18rocsparse_bfloat16S1_ffEEvbT_PKS2_PjPKT0_NS_24const_host_device_scalarIT4_EES4_S8_PKT1_PKT2_SB_PT3_21rocsparse_index_base_b,comdat
	.globl	_ZN9rocsparseL22csrmvn_adaptive_kernelIii18rocsparse_bfloat16S1_ffEEvbT_PKS2_PjPKT0_NS_24const_host_device_scalarIT4_EES4_S8_PKT1_PKT2_SB_PT3_21rocsparse_index_base_b ; -- Begin function _ZN9rocsparseL22csrmvn_adaptive_kernelIii18rocsparse_bfloat16S1_ffEEvbT_PKS2_PjPKT0_NS_24const_host_device_scalarIT4_EES4_S8_PKT1_PKT2_SB_PT3_21rocsparse_index_base_b
	.p2align	8
	.type	_ZN9rocsparseL22csrmvn_adaptive_kernelIii18rocsparse_bfloat16S1_ffEEvbT_PKS2_PjPKT0_NS_24const_host_device_scalarIT4_EES4_S8_PKT1_PKT2_SB_PT3_21rocsparse_index_base_b,@function
_ZN9rocsparseL22csrmvn_adaptive_kernelIii18rocsparse_bfloat16S1_ffEEvbT_PKS2_PjPKT0_NS_24const_host_device_scalarIT4_EES4_S8_PKT1_PKT2_SB_PT3_21rocsparse_index_base_b: ; @_ZN9rocsparseL22csrmvn_adaptive_kernelIii18rocsparse_bfloat16S1_ffEEvbT_PKS2_PjPKT0_NS_24const_host_device_scalarIT4_EES4_S8_PKT1_PKT2_SB_PT3_21rocsparse_index_base_b
; %bb.0:
	s_clause 0x2
	s_load_b64 s[30:31], s[0:1], 0x58
	s_load_b64 s[28:29], s[0:1], 0x20
	s_load_b64 s[20:21], s[0:1], 0x48
	s_mov_b32 s36, s15
	s_waitcnt lgkmcnt(0)
	s_bitcmp1_b32 s31, 0
	s_cselect_b32 s2, -1, 0
	s_delay_alu instid0(SALU_CYCLE_1)
	s_and_b32 vcc_lo, exec_lo, s2
	s_xor_b32 s2, s2, -1
	s_cbranch_vccnz .LBB73_2
; %bb.1:
	s_load_b32 s28, s[28:29], 0x0
.LBB73_2:
	s_and_not1_b32 vcc_lo, exec_lo, s2
	s_cbranch_vccnz .LBB73_4
; %bb.3:
	s_load_b32 s20, s[20:21], 0x0
.LBB73_4:
	s_waitcnt lgkmcnt(0)
	v_cmp_neq_f32_e64 s2, s28, 0
	v_cmp_neq_f32_e64 s3, s20, 1.0
	s_delay_alu instid0(VALU_DEP_1) | instskip(NEXT) | instid1(SALU_CYCLE_1)
	s_or_b32 s2, s2, s3
	s_and_not1_b32 vcc_lo, exec_lo, s2
	s_cbranch_vccnz .LBB73_116
; %bb.5:
	s_clause 0x2
	s_load_b64 s[2:3], s[0:1], 0x8
	s_load_b64 s[4:5], s[0:1], 0x18
	;; [unrolled: 1-line block ×3, first 2 shown]
	s_ashr_i32 s37, s36, 31
	s_delay_alu instid0(SALU_CYCLE_1)
	s_lshl_b64 s[38:39], s[36:37], 2
	s_waitcnt lgkmcnt(0)
	s_add_u32 s2, s2, s38
	s_addc_u32 s3, s3, s39
	s_load_b64 s[24:25], s[2:3], 0x0
	s_load_b256 s[12:19], s[0:1], 0x28
	s_mov_b32 s3, -1
	s_waitcnt lgkmcnt(0)
	s_sub_i32 s2, s25, s24
	s_add_u32 s4, s4, s38
	s_addc_u32 s5, s5, s39
	s_ashr_i32 s7, s24, 31
	s_mov_b32 s6, s24
	s_delay_alu instid0(SALU_CYCLE_1) | instskip(NEXT) | instid1(SALU_CYCLE_1)
	s_lshl_b64 s[34:35], s[6:7], 2
	s_add_u32 s26, s12, s34
	s_addc_u32 s27, s13, s35
	s_load_b32 s11, s[4:5], 0x0
	s_load_b32 s21, s[26:27], 0x0
	s_cmp_lt_i32 s2, 2
	s_cbranch_scc0 .LBB73_72
; %bb.6:
	s_cmp_lg_u32 s2, 1
	s_cselect_b32 s2, -1, 0
	s_waitcnt lgkmcnt(0)
	s_cmp_lg_u32 s11, 0
	s_cselect_b32 s3, -1, 0
	s_delay_alu instid0(SALU_CYCLE_1) | instskip(NEXT) | instid1(SALU_CYCLE_1)
	s_or_b32 s2, s2, s3
	s_and_b32 vcc_lo, exec_lo, s2
	s_mov_b32 s2, -1
	s_cbranch_vccnz .LBB73_35
; %bb.7:
	s_cmp_le_i32 s25, s24
	s_cbranch_scc1 .LBB73_34
; %bb.8:
	v_subrev_nc_u32_e32 v6, s30, v0
	v_dual_mov_b32 v8, 0 :: v_dual_lshlrev_b32 v7, 2, v0
	v_cmp_gt_u32_e64 s2, 0x80, v0
	v_cmp_gt_u32_e64 s3, 64, v0
	v_cmp_gt_u32_e64 s4, 32, v0
	v_cmp_gt_u32_e64 s5, 16, v0
	v_cmp_gt_u32_e64 s6, 8, v0
	v_cmp_gt_u32_e64 s7, 4, v0
	v_cmp_gt_u32_e64 s8, 2, v0
	v_cmp_eq_u32_e64 s9, 0, v0
	v_cmp_neq_f32_e64 s31, s20, 0
	s_add_u32 s29, s12, 4
	s_addc_u32 s33, s13, 0
	s_mov_b32 s37, s21
	s_mov_b32 s40, s24
	s_branch .LBB73_11
.LBB73_9:                               ;   in Loop: Header=BB73_11 Depth=1
	s_add_u32 s42, s22, s42
	s_addc_u32 s43, s23, s43
	s_waitcnt lgkmcnt(0)
	global_store_b32 v8, v1, s[42:43]
.LBB73_10:                              ;   in Loop: Header=BB73_11 Depth=1
	s_or_b32 exec_lo, exec_lo, s10
	s_add_i32 s40, s40, 1
	s_delay_alu instid0(SALU_CYCLE_1)
	s_cmp_ge_i32 s40, s25
	s_cbranch_scc1 .LBB73_34
.LBB73_11:                              ; =>This Loop Header: Depth=1
                                        ;     Child Loop BB73_13 Depth 2
	s_ashr_i32 s41, s40, 31
	s_mov_b32 s10, s37
	s_lshl_b64 s[42:43], s[40:41], 2
	v_add_nc_u32_e32 v1, s10, v6
	s_add_u32 s44, s29, s42
	s_addc_u32 s45, s33, s43
	v_mov_b32_e32 v9, 0
	s_load_b32 s37, s[44:45], 0x0
	s_mov_b32 s41, exec_lo
	s_waitcnt lgkmcnt(0)
	s_sub_i32 s44, s37, s30
	s_delay_alu instid0(SALU_CYCLE_1)
	v_cmpx_gt_i32_e64 s44, v1
	s_cbranch_execz .LBB73_15
; %bb.12:                               ;   in Loop: Header=BB73_11 Depth=1
	v_ashrrev_i32_e32 v2, 31, v1
	s_mov_b32 s45, 0
	s_delay_alu instid0(VALU_DEP_1) | instskip(SKIP_1) | instid1(VALU_DEP_2)
	v_lshlrev_b64 v[3:4], 1, v[1:2]
	v_lshlrev_b64 v[9:10], 2, v[1:2]
	v_add_co_u32 v2, vcc_lo, s16, v3
	s_delay_alu instid0(VALU_DEP_3) | instskip(NEXT) | instid1(VALU_DEP_3)
	v_add_co_ci_u32_e32 v3, vcc_lo, s17, v4, vcc_lo
	v_add_co_u32 v4, vcc_lo, s14, v9
	s_delay_alu instid0(VALU_DEP_4)
	v_add_co_ci_u32_e32 v5, vcc_lo, s15, v10, vcc_lo
	v_mov_b32_e32 v9, 0
	.p2align	6
.LBB73_13:                              ;   Parent Loop BB73_11 Depth=1
                                        ; =>  This Inner Loop Header: Depth=2
	global_load_b32 v10, v[4:5], off
	global_load_u16 v12, v[2:3], off
	v_add_nc_u32_e32 v1, 0x100, v1
	s_delay_alu instid0(VALU_DEP_1) | instskip(NEXT) | instid1(VALU_DEP_1)
	v_cmp_le_i32_e64 s10, s44, v1
	s_or_b32 s45, s10, s45
	s_waitcnt vmcnt(1)
	v_subrev_nc_u32_e32 v10, s30, v10
	s_delay_alu instid0(VALU_DEP_1) | instskip(NEXT) | instid1(VALU_DEP_1)
	v_ashrrev_i32_e32 v11, 31, v10
	v_lshlrev_b64 v[10:11], 1, v[10:11]
	s_delay_alu instid0(VALU_DEP_1) | instskip(NEXT) | instid1(VALU_DEP_2)
	v_add_co_u32 v10, vcc_lo, s18, v10
	v_add_co_ci_u32_e32 v11, vcc_lo, s19, v11, vcc_lo
	v_add_co_u32 v2, vcc_lo, 0x200, v2
	v_add_co_ci_u32_e32 v3, vcc_lo, 0, v3, vcc_lo
	global_load_u16 v10, v[10:11], off
	s_waitcnt vmcnt(1)
	v_lshlrev_b32_e32 v11, 16, v12
	v_add_co_u32 v4, vcc_lo, 0x400, v4
	v_add_co_ci_u32_e32 v5, vcc_lo, 0, v5, vcc_lo
	s_waitcnt vmcnt(0)
	s_delay_alu instid0(VALU_DEP_3) | instskip(NEXT) | instid1(VALU_DEP_1)
	v_dual_mul_f32 v11, s28, v11 :: v_dual_lshlrev_b32 v10, 16, v10
	v_fmac_f32_e32 v9, v11, v10
	s_and_not1_b32 exec_lo, exec_lo, s45
	s_cbranch_execnz .LBB73_13
; %bb.14:                               ;   in Loop: Header=BB73_11 Depth=1
	s_or_b32 exec_lo, exec_lo, s45
.LBB73_15:                              ;   in Loop: Header=BB73_11 Depth=1
	s_delay_alu instid0(SALU_CYCLE_1)
	s_or_b32 exec_lo, exec_lo, s41
	ds_store_b32 v7, v9
	s_waitcnt lgkmcnt(0)
	s_waitcnt_vscnt null, 0x0
	s_barrier
	buffer_gl0_inv
	s_and_saveexec_b32 s10, s2
	s_cbranch_execz .LBB73_17
; %bb.16:                               ;   in Loop: Header=BB73_11 Depth=1
	ds_load_2addr_stride64_b32 v[1:2], v7 offset1:2
	s_waitcnt lgkmcnt(0)
	v_add_f32_e32 v1, v1, v2
	ds_store_b32 v7, v1
.LBB73_17:                              ;   in Loop: Header=BB73_11 Depth=1
	s_or_b32 exec_lo, exec_lo, s10
	s_waitcnt lgkmcnt(0)
	s_barrier
	buffer_gl0_inv
	s_and_saveexec_b32 s10, s3
	s_cbranch_execz .LBB73_19
; %bb.18:                               ;   in Loop: Header=BB73_11 Depth=1
	ds_load_2addr_stride64_b32 v[1:2], v7 offset1:1
	s_waitcnt lgkmcnt(0)
	v_add_f32_e32 v1, v1, v2
	ds_store_b32 v7, v1
.LBB73_19:                              ;   in Loop: Header=BB73_11 Depth=1
	s_or_b32 exec_lo, exec_lo, s10
	s_waitcnt lgkmcnt(0)
	s_barrier
	buffer_gl0_inv
	s_and_saveexec_b32 s10, s4
	s_cbranch_execz .LBB73_21
; %bb.20:                               ;   in Loop: Header=BB73_11 Depth=1
	ds_load_2addr_b32 v[1:2], v7 offset1:32
	s_waitcnt lgkmcnt(0)
	v_add_f32_e32 v1, v1, v2
	ds_store_b32 v7, v1
.LBB73_21:                              ;   in Loop: Header=BB73_11 Depth=1
	s_or_b32 exec_lo, exec_lo, s10
	s_waitcnt lgkmcnt(0)
	s_barrier
	buffer_gl0_inv
	s_and_saveexec_b32 s10, s5
	s_cbranch_execz .LBB73_23
; %bb.22:                               ;   in Loop: Header=BB73_11 Depth=1
	ds_load_2addr_b32 v[1:2], v7 offset1:16
	s_waitcnt lgkmcnt(0)
	v_add_f32_e32 v1, v1, v2
	ds_store_b32 v7, v1
.LBB73_23:                              ;   in Loop: Header=BB73_11 Depth=1
	;; [unrolled: 12-line block ×5, first 2 shown]
	s_or_b32 exec_lo, exec_lo, s10
	s_waitcnt lgkmcnt(0)
	s_barrier
	buffer_gl0_inv
	s_and_saveexec_b32 s10, s9
	s_cbranch_execz .LBB73_31
; %bb.30:                               ;   in Loop: Header=BB73_11 Depth=1
	ds_load_b64 v[1:2], v8
	s_waitcnt lgkmcnt(0)
	v_add_f32_e32 v1, v1, v2
	ds_store_b32 v8, v1
.LBB73_31:                              ;   in Loop: Header=BB73_11 Depth=1
	s_or_b32 exec_lo, exec_lo, s10
	s_waitcnt lgkmcnt(0)
	s_barrier
	buffer_gl0_inv
	s_and_saveexec_b32 s10, s9
	s_cbranch_execz .LBB73_10
; %bb.32:                               ;   in Loop: Header=BB73_11 Depth=1
	ds_load_b32 v1, v8
	s_and_not1_b32 vcc_lo, exec_lo, s31
	s_cbranch_vccnz .LBB73_9
; %bb.33:                               ;   in Loop: Header=BB73_11 Depth=1
	s_add_u32 s44, s22, s42
	s_addc_u32 s45, s23, s43
	global_load_b32 v2, v8, s[44:45]
	s_waitcnt vmcnt(0) lgkmcnt(0)
	v_fmac_f32_e32 v1, s20, v2
	s_branch .LBB73_9
.LBB73_34:
	s_mov_b32 s2, 0
.LBB73_35:
	s_delay_alu instid0(SALU_CYCLE_1)
	s_and_not1_b32 vcc_lo, exec_lo, s2
	s_cbranch_vccnz .LBB73_71
; %bb.36:
	s_load_b64 s[6:7], s[0:1], 0x10
	s_sub_i32 s8, s36, s11
	v_or_b32_e32 v1, s11, v0
	v_mov_b32_e32 v6, 0
	s_mov_b32 s2, exec_lo
	s_waitcnt lgkmcnt(0)
	s_add_u32 s4, s6, s38
	s_addc_u32 s5, s7, s39
	s_load_b32 s10, s[4:5], 0x0
	v_cmpx_eq_u32_e32 0, v1
	s_cbranch_execz .LBB73_40
; %bb.37:
	s_add_u32 s36, s22, s34
	s_addc_u32 s37, s23, s35
	s_mov_b32 s29, exec_lo
	s_load_b32 s3, s[36:37], 0x0
	v_mbcnt_lo_u32_b32 v2, s29, 0
	v_add_f32_e64 v1, s20, -1.0
	s_mov_b32 s31, exec_lo
	s_waitcnt vmcnt(0) expcnt(0) lgkmcnt(0)
	s_waitcnt_vscnt null, 0x0
	v_cmpx_eq_u32_e32 0, v2
	s_cbranch_execz .LBB73_39
; %bb.38:
	s_ashr_i32 s9, s8, 31
	s_delay_alu instid0(SALU_CYCLE_1) | instskip(NEXT) | instid1(SALU_CYCLE_1)
	s_lshl_b64 s[36:37], s[8:9], 2
	s_add_u32 s36, s6, s36
	s_addc_u32 s37, s7, s37
	s_bcnt1_i32_b32 s9, s29
	s_delay_alu instid0(SALU_CYCLE_1) | instskip(NEXT) | instid1(SALU_CYCLE_1)
	s_and_b32 s9, s9, 1
	v_dual_mov_b32 v2, 0 :: v_dual_mov_b32 v3, s9
	global_atomic_xor_b32 v2, v3, s[36:37]
.LBB73_39:
	s_or_b32 exec_lo, exec_lo, s31
	v_mul_f32_e32 v6, s3, v1
.LBB73_40:
	s_or_b32 exec_lo, exec_lo, s2
	s_load_b32 s2, s[26:27], 0x4
	s_mul_i32 s3, s11, 0xc00
	s_sub_i32 s9, s21, s30
	s_delay_alu instid0(SALU_CYCLE_1)
	s_add_i32 s9, s9, s3
	s_mov_b32 s3, exec_lo
	v_add_nc_u32_e32 v1, s9, v0
	s_waitcnt lgkmcnt(0)
	s_sub_i32 s2, s2, s30
	s_delay_alu instid0(VALU_DEP_1) | instid1(SALU_CYCLE_1)
	v_cmpx_gt_i32_e64 s2, v1
	s_cbranch_execz .LBB73_44
; %bb.41:
	v_ashrrev_i32_e32 v2, 31, v1
	s_addk_i32 s9, 0xc00
	s_mov_b32 s29, 0
	s_min_i32 s9, s9, s2
	s_delay_alu instid0(VALU_DEP_1) | instskip(SKIP_1) | instid1(VALU_DEP_2)
	v_lshlrev_b64 v[3:4], 1, v[1:2]
	v_lshlrev_b64 v[7:8], 2, v[1:2]
	v_add_co_u32 v2, vcc_lo, s16, v3
	s_delay_alu instid0(VALU_DEP_3) | instskip(NEXT) | instid1(VALU_DEP_3)
	v_add_co_ci_u32_e32 v3, vcc_lo, s17, v4, vcc_lo
	v_add_co_u32 v4, vcc_lo, s14, v7
	s_delay_alu instid0(VALU_DEP_4)
	v_add_co_ci_u32_e32 v5, vcc_lo, s15, v8, vcc_lo
	.p2align	6
.LBB73_42:                              ; =>This Inner Loop Header: Depth=1
	global_load_b32 v7, v[4:5], off
	global_load_u16 v9, v[2:3], off
	s_waitcnt vmcnt(1)
	v_subrev_nc_u32_e32 v7, s30, v7
	s_delay_alu instid0(VALU_DEP_1) | instskip(NEXT) | instid1(VALU_DEP_1)
	v_ashrrev_i32_e32 v8, 31, v7
	v_lshlrev_b64 v[7:8], 1, v[7:8]
	s_delay_alu instid0(VALU_DEP_1) | instskip(NEXT) | instid1(VALU_DEP_2)
	v_add_co_u32 v7, vcc_lo, s18, v7
	v_add_co_ci_u32_e32 v8, vcc_lo, s19, v8, vcc_lo
	v_add_co_u32 v2, vcc_lo, 0x200, v2
	v_add_co_ci_u32_e32 v3, vcc_lo, 0, v3, vcc_lo
	global_load_u16 v7, v[7:8], off
	s_waitcnt vmcnt(1)
	v_lshlrev_b32_e32 v8, 16, v9
	v_add_nc_u32_e32 v1, 0x100, v1
	v_add_co_u32 v4, vcc_lo, 0x400, v4
	v_add_co_ci_u32_e32 v5, vcc_lo, 0, v5, vcc_lo
	s_delay_alu instid0(VALU_DEP_4) | instskip(NEXT) | instid1(VALU_DEP_4)
	v_mul_f32_e32 v8, s28, v8
	v_cmp_le_i32_e64 s2, s9, v1
	s_delay_alu instid0(VALU_DEP_1) | instskip(SKIP_2) | instid1(VALU_DEP_1)
	s_or_b32 s29, s2, s29
	s_waitcnt vmcnt(0)
	v_lshlrev_b32_e32 v7, 16, v7
	v_fmac_f32_e32 v6, v8, v7
	s_and_not1_b32 exec_lo, exec_lo, s29
	s_cbranch_execnz .LBB73_42
; %bb.43:
	s_or_b32 exec_lo, exec_lo, s29
.LBB73_44:
	s_delay_alu instid0(SALU_CYCLE_1)
	s_or_b32 exec_lo, exec_lo, s3
	v_lshlrev_b32_e32 v1, 2, v0
	s_mov_b32 s2, exec_lo
	ds_store_b32 v1, v6
	s_waitcnt lgkmcnt(0)
	s_waitcnt_vscnt null, 0x0
	s_barrier
	buffer_gl0_inv
	v_cmpx_gt_u32_e32 0x80, v0
	s_cbranch_execz .LBB73_46
; %bb.45:
	ds_load_2addr_stride64_b32 v[2:3], v1 offset1:2
	s_waitcnt lgkmcnt(0)
	v_add_f32_e32 v2, v2, v3
	ds_store_b32 v1, v2
.LBB73_46:
	s_or_b32 exec_lo, exec_lo, s2
	s_delay_alu instid0(SALU_CYCLE_1)
	s_mov_b32 s2, exec_lo
	s_waitcnt lgkmcnt(0)
	s_barrier
	buffer_gl0_inv
	v_cmpx_gt_u32_e32 64, v0
	s_cbranch_execz .LBB73_48
; %bb.47:
	ds_load_2addr_stride64_b32 v[2:3], v1 offset1:1
	s_waitcnt lgkmcnt(0)
	v_add_f32_e32 v2, v2, v3
	ds_store_b32 v1, v2
.LBB73_48:
	s_or_b32 exec_lo, exec_lo, s2
	s_delay_alu instid0(SALU_CYCLE_1)
	s_mov_b32 s2, exec_lo
	s_waitcnt lgkmcnt(0)
	s_barrier
	buffer_gl0_inv
	v_cmpx_gt_u32_e32 32, v0
	s_cbranch_execz .LBB73_50
; %bb.49:
	ds_load_2addr_b32 v[2:3], v1 offset1:32
	s_waitcnt lgkmcnt(0)
	v_add_f32_e32 v2, v2, v3
	ds_store_b32 v1, v2
.LBB73_50:
	s_or_b32 exec_lo, exec_lo, s2
	s_delay_alu instid0(SALU_CYCLE_1)
	s_mov_b32 s2, exec_lo
	s_waitcnt lgkmcnt(0)
	s_barrier
	buffer_gl0_inv
	v_cmpx_gt_u32_e32 16, v0
	s_cbranch_execz .LBB73_52
; %bb.51:
	ds_load_2addr_b32 v[2:3], v1 offset1:16
	s_waitcnt lgkmcnt(0)
	v_add_f32_e32 v2, v2, v3
	ds_store_b32 v1, v2
.LBB73_52:
	s_or_b32 exec_lo, exec_lo, s2
	s_delay_alu instid0(SALU_CYCLE_1)
	s_mov_b32 s2, exec_lo
	s_waitcnt lgkmcnt(0)
	s_barrier
	buffer_gl0_inv
	v_cmpx_gt_u32_e32 8, v0
	s_cbranch_execz .LBB73_54
; %bb.53:
	ds_load_2addr_b32 v[2:3], v1 offset1:8
	s_waitcnt lgkmcnt(0)
	v_add_f32_e32 v2, v2, v3
	ds_store_b32 v1, v2
.LBB73_54:
	s_or_b32 exec_lo, exec_lo, s2
	s_delay_alu instid0(SALU_CYCLE_1)
	s_mov_b32 s2, exec_lo
	s_waitcnt lgkmcnt(0)
	s_barrier
	buffer_gl0_inv
	v_cmpx_gt_u32_e32 4, v0
	s_cbranch_execz .LBB73_56
; %bb.55:
	ds_load_2addr_b32 v[2:3], v1 offset1:4
	s_waitcnt lgkmcnt(0)
	v_add_f32_e32 v2, v2, v3
	ds_store_b32 v1, v2
.LBB73_56:
	s_or_b32 exec_lo, exec_lo, s2
	s_delay_alu instid0(SALU_CYCLE_1)
	s_mov_b32 s2, exec_lo
	s_waitcnt lgkmcnt(0)
	s_barrier
	buffer_gl0_inv
	v_cmpx_gt_u32_e32 2, v0
	s_cbranch_execz .LBB73_58
; %bb.57:
	ds_load_2addr_b32 v[2:3], v1 offset1:2
	s_waitcnt lgkmcnt(0)
	v_add_f32_e32 v2, v2, v3
	ds_store_b32 v1, v2
.LBB73_58:
	s_or_b32 exec_lo, exec_lo, s2
	v_cmp_eq_u32_e32 vcc_lo, 0, v0
	s_waitcnt lgkmcnt(0)
	s_barrier
	buffer_gl0_inv
	s_and_saveexec_b32 s2, vcc_lo
	s_cbranch_execz .LBB73_60
; %bb.59:
	v_mov_b32_e32 v3, 0
	ds_load_b64 v[1:2], v3
	s_waitcnt lgkmcnt(0)
	v_add_f32_e32 v1, v1, v2
	ds_store_b32 v3, v1
.LBB73_60:
	s_or_b32 exec_lo, exec_lo, s2
	s_waitcnt lgkmcnt(0)
	s_barrier
	buffer_gl0_inv
	s_and_saveexec_b32 s29, vcc_lo
	s_cbranch_execz .LBB73_70
; %bb.61:
	s_cmp_eq_u32 s11, 0
	s_cbranch_scc1 .LBB73_67
; %bb.62:
	s_ashr_i32 s9, s8, 31
	v_mov_b32_e32 v1, 0
	s_lshl_b64 s[2:3], s[8:9], 2
	s_delay_alu instid0(SALU_CYCLE_1)
	s_add_u32 s2, s6, s2
	s_addc_u32 s3, s7, s3
	s_branch .LBB73_64
.LBB73_63:                              ;   in Loop: Header=BB73_64 Depth=1
	s_or_b32 exec_lo, exec_lo, s6
	s_waitcnt vmcnt(0)
	v_readfirstlane_b32 s6, v2
	s_delay_alu instid0(VALU_DEP_1)
	s_cmp_eq_u32 s6, s10
	s_cbranch_scc0 .LBB73_66
.LBB73_64:                              ; =>This Inner Loop Header: Depth=1
	v_mbcnt_lo_u32_b32 v2, exec_lo, 0
	s_delay_alu instid0(VALU_DEP_1)
	v_cmp_eq_u32_e32 vcc_lo, 0, v2
                                        ; implicit-def: $vgpr2
	s_and_saveexec_b32 s6, vcc_lo
	s_cbranch_execz .LBB73_63
; %bb.65:                               ;   in Loop: Header=BB73_64 Depth=1
	global_load_b32 v2, v1, s[2:3] glc
	s_branch .LBB73_63
.LBB73_66:
	v_mov_b32_e32 v1, 0
	global_load_b32 v2, v1, s[4:5]
	s_waitcnt vmcnt(0)
	v_xor_b32_e32 v2, 1, v2
	global_store_b32 v1, v2, s[4:5]
.LBB73_67:
	s_mov_b32 s4, exec_lo
	s_delay_alu instid0(SALU_CYCLE_1) | instskip(NEXT) | instid1(VALU_DEP_1)
	v_mbcnt_lo_u32_b32 v1, s4, 0
	v_cmp_eq_u32_e32 vcc_lo, 0, v1
	s_and_b32 s2, exec_lo, vcc_lo
	s_delay_alu instid0(SALU_CYCLE_1)
	s_mov_b32 exec_lo, s2
	s_cbranch_execz .LBB73_70
; %bb.68:
	s_add_u32 s2, s22, s34
	s_addc_u32 s3, s23, s35
	s_bcnt1_i32_b32 s4, s4
	s_delay_alu instid0(SALU_CYCLE_1)
	v_cvt_f32_ubyte0_e32 v4, s4
	v_mov_b32_e32 v3, 0
	s_mov_b32 s4, 0
	global_load_b32 v2, v3, s[2:3]
	ds_load_b32 v1, v3
	s_waitcnt lgkmcnt(0)
	v_mul_f32_e32 v4, v1, v4
.LBB73_69:                              ; =>This Inner Loop Header: Depth=1
	s_waitcnt vmcnt(0)
	s_delay_alu instid0(VALU_DEP_1)
	v_add_f32_e32 v1, v2, v4
	global_atomic_cmpswap_b32 v1, v3, v[1:2], s[2:3] glc
	s_waitcnt vmcnt(0)
	v_cmp_eq_u32_e32 vcc_lo, v1, v2
	v_mov_b32_e32 v2, v1
	s_or_b32 s4, vcc_lo, s4
	s_delay_alu instid0(SALU_CYCLE_1)
	s_and_not1_b32 exec_lo, exec_lo, s4
	s_cbranch_execnz .LBB73_69
.LBB73_70:
	s_or_b32 exec_lo, exec_lo, s29
.LBB73_71:
	s_mov_b32 s3, 0
.LBB73_72:
	s_delay_alu instid0(SALU_CYCLE_1)
	s_and_not1_b32 vcc_lo, exec_lo, s3
	s_cbranch_vccnz .LBB73_116
; %bb.73:
	s_load_b32 s0, s[0:1], 0x4
	v_subrev_nc_u32_e32 v1, s30, v0
	s_waitcnt lgkmcnt(0)
	s_delay_alu instid0(VALU_DEP_1) | instskip(NEXT) | instid1(VALU_DEP_1)
	v_add_nc_u32_e32 v1, s21, v1
	v_add_nc_u32_e32 v2, 0x300, v1
	s_delay_alu instid0(VALU_DEP_1) | instskip(SKIP_1) | instid1(SALU_CYCLE_1)
	v_cmp_le_i32_e32 vcc_lo, s0, v2
	s_and_saveexec_b32 s0, vcc_lo
	s_xor_b32 s0, exec_lo, s0
	s_cbranch_execz .LBB73_78
; %bb.74:
	s_ashr_i32 s3, s25, 31
	s_mov_b32 s2, s25
	s_delay_alu instid0(SALU_CYCLE_1) | instskip(NEXT) | instid1(SALU_CYCLE_1)
	s_lshl_b64 s[2:3], s[2:3], 2
	s_add_u32 s2, s12, s2
	s_addc_u32 s3, s13, s3
	s_load_b32 s1, s[2:3], 0x0
	s_mov_b32 s2, exec_lo
	s_waitcnt lgkmcnt(0)
	s_sub_i32 s1, s1, s30
	s_delay_alu instid0(SALU_CYCLE_1)
	v_cmpx_gt_i32_e64 s1, v1
	s_cbranch_execz .LBB73_77
; %bb.75:
	v_lshlrev_b32_e32 v3, 2, v0
	s_mov_b32 s3, 0
	s_set_inst_prefetch_distance 0x1
	.p2align	6
.LBB73_76:                              ; =>This Inner Loop Header: Depth=1
	v_ashrrev_i32_e32 v2, 31, v1
	s_delay_alu instid0(VALU_DEP_1) | instskip(NEXT) | instid1(VALU_DEP_1)
	v_lshlrev_b64 v[4:5], 2, v[1:2]
	v_add_co_u32 v4, vcc_lo, s14, v4
	s_delay_alu instid0(VALU_DEP_2) | instskip(SKIP_3) | instid1(VALU_DEP_2)
	v_add_co_ci_u32_e32 v5, vcc_lo, s15, v5, vcc_lo
	global_load_b32 v6, v[4:5], off
	v_lshlrev_b64 v[4:5], 1, v[1:2]
	v_add_nc_u32_e32 v1, 0x100, v1
	v_add_co_u32 v4, vcc_lo, s16, v4
	s_delay_alu instid0(VALU_DEP_3) | instskip(SKIP_3) | instid1(VALU_DEP_1)
	v_add_co_ci_u32_e32 v5, vcc_lo, s17, v5, vcc_lo
	global_load_u16 v2, v[4:5], off
	s_waitcnt vmcnt(1)
	v_subrev_nc_u32_e32 v6, s30, v6
	v_ashrrev_i32_e32 v7, 31, v6
	s_delay_alu instid0(VALU_DEP_1) | instskip(SKIP_2) | instid1(VALU_DEP_2)
	v_lshlrev_b64 v[6:7], 1, v[6:7]
	s_waitcnt vmcnt(0)
	v_lshlrev_b32_e32 v2, 16, v2
	v_add_co_u32 v4, vcc_lo, s18, v6
	s_delay_alu instid0(VALU_DEP_3) | instskip(NEXT) | instid1(VALU_DEP_3)
	v_add_co_ci_u32_e32 v5, vcc_lo, s19, v7, vcc_lo
	v_mul_f32_e32 v2, s28, v2
	v_cmp_le_i32_e32 vcc_lo, s1, v1
	global_load_u16 v4, v[4:5], off
	s_or_b32 s3, vcc_lo, s3
	s_waitcnt vmcnt(0)
	v_lshlrev_b32_e32 v4, 16, v4
	s_delay_alu instid0(VALU_DEP_1)
	v_mul_f32_e32 v2, v2, v4
	ds_store_b32 v3, v2
	v_add_nc_u32_e32 v3, 0x400, v3
	s_and_not1_b32 exec_lo, exec_lo, s3
	s_cbranch_execnz .LBB73_76
.LBB73_77:
	s_set_inst_prefetch_distance 0x2
	s_or_b32 exec_lo, exec_lo, s2
                                        ; implicit-def: $vgpr1
.LBB73_78:
	s_or_saveexec_b32 s0, s0
	v_lshlrev_b32_e32 v6, 2, v0
	s_xor_b32 exec_lo, exec_lo, s0
	s_cbranch_execz .LBB73_80
; %bb.79:
	v_ashrrev_i32_e32 v2, 31, v1
	s_delay_alu instid0(VALU_DEP_1) | instskip(SKIP_1) | instid1(VALU_DEP_2)
	v_lshlrev_b64 v[3:4], 2, v[1:2]
	v_lshlrev_b64 v[1:2], 1, v[1:2]
	v_add_co_u32 v3, vcc_lo, s14, v3
	s_delay_alu instid0(VALU_DEP_3) | instskip(NEXT) | instid1(VALU_DEP_3)
	v_add_co_ci_u32_e32 v4, vcc_lo, s15, v4, vcc_lo
	v_add_co_u32 v1, vcc_lo, s16, v1
	s_delay_alu instid0(VALU_DEP_4)
	v_add_co_ci_u32_e32 v2, vcc_lo, s17, v2, vcc_lo
	s_clause 0x3
	global_load_b32 v5, v[3:4], off
	global_load_b32 v7, v[3:4], off offset:1024
	global_load_b32 v8, v[3:4], off offset:2048
	;; [unrolled: 1-line block ×3, first 2 shown]
	s_waitcnt vmcnt(3)
	v_subrev_nc_u32_e32 v3, s30, v5
	s_waitcnt vmcnt(2)
	v_subrev_nc_u32_e32 v7, s30, v7
	s_waitcnt vmcnt(1)
	v_subrev_nc_u32_e32 v9, s30, v8
	s_waitcnt vmcnt(0)
	v_subrev_nc_u32_e32 v11, s30, v4
	s_clause 0x3
	global_load_u16 v5, v[1:2], off
	global_load_u16 v13, v[1:2], off offset:512
	global_load_u16 v14, v[1:2], off offset:1024
	;; [unrolled: 1-line block ×3, first 2 shown]
	v_ashrrev_i32_e32 v4, 31, v3
	v_ashrrev_i32_e32 v8, 31, v7
	;; [unrolled: 1-line block ×4, first 2 shown]
	s_delay_alu instid0(VALU_DEP_4) | instskip(NEXT) | instid1(VALU_DEP_4)
	v_lshlrev_b64 v[3:4], 1, v[3:4]
	v_lshlrev_b64 v[1:2], 1, v[7:8]
	s_delay_alu instid0(VALU_DEP_4) | instskip(NEXT) | instid1(VALU_DEP_4)
	v_lshlrev_b64 v[7:8], 1, v[9:10]
	v_lshlrev_b64 v[9:10], 1, v[11:12]
	s_delay_alu instid0(VALU_DEP_4)
	v_add_co_u32 v3, vcc_lo, s18, v3
	v_add_co_ci_u32_e32 v4, vcc_lo, s19, v4, vcc_lo
	v_add_co_u32 v1, vcc_lo, s18, v1
	v_add_co_ci_u32_e32 v2, vcc_lo, s19, v2, vcc_lo
	;; [unrolled: 2-line block ×4, first 2 shown]
	s_clause 0x3
	global_load_u16 v3, v[3:4], off
	global_load_u16 v1, v[1:2], off
	;; [unrolled: 1-line block ×4, first 2 shown]
	s_waitcnt vmcnt(5)
	v_lshlrev_b32_e32 v8, 16, v14
	s_waitcnt vmcnt(4)
	v_lshlrev_b32_e32 v9, 16, v15
	s_delay_alu instid0(VALU_DEP_2) | instskip(NEXT) | instid1(VALU_DEP_2)
	v_dual_mul_f32 v8, s28, v8 :: v_dual_lshlrev_b32 v5, 16, v5
	v_mul_f32_e32 v9, s28, v9
	s_delay_alu instid0(VALU_DEP_2)
	v_mul_f32_e32 v5, s28, v5
	s_waitcnt vmcnt(2)
	v_lshlrev_b32_e32 v1, 16, v1
	s_waitcnt vmcnt(1)
	v_lshlrev_b32_e32 v2, 16, v2
	v_lshlrev_b32_e32 v7, 16, v13
	s_waitcnt vmcnt(0)
	v_lshlrev_b32_e32 v4, 16, v4
	s_delay_alu instid0(VALU_DEP_3) | instskip(NEXT) | instid1(VALU_DEP_2)
	v_dual_mul_f32 v2, v8, v2 :: v_dual_lshlrev_b32 v3, 16, v3
	v_dual_mul_f32 v7, s28, v7 :: v_dual_mul_f32 v4, v9, v4
	s_delay_alu instid0(VALU_DEP_2) | instskip(NEXT) | instid1(VALU_DEP_2)
	v_mul_f32_e32 v3, v5, v3
	v_mul_f32_e32 v1, v7, v1
	ds_store_2addr_stride64_b32 v6, v3, v1 offset1:4
	ds_store_2addr_stride64_b32 v6, v2, v4 offset0:8 offset1:12
.LBB73_80:
	s_or_b32 exec_lo, exec_lo, s0
	s_cmp_lt_i32 s11, 2
	s_mov_b32 s0, -1
	s_waitcnt lgkmcnt(0)
	s_waitcnt_vscnt null, 0x0
	s_barrier
	buffer_gl0_inv
	s_cbranch_scc0 .LBB73_91
; %bb.81:
	v_add_nc_u32_e32 v1, s24, v0
	s_mov_b32 s1, exec_lo
	s_delay_alu instid0(VALU_DEP_1)
	v_cmpx_gt_i32_e64 s25, v1
	s_cbranch_execz .LBB73_90
; %bb.82:
	v_cmp_neq_f32_e64 s2, s20, 0
	s_lshl_b32 s0, s21, 2
	s_mov_b32 s3, 0
	s_sub_i32 s4, 0, s0
	s_branch .LBB73_84
.LBB73_83:                              ;   in Loop: Header=BB73_84 Depth=1
	v_add_nc_u32_e32 v1, 0x100, v1
	v_add_co_u32 v2, s0, s22, v2
	s_delay_alu instid0(VALU_DEP_1) | instskip(NEXT) | instid1(VALU_DEP_3)
	v_add_co_ci_u32_e64 v3, s0, s23, v3, s0
	v_cmp_le_i32_e32 vcc_lo, s25, v1
	global_store_b32 v[2:3], v7, off
	s_or_b32 s3, vcc_lo, s3
	s_delay_alu instid0(SALU_CYCLE_1)
	s_and_not1_b32 exec_lo, exec_lo, s3
	s_cbranch_execz .LBB73_90
.LBB73_84:                              ; =>This Loop Header: Depth=1
                                        ;     Child Loop BB73_86 Depth 2
	v_ashrrev_i32_e32 v2, 31, v1
	v_mov_b32_e32 v7, 0
	s_mov_b32 s0, exec_lo
	s_delay_alu instid0(VALU_DEP_2) | instskip(NEXT) | instid1(VALU_DEP_1)
	v_lshlrev_b64 v[2:3], 2, v[1:2]
	v_add_co_u32 v4, vcc_lo, s12, v2
	s_delay_alu instid0(VALU_DEP_2)
	v_add_co_ci_u32_e32 v5, vcc_lo, s13, v3, vcc_lo
	global_load_b64 v[4:5], v[4:5], off
	s_waitcnt vmcnt(0)
	v_cmpx_lt_i32_e64 v4, v5
	s_cbranch_execz .LBB73_88
; %bb.85:                               ;   in Loop: Header=BB73_84 Depth=1
	v_subrev_nc_u32_e32 v5, s21, v5
	v_subrev_nc_u32_e32 v8, s21, v4
	v_lshl_add_u32 v4, v4, 2, s4
	v_mov_b32_e32 v7, 0
	s_mov_b32 s5, 0
.LBB73_86:                              ;   Parent Loop BB73_84 Depth=1
                                        ; =>  This Inner Loop Header: Depth=2
	ds_load_b32 v9, v4
	v_add_nc_u32_e32 v8, 1, v8
	s_waitcnt lgkmcnt(0)
	v_dual_add_f32 v7, v7, v9 :: v_dual_add_nc_u32 v4, 4, v4
	s_delay_alu instid0(VALU_DEP_2) | instskip(SKIP_1) | instid1(SALU_CYCLE_1)
	v_cmp_ge_i32_e32 vcc_lo, v8, v5
	s_or_b32 s5, vcc_lo, s5
	s_and_not1_b32 exec_lo, exec_lo, s5
	s_cbranch_execnz .LBB73_86
; %bb.87:                               ;   in Loop: Header=BB73_84 Depth=1
	s_or_b32 exec_lo, exec_lo, s5
.LBB73_88:                              ;   in Loop: Header=BB73_84 Depth=1
	s_delay_alu instid0(SALU_CYCLE_1) | instskip(NEXT) | instid1(SALU_CYCLE_1)
	s_or_b32 exec_lo, exec_lo, s0
	s_and_b32 vcc_lo, exec_lo, s2
	s_cbranch_vccz .LBB73_83
; %bb.89:                               ;   in Loop: Header=BB73_84 Depth=1
	v_add_co_u32 v4, vcc_lo, s22, v2
	v_add_co_ci_u32_e32 v5, vcc_lo, s23, v3, vcc_lo
	global_load_b32 v4, v[4:5], off
	s_waitcnt vmcnt(0)
	v_fmac_f32_e32 v7, s20, v4
	s_branch .LBB73_83
.LBB73_90:
	s_or_b32 exec_lo, exec_lo, s1
	s_mov_b32 s0, 0
.LBB73_91:
	s_delay_alu instid0(SALU_CYCLE_1)
	s_and_not1_b32 vcc_lo, exec_lo, s0
	s_cbranch_vccnz .LBB73_116
; %bb.92:
	s_clz_i32_u32 s0, s11
	s_mov_b32 s1, exec_lo
	s_xor_b32 s0, s0, 31
	v_mov_b32_e32 v2, 0
	v_lshrrev_b32_e32 v3, s0, v0
	s_add_i32 s0, s11, -1
	s_delay_alu instid0(SALU_CYCLE_1) | instskip(NEXT) | instid1(VALU_DEP_2)
	v_and_b32_e32 v0, s0, v0
	v_add_nc_u32_e32 v1, s24, v3
	s_delay_alu instid0(VALU_DEP_1)
	v_cmp_le_i32_e32 vcc_lo, s25, v1
	v_cmpx_gt_i32_e64 s25, v1
	s_cbranch_execz .LBB73_98
; %bb.93:
	v_lshlrev_b32_e32 v2, 2, v3
	v_subrev_nc_u32_e32 v4, s21, v0
	s_mov_b32 s2, exec_lo
	global_load_b64 v[2:3], v2, s[26:27]
	s_waitcnt vmcnt(0)
	v_subrev_nc_u32_e32 v3, s21, v3
	v_add_nc_u32_e32 v4, v2, v4
	v_mov_b32_e32 v2, 0
	s_delay_alu instid0(VALU_DEP_2)
	v_cmpx_lt_i32_e64 v4, v3
	s_cbranch_execz .LBB73_97
; %bb.94:
	v_dual_mov_b32 v2, 0 :: v_dual_lshlrev_b32 v5, 2, v4
	s_lshl_b32 s4, s11, 2
	s_mov_b32 s3, 0
.LBB73_95:                              ; =>This Inner Loop Header: Depth=1
	ds_load_b32 v7, v5
	v_add_nc_u32_e32 v4, s11, v4
	v_add_nc_u32_e32 v5, s4, v5
	s_delay_alu instid0(VALU_DEP_2) | instskip(NEXT) | instid1(VALU_DEP_1)
	v_cmp_ge_i32_e64 s0, v4, v3
	s_or_b32 s3, s0, s3
	s_waitcnt lgkmcnt(0)
	v_add_f32_e32 v2, v2, v7
	s_and_not1_b32 exec_lo, exec_lo, s3
	s_cbranch_execnz .LBB73_95
; %bb.96:
	s_or_b32 exec_lo, exec_lo, s3
.LBB73_97:
	s_delay_alu instid0(SALU_CYCLE_1)
	s_or_b32 exec_lo, exec_lo, s2
.LBB73_98:
	s_delay_alu instid0(SALU_CYCLE_1)
	s_or_b32 exec_lo, exec_lo, s1
	s_cmpk_lt_i32 s11, 0x81
	s_waitcnt_vscnt null, 0x0
	s_barrier
	buffer_gl0_inv
	ds_store_b32 v6, v2
	s_waitcnt lgkmcnt(0)
	s_barrier
	buffer_gl0_inv
	s_cbranch_scc1 .LBB73_100
; %bb.99:
	ds_load_b32 v3, v6 offset:512
	s_waitcnt lgkmcnt(0)
	s_barrier
	buffer_gl0_inv
	v_add_f32_e32 v2, v2, v3
	ds_store_b32 v6, v2
.LBB73_100:
	s_cmpk_lt_i32 s11, 0x41
	s_waitcnt lgkmcnt(0)
	s_barrier
	buffer_gl0_inv
	s_cbranch_scc1 .LBB73_102
; %bb.101:
	ds_load_b32 v3, v6 offset:256
	s_waitcnt lgkmcnt(0)
	s_barrier
	buffer_gl0_inv
	v_add_f32_e32 v2, v2, v3
	ds_store_b32 v6, v2
.LBB73_102:
	s_cmp_lt_i32 s11, 33
	s_waitcnt lgkmcnt(0)
	s_barrier
	buffer_gl0_inv
	s_cbranch_scc1 .LBB73_104
; %bb.103:
	ds_load_b32 v3, v6 offset:128
	s_waitcnt lgkmcnt(0)
	s_barrier
	buffer_gl0_inv
	v_add_f32_e32 v2, v2, v3
	ds_store_b32 v6, v2
.LBB73_104:
	s_cmp_lt_i32 s11, 17
	;; [unrolled: 13-line block ×4, first 2 shown]
	s_waitcnt lgkmcnt(0)
	s_barrier
	buffer_gl0_inv
	s_cbranch_scc1 .LBB73_110
; %bb.109:
	ds_load_b32 v3, v6 offset:16
	s_waitcnt lgkmcnt(0)
	s_barrier
	buffer_gl0_inv
	v_add_f32_e32 v2, v2, v3
	ds_store_b32 v6, v2
.LBB73_110:
	s_cmp_eq_u32 s11, 2
	s_waitcnt lgkmcnt(0)
	s_barrier
	buffer_gl0_inv
	s_cbranch_scc1 .LBB73_112
; %bb.111:
	ds_load_b32 v3, v6 offset:8
	s_waitcnt lgkmcnt(0)
	s_barrier
	buffer_gl0_inv
	v_add_f32_e32 v2, v2, v3
	ds_store_b32 v6, v2
.LBB73_112:
	s_waitcnt lgkmcnt(0)
	s_barrier
	buffer_gl0_inv
	ds_load_b32 v3, v6 offset:4
	v_cmp_eq_u32_e64 s0, 0, v0
	s_xor_b32 s1, vcc_lo, -1
	s_waitcnt lgkmcnt(0)
	s_barrier
	buffer_gl0_inv
	s_and_b32 s0, s0, s1
	v_add_f32_e32 v3, v2, v3
	ds_store_b32 v6, v3
	s_and_saveexec_b32 s1, s0
	s_cbranch_execz .LBB73_116
; %bb.113:
	v_ashrrev_i32_e32 v2, 31, v1
	v_cmp_eq_f32_e64 s0, s20, 0
	s_delay_alu instid0(VALU_DEP_2) | instskip(NEXT) | instid1(VALU_DEP_2)
	v_lshlrev_b64 v[0:1], 2, v[1:2]
	s_and_b32 vcc_lo, exec_lo, s0
	s_cbranch_vccnz .LBB73_115
; %bb.114:
	s_delay_alu instid0(VALU_DEP_1) | instskip(NEXT) | instid1(VALU_DEP_2)
	v_add_co_u32 v4, vcc_lo, s22, v0
	v_add_co_ci_u32_e32 v5, vcc_lo, s23, v1, vcc_lo
	global_load_b32 v2, v[4:5], off
	s_waitcnt vmcnt(0)
	v_fmac_f32_e32 v3, s20, v2
.LBB73_115:
	s_delay_alu instid0(VALU_DEP_1) | instskip(NEXT) | instid1(VALU_DEP_2)
	v_add_co_u32 v0, vcc_lo, s22, v0
	v_add_co_ci_u32_e32 v1, vcc_lo, s23, v1, vcc_lo
	global_store_b32 v[0:1], v3, off
.LBB73_116:
	s_nop 0
	s_sendmsg sendmsg(MSG_DEALLOC_VGPRS)
	s_endpgm
	.section	.rodata,"a",@progbits
	.p2align	6, 0x0
	.amdhsa_kernel _ZN9rocsparseL22csrmvn_adaptive_kernelIii18rocsparse_bfloat16S1_ffEEvbT_PKS2_PjPKT0_NS_24const_host_device_scalarIT4_EES4_S8_PKT1_PKT2_SB_PT3_21rocsparse_index_base_b
		.amdhsa_group_segment_fixed_size 4096
		.amdhsa_private_segment_fixed_size 0
		.amdhsa_kernarg_size 96
		.amdhsa_user_sgpr_count 15
		.amdhsa_user_sgpr_dispatch_ptr 0
		.amdhsa_user_sgpr_queue_ptr 0
		.amdhsa_user_sgpr_kernarg_segment_ptr 1
		.amdhsa_user_sgpr_dispatch_id 0
		.amdhsa_user_sgpr_private_segment_size 0
		.amdhsa_wavefront_size32 1
		.amdhsa_uses_dynamic_stack 0
		.amdhsa_enable_private_segment 0
		.amdhsa_system_sgpr_workgroup_id_x 1
		.amdhsa_system_sgpr_workgroup_id_y 0
		.amdhsa_system_sgpr_workgroup_id_z 0
		.amdhsa_system_sgpr_workgroup_info 0
		.amdhsa_system_vgpr_workitem_id 0
		.amdhsa_next_free_vgpr 16
		.amdhsa_next_free_sgpr 46
		.amdhsa_reserve_vcc 1
		.amdhsa_float_round_mode_32 0
		.amdhsa_float_round_mode_16_64 0
		.amdhsa_float_denorm_mode_32 3
		.amdhsa_float_denorm_mode_16_64 3
		.amdhsa_dx10_clamp 1
		.amdhsa_ieee_mode 1
		.amdhsa_fp16_overflow 0
		.amdhsa_workgroup_processor_mode 1
		.amdhsa_memory_ordered 1
		.amdhsa_forward_progress 0
		.amdhsa_shared_vgpr_count 0
		.amdhsa_exception_fp_ieee_invalid_op 0
		.amdhsa_exception_fp_denorm_src 0
		.amdhsa_exception_fp_ieee_div_zero 0
		.amdhsa_exception_fp_ieee_overflow 0
		.amdhsa_exception_fp_ieee_underflow 0
		.amdhsa_exception_fp_ieee_inexact 0
		.amdhsa_exception_int_div_zero 0
	.end_amdhsa_kernel
	.section	.text._ZN9rocsparseL22csrmvn_adaptive_kernelIii18rocsparse_bfloat16S1_ffEEvbT_PKS2_PjPKT0_NS_24const_host_device_scalarIT4_EES4_S8_PKT1_PKT2_SB_PT3_21rocsparse_index_base_b,"axG",@progbits,_ZN9rocsparseL22csrmvn_adaptive_kernelIii18rocsparse_bfloat16S1_ffEEvbT_PKS2_PjPKT0_NS_24const_host_device_scalarIT4_EES4_S8_PKT1_PKT2_SB_PT3_21rocsparse_index_base_b,comdat
.Lfunc_end73:
	.size	_ZN9rocsparseL22csrmvn_adaptive_kernelIii18rocsparse_bfloat16S1_ffEEvbT_PKS2_PjPKT0_NS_24const_host_device_scalarIT4_EES4_S8_PKT1_PKT2_SB_PT3_21rocsparse_index_base_b, .Lfunc_end73-_ZN9rocsparseL22csrmvn_adaptive_kernelIii18rocsparse_bfloat16S1_ffEEvbT_PKS2_PjPKT0_NS_24const_host_device_scalarIT4_EES4_S8_PKT1_PKT2_SB_PT3_21rocsparse_index_base_b
                                        ; -- End function
	.section	.AMDGPU.csdata,"",@progbits
; Kernel info:
; codeLenInByte = 4436
; NumSgprs: 48
; NumVgprs: 16
; ScratchSize: 0
; MemoryBound: 0
; FloatMode: 240
; IeeeMode: 1
; LDSByteSize: 4096 bytes/workgroup (compile time only)
; SGPRBlocks: 5
; VGPRBlocks: 1
; NumSGPRsForWavesPerEU: 48
; NumVGPRsForWavesPerEU: 16
; Occupancy: 16
; WaveLimiterHint : 1
; COMPUTE_PGM_RSRC2:SCRATCH_EN: 0
; COMPUTE_PGM_RSRC2:USER_SGPR: 15
; COMPUTE_PGM_RSRC2:TRAP_HANDLER: 0
; COMPUTE_PGM_RSRC2:TGID_X_EN: 1
; COMPUTE_PGM_RSRC2:TGID_Y_EN: 0
; COMPUTE_PGM_RSRC2:TGID_Z_EN: 0
; COMPUTE_PGM_RSRC2:TIDIG_COMP_CNT: 0
	.section	.text._ZN9rocsparseL27csrmvn_symm_adaptive_kernelIii18rocsparse_bfloat16S1_ffEEvbT_S2_PKS2_NS_24const_host_device_scalarIT4_EES4_PKT0_PKT1_PKT2_S7_PT3_21rocsparse_index_base_b,"axG",@progbits,_ZN9rocsparseL27csrmvn_symm_adaptive_kernelIii18rocsparse_bfloat16S1_ffEEvbT_S2_PKS2_NS_24const_host_device_scalarIT4_EES4_PKT0_PKT1_PKT2_S7_PT3_21rocsparse_index_base_b,comdat
	.globl	_ZN9rocsparseL27csrmvn_symm_adaptive_kernelIii18rocsparse_bfloat16S1_ffEEvbT_S2_PKS2_NS_24const_host_device_scalarIT4_EES4_PKT0_PKT1_PKT2_S7_PT3_21rocsparse_index_base_b ; -- Begin function _ZN9rocsparseL27csrmvn_symm_adaptive_kernelIii18rocsparse_bfloat16S1_ffEEvbT_S2_PKS2_NS_24const_host_device_scalarIT4_EES4_PKT0_PKT1_PKT2_S7_PT3_21rocsparse_index_base_b
	.p2align	8
	.type	_ZN9rocsparseL27csrmvn_symm_adaptive_kernelIii18rocsparse_bfloat16S1_ffEEvbT_S2_PKS2_NS_24const_host_device_scalarIT4_EES4_PKT0_PKT1_PKT2_S7_PT3_21rocsparse_index_base_b,@function
_ZN9rocsparseL27csrmvn_symm_adaptive_kernelIii18rocsparse_bfloat16S1_ffEEvbT_S2_PKS2_NS_24const_host_device_scalarIT4_EES4_PKT0_PKT1_PKT2_S7_PT3_21rocsparse_index_base_b: ; @_ZN9rocsparseL27csrmvn_symm_adaptive_kernelIii18rocsparse_bfloat16S1_ffEEvbT_S2_PKS2_NS_24const_host_device_scalarIT4_EES4_PKT0_PKT1_PKT2_S7_PT3_21rocsparse_index_base_b
; %bb.0:
	s_clause 0x2
	s_load_b64 s[20:21], s[0:1], 0x50
	s_load_b64 s[22:23], s[0:1], 0x18
	;; [unrolled: 1-line block ×3, first 2 shown]
	s_mov_b32 s2, s15
	s_waitcnt lgkmcnt(0)
	s_bitcmp1_b32 s21, 0
	s_cselect_b32 s3, -1, 0
	s_delay_alu instid0(SALU_CYCLE_1)
	s_and_b32 vcc_lo, exec_lo, s3
	s_xor_b32 s3, s3, -1
	s_cbranch_vccnz .LBB74_2
; %bb.1:
	s_load_b32 s22, s[22:23], 0x0
.LBB74_2:
	s_and_not1_b32 vcc_lo, exec_lo, s3
	s_cbranch_vccnz .LBB74_4
; %bb.3:
	s_load_b32 s4, s[4:5], 0x0
.LBB74_4:
	s_waitcnt lgkmcnt(0)
	v_cmp_neq_f32_e64 s3, s22, 0
	v_cmp_neq_f32_e64 s4, s4, 1.0
	s_delay_alu instid0(VALU_DEP_1) | instskip(NEXT) | instid1(SALU_CYCLE_1)
	s_or_b32 s3, s3, s4
	s_and_not1_b32 vcc_lo, exec_lo, s3
	s_cbranch_vccnz .LBB74_158
; %bb.5:
	s_load_b64 s[4:5], s[0:1], 0x10
	s_ashr_i32 s3, s2, 31
	v_dual_mov_b32 v1, 0 :: v_dual_lshlrev_b32 v8, 2, v0
	s_lshl_b64 s[2:3], s[2:3], 2
	ds_store_2addr_stride64_b32 v8, v1, v1 offset1:4
	ds_store_2addr_stride64_b32 v8, v1, v1 offset0:8 offset1:12
	s_waitcnt lgkmcnt(0)
	s_barrier
	buffer_gl0_inv
	v_subrev_nc_u32_e32 v6, s20, v0
	s_add_u32 s2, s4, s2
	s_addc_u32 s3, s5, s3
	s_load_b64 s[18:19], s[2:3], 0x0
	s_clause 0x1
	s_load_b256 s[8:15], s[0:1], 0x20
	s_load_b64 s[16:17], s[0:1], 0x48
	s_mov_b32 s2, -1
	s_waitcnt lgkmcnt(0)
	s_sub_i32 s21, s19, s18
	s_delay_alu instid0(SALU_CYCLE_1)
	s_cmp_gt_i32 s21, 2
	s_cbranch_scc1 .LBB74_40
; %bb.6:
	s_cmp_gt_i32 s19, s18
	s_cbranch_scc1 .LBB74_8
; %bb.7:
	s_ashr_i32 s3, s18, 31
	s_mov_b32 s2, s18
	s_delay_alu instid0(SALU_CYCLE_1) | instskip(NEXT) | instid1(SALU_CYCLE_1)
	s_lshl_b64 s[2:3], s[2:3], 2
	s_add_u32 s2, s8, s2
	s_addc_u32 s3, s9, s3
	s_load_b32 s23, s[2:3], 0x0
	s_cbranch_execz .LBB74_9
	s_branch .LBB74_29
.LBB74_8:
                                        ; implicit-def: $sgpr23
	s_and_not1_b32 vcc_lo, exec_lo, s2
	s_cbranch_vccnz .LBB74_29
.LBB74_9:
	s_ashr_i32 s3, s18, 31
	s_mov_b32 s2, s18
	v_cmp_gt_u32_e32 vcc_lo, 0x100, v0
	s_lshl_b64 s[2:3], s[2:3], 2
	v_cmp_gt_u32_e64 s4, 4, v0
	s_add_u32 s2, s8, s2
	s_addc_u32 s3, s9, s3
	v_cmp_eq_u32_e64 s5, 0, v0
	s_waitcnt lgkmcnt(0)
	s_load_b32 s23, s[2:3], 0x0
	v_cmp_gt_u32_e64 s2, 64, v0
	v_cmp_gt_u32_e64 s3, 16, v0
	v_mov_b32_e32 v7, 0
	s_add_u32 s28, s8, 4
	s_addc_u32 s29, s9, 0
	s_mov_b32 s24, s18
	s_waitcnt lgkmcnt(0)
	s_mov_b32 s30, s23
	s_branch .LBB74_11
.LBB74_10:                              ;   in Loop: Header=BB74_11 Depth=1
	s_or_b32 exec_lo, exec_lo, s7
	s_add_i32 s24, s24, 1
	s_delay_alu instid0(SALU_CYCLE_1)
	s_cmp_ge_i32 s24, s19
	s_cbranch_scc1 .LBB74_29
.LBB74_11:                              ; =>This Loop Header: Depth=1
                                        ;     Child Loop BB74_13 Depth 2
                                        ;     Child Loop BB74_28 Depth 2
	s_ashr_i32 s25, s24, 31
	v_mov_b32_e32 v9, 0
	s_lshl_b64 s[26:27], s[24:25], 2
	s_mov_b32 s25, s30
	s_add_u32 s6, s28, s26
	s_addc_u32 s7, s29, s27
	v_add_nc_u32_e32 v1, s25, v6
	s_load_b32 s30, s[6:7], 0x0
	s_mov_b32 s25, exec_lo
	s_waitcnt lgkmcnt(0)
	s_sub_i32 s31, s30, s20
	s_delay_alu instid0(SALU_CYCLE_1)
	v_cmpx_gt_i32_e64 s31, v1
	s_cbranch_execz .LBB74_15
; %bb.12:                               ;   in Loop: Header=BB74_11 Depth=1
	v_ashrrev_i32_e32 v2, 31, v1
	s_mov_b32 s33, 0
	s_delay_alu instid0(VALU_DEP_1) | instskip(SKIP_1) | instid1(VALU_DEP_2)
	v_lshlrev_b64 v[3:4], 2, v[1:2]
	v_lshlrev_b64 v[9:10], 1, v[1:2]
	v_add_co_u32 v2, s6, s10, v3
	s_delay_alu instid0(VALU_DEP_1) | instskip(NEXT) | instid1(VALU_DEP_3)
	v_add_co_ci_u32_e64 v3, s6, s11, v4, s6
	v_add_co_u32 v4, s6, s12, v9
	s_delay_alu instid0(VALU_DEP_1)
	v_add_co_ci_u32_e64 v5, s6, s13, v10, s6
	v_mov_b32_e32 v9, 0
	s_set_inst_prefetch_distance 0x1
	.p2align	6
.LBB74_13:                              ;   Parent Loop BB74_11 Depth=1
                                        ; =>  This Inner Loop Header: Depth=2
	global_load_b32 v10, v[2:3], off
	v_add_nc_u32_e32 v1, 0x100, v1
	s_delay_alu instid0(VALU_DEP_1) | instskip(NEXT) | instid1(VALU_DEP_1)
	v_cmp_le_i32_e64 s7, s31, v1
	s_or_b32 s33, s7, s33
	s_waitcnt vmcnt(0)
	v_subrev_nc_u32_e32 v10, s20, v10
	s_delay_alu instid0(VALU_DEP_1) | instskip(NEXT) | instid1(VALU_DEP_1)
	v_ashrrev_i32_e32 v11, 31, v10
	v_lshlrev_b64 v[10:11], 1, v[10:11]
	s_delay_alu instid0(VALU_DEP_1) | instskip(NEXT) | instid1(VALU_DEP_1)
	v_add_co_u32 v10, s6, s14, v10
	v_add_co_ci_u32_e64 v11, s6, s15, v11, s6
	v_add_co_u32 v2, s6, 0x400, v2
	global_load_u16 v12, v[4:5], off
	global_load_u16 v10, v[10:11], off
	v_add_co_ci_u32_e64 v3, s6, 0, v3, s6
	v_add_co_u32 v4, s6, 0x200, v4
	s_delay_alu instid0(VALU_DEP_1) | instskip(SKIP_4) | instid1(VALU_DEP_1)
	v_add_co_ci_u32_e64 v5, s6, 0, v5, s6
	s_waitcnt vmcnt(1)
	v_lshlrev_b32_e32 v11, 16, v12
	s_waitcnt vmcnt(0)
	v_lshlrev_b32_e32 v10, 16, v10
	v_fmac_f32_e32 v9, v11, v10
	s_and_not1_b32 exec_lo, exec_lo, s33
	s_cbranch_execnz .LBB74_13
; %bb.14:                               ;   in Loop: Header=BB74_11 Depth=1
	s_set_inst_prefetch_distance 0x2
	s_or_b32 exec_lo, exec_lo, s33
.LBB74_15:                              ;   in Loop: Header=BB74_11 Depth=1
	s_delay_alu instid0(SALU_CYCLE_1)
	s_or_b32 exec_lo, exec_lo, s25
	ds_store_b32 v8, v9
	s_waitcnt lgkmcnt(0)
	s_barrier
	buffer_gl0_inv
	s_and_saveexec_b32 s6, vcc_lo
	s_cbranch_execz .LBB74_17
; %bb.16:                               ;   in Loop: Header=BB74_11 Depth=1
	ds_load_2addr_stride64_b32 v[1:2], v8 offset1:4
	ds_load_2addr_stride64_b32 v[3:4], v8 offset0:8 offset1:12
	s_waitcnt lgkmcnt(0)
	v_add_f32_e32 v2, v2, v3
	s_delay_alu instid0(VALU_DEP_1) | instskip(NEXT) | instid1(VALU_DEP_1)
	v_add_f32_e32 v2, v2, v4
	v_add_f32_e32 v1, v1, v2
	ds_store_b32 v8, v1
.LBB74_17:                              ;   in Loop: Header=BB74_11 Depth=1
	s_or_b32 exec_lo, exec_lo, s6
	s_waitcnt lgkmcnt(0)
	s_barrier
	buffer_gl0_inv
	s_and_saveexec_b32 s6, s2
	s_cbranch_execz .LBB74_19
; %bb.18:                               ;   in Loop: Header=BB74_11 Depth=1
	ds_load_2addr_stride64_b32 v[1:2], v8 offset1:1
	ds_load_2addr_stride64_b32 v[3:4], v8 offset0:2 offset1:3
	s_waitcnt lgkmcnt(0)
	v_add_f32_e32 v2, v2, v3
	s_delay_alu instid0(VALU_DEP_1) | instskip(NEXT) | instid1(VALU_DEP_1)
	v_add_f32_e32 v2, v2, v4
	v_add_f32_e32 v1, v1, v2
	ds_store_b32 v8, v1
.LBB74_19:                              ;   in Loop: Header=BB74_11 Depth=1
	s_or_b32 exec_lo, exec_lo, s6
	s_waitcnt lgkmcnt(0)
	s_barrier
	buffer_gl0_inv
	s_and_saveexec_b32 s6, s3
	s_cbranch_execz .LBB74_21
; %bb.20:                               ;   in Loop: Header=BB74_11 Depth=1
	ds_load_2addr_b32 v[1:2], v8 offset1:16
	ds_load_2addr_b32 v[3:4], v8 offset0:32 offset1:48
	s_waitcnt lgkmcnt(0)
	v_add_f32_e32 v2, v2, v3
	s_delay_alu instid0(VALU_DEP_1) | instskip(NEXT) | instid1(VALU_DEP_1)
	v_add_f32_e32 v2, v2, v4
	v_add_f32_e32 v1, v1, v2
	ds_store_b32 v8, v1
.LBB74_21:                              ;   in Loop: Header=BB74_11 Depth=1
	s_or_b32 exec_lo, exec_lo, s6
	s_waitcnt lgkmcnt(0)
	s_barrier
	buffer_gl0_inv
	s_and_saveexec_b32 s6, s4
	s_cbranch_execz .LBB74_23
; %bb.22:                               ;   in Loop: Header=BB74_11 Depth=1
	ds_load_2addr_b32 v[1:2], v8 offset1:4
	ds_load_2addr_b32 v[3:4], v8 offset0:8 offset1:12
	s_waitcnt lgkmcnt(0)
	v_add_f32_e32 v2, v2, v3
	s_delay_alu instid0(VALU_DEP_1) | instskip(NEXT) | instid1(VALU_DEP_1)
	v_add_f32_e32 v2, v2, v4
	v_add_f32_e32 v1, v1, v2
	ds_store_b32 v8, v1
.LBB74_23:                              ;   in Loop: Header=BB74_11 Depth=1
	s_or_b32 exec_lo, exec_lo, s6
	s_waitcnt lgkmcnt(0)
	s_barrier
	buffer_gl0_inv
	s_and_saveexec_b32 s6, s5
	s_cbranch_execz .LBB74_25
; %bb.24:                               ;   in Loop: Header=BB74_11 Depth=1
	ds_load_2addr_b32 v[1:2], v7 offset0:1 offset1:2
	ds_load_b32 v3, v7 offset:12
	ds_load_b32 v4, v8
	s_waitcnt lgkmcnt(2)
	v_add_f32_e32 v1, v1, v2
	s_waitcnt lgkmcnt(1)
	s_delay_alu instid0(VALU_DEP_1) | instskip(SKIP_1) | instid1(VALU_DEP_1)
	v_add_f32_e32 v1, v1, v3
	s_waitcnt lgkmcnt(0)
	v_add_f32_e32 v1, v4, v1
	ds_store_b32 v8, v1
.LBB74_25:                              ;   in Loop: Header=BB74_11 Depth=1
	s_or_b32 exec_lo, exec_lo, s6
	s_waitcnt lgkmcnt(0)
	s_barrier
	buffer_gl0_inv
	s_and_saveexec_b32 s7, s5
	s_cbranch_execz .LBB74_10
; %bb.26:                               ;   in Loop: Header=BB74_11 Depth=1
	s_mov_b32 s25, exec_lo
	s_delay_alu instid0(SALU_CYCLE_1) | instskip(NEXT) | instid1(VALU_DEP_1)
	v_mbcnt_lo_u32_b32 v1, s25, 0
	v_cmp_eq_u32_e64 s6, 0, v1
	s_delay_alu instid0(VALU_DEP_1) | instskip(NEXT) | instid1(SALU_CYCLE_1)
	s_and_b32 s6, exec_lo, s6
	s_mov_b32 exec_lo, s6
	s_cbranch_execz .LBB74_10
; %bb.27:                               ;   in Loop: Header=BB74_11 Depth=1
	s_add_u32 s26, s16, s26
	s_addc_u32 s27, s17, s27
	s_bcnt1_i32_b32 s6, s25
	global_load_b32 v2, v7, s[26:27]
	ds_load_b32 v1, v7
	v_cvt_f32_ubyte0_e32 v3, s6
	s_mov_b32 s25, 0
	s_waitcnt lgkmcnt(0)
	v_mul_f32_e32 v1, s22, v1
	s_delay_alu instid0(VALU_DEP_1)
	v_mul_f32_e32 v3, v1, v3
.LBB74_28:                              ;   Parent Loop BB74_11 Depth=1
                                        ; =>  This Inner Loop Header: Depth=2
	s_waitcnt vmcnt(0)
	s_delay_alu instid0(VALU_DEP_1) | instskip(SKIP_4) | instid1(VALU_DEP_2)
	v_add_f32_e32 v1, v2, v3
	global_atomic_cmpswap_b32 v1, v7, v[1:2], s[26:27] glc
	s_waitcnt vmcnt(0)
	v_cmp_eq_u32_e64 s6, v1, v2
	v_mov_b32_e32 v2, v1
	s_or_b32 s25, s6, s25
	s_delay_alu instid0(SALU_CYCLE_1)
	s_and_not1_b32 exec_lo, exec_lo, s25
	s_cbranch_execnz .LBB74_28
	s_branch .LBB74_10
.LBB74_29:
	s_ashr_i32 s3, s19, 31
	s_mov_b32 s2, s19
	s_waitcnt lgkmcnt(0)
	v_add_nc_u32_e32 v1, s23, v6
	s_lshl_b64 s[2:3], s[2:3], 2
	s_mov_b32 s4, exec_lo
	s_add_u32 s2, s8, s2
	s_addc_u32 s3, s9, s3
	s_load_b32 s2, s[2:3], 0x0
	s_waitcnt lgkmcnt(0)
	s_sub_i32 s3, s2, s20
	s_delay_alu instid0(SALU_CYCLE_1)
	v_cmpx_gt_i32_e64 s3, v1
	s_cbranch_execz .LBB74_39
; %bb.30:
	s_add_i32 s5, s19, -1
	s_mov_b32 s7, 0
	s_cmp_gt_i32 s5, s18
	s_cselect_b32 s2, -1, 0
	s_add_i32 s6, s19, -2
	s_delay_alu instid0(SALU_CYCLE_1) | instskip(SKIP_1) | instid1(SALU_CYCLE_1)
	s_cmp_lg_u32 s6, s18
	s_cselect_b32 s6, -1, 0
	s_and_b32 s6, s2, s6
	s_branch .LBB74_32
.LBB74_31:                              ;   in Loop: Header=BB74_32 Depth=1
	s_or_b32 exec_lo, exec_lo, s2
	v_add_nc_u32_e32 v1, 0x100, v1
	s_delay_alu instid0(VALU_DEP_1) | instskip(SKIP_1) | instid1(SALU_CYCLE_1)
	v_cmp_le_i32_e32 vcc_lo, s3, v1
	s_or_b32 s7, vcc_lo, s7
	s_and_not1_b32 exec_lo, exec_lo, s7
	s_cbranch_execz .LBB74_39
.LBB74_32:                              ; =>This Loop Header: Depth=1
                                        ;     Child Loop BB74_34 Depth 2
                                        ;     Child Loop BB74_38 Depth 2
	v_mov_b32_e32 v5, s18
	v_mov_b32_e32 v3, s5
	s_and_not1_b32 vcc_lo, exec_lo, s6
	s_cbranch_vccnz .LBB74_36
; %bb.33:                               ;   in Loop: Header=BB74_32 Depth=1
	v_mov_b32_e32 v5, s18
	v_mov_b32_e32 v3, s5
	s_mov_b32 s23, 0
	.p2align	6
.LBB74_34:                              ;   Parent Loop BB74_32 Depth=1
                                        ; =>  This Inner Loop Header: Depth=2
	s_delay_alu instid0(VALU_DEP_1) | instskip(NEXT) | instid1(VALU_DEP_1)
	v_add_nc_u32_e32 v2, v3, v5
	v_lshrrev_b32_e32 v4, 31, v2
	s_delay_alu instid0(VALU_DEP_1) | instskip(NEXT) | instid1(VALU_DEP_1)
	v_add_nc_u32_e32 v2, v2, v4
	v_ashrrev_i32_e32 v9, 1, v2
	s_delay_alu instid0(VALU_DEP_1) | instskip(NEXT) | instid1(VALU_DEP_1)
	v_ashrrev_i32_e32 v10, 31, v9
	v_lshlrev_b64 v[10:11], 2, v[9:10]
	s_delay_alu instid0(VALU_DEP_1) | instskip(NEXT) | instid1(VALU_DEP_2)
	v_add_co_u32 v10, vcc_lo, s8, v10
	v_add_co_ci_u32_e32 v11, vcc_lo, s9, v11, vcc_lo
	global_load_b32 v2, v[10:11], off
	s_waitcnt vmcnt(0)
	v_subrev_nc_u32_e32 v2, s20, v2
	s_delay_alu instid0(VALU_DEP_1) | instskip(SKIP_1) | instid1(VALU_DEP_1)
	v_cmp_gt_i32_e32 vcc_lo, v2, v1
	v_cndmask_b32_e32 v3, v3, v9, vcc_lo
	v_dual_cndmask_b32 v5, v9, v5 :: v_dual_add_nc_u32 v2, -1, v3
	s_delay_alu instid0(VALU_DEP_1) | instskip(NEXT) | instid1(VALU_DEP_2)
	v_cmp_ge_i32_e32 vcc_lo, v5, v3
	v_cmp_eq_u32_e64 s2, v5, v2
	s_delay_alu instid0(VALU_DEP_1) | instskip(NEXT) | instid1(SALU_CYCLE_1)
	s_or_b32 s2, vcc_lo, s2
	s_and_b32 s2, exec_lo, s2
	s_delay_alu instid0(SALU_CYCLE_1) | instskip(NEXT) | instid1(SALU_CYCLE_1)
	s_or_b32 s23, s2, s23
	s_and_not1_b32 exec_lo, exec_lo, s23
	s_cbranch_execnz .LBB74_34
; %bb.35:                               ;   in Loop: Header=BB74_32 Depth=1
	s_or_b32 exec_lo, exec_lo, s23
.LBB74_36:                              ;   in Loop: Header=BB74_32 Depth=1
	s_delay_alu instid0(VALU_DEP_1) | instskip(SKIP_2) | instid1(VALU_DEP_2)
	v_ashrrev_i32_e32 v4, 31, v3
	v_ashrrev_i32_e32 v2, 31, v1
	s_mov_b32 s2, exec_lo
	v_lshlrev_b64 v[9:10], 2, v[3:4]
	s_delay_alu instid0(VALU_DEP_2) | instskip(NEXT) | instid1(VALU_DEP_2)
	v_lshlrev_b64 v[11:12], 2, v[1:2]
	v_add_co_u32 v9, vcc_lo, s8, v9
	s_delay_alu instid0(VALU_DEP_3)
	v_add_co_ci_u32_e32 v10, vcc_lo, s9, v10, vcc_lo
	global_load_b32 v4, v[9:10], off
	v_add_co_u32 v9, vcc_lo, s10, v11
	v_add_co_ci_u32_e32 v10, vcc_lo, s11, v12, vcc_lo
	global_load_b32 v7, v[9:10], off
	s_waitcnt vmcnt(1)
	v_subrev_nc_u32_e32 v4, s20, v4
	s_delay_alu instid0(VALU_DEP_1) | instskip(SKIP_3) | instid1(VALU_DEP_1)
	v_cmp_gt_i32_e32 vcc_lo, v4, v1
	v_cndmask_b32_e32 v4, v3, v5, vcc_lo
	s_waitcnt vmcnt(0)
	v_subrev_nc_u32_e32 v3, s20, v7
	v_cmpx_ne_u32_e64 v3, v4
	s_cbranch_execz .LBB74_31
; %bb.37:                               ;   in Loop: Header=BB74_32 Depth=1
	v_lshlrev_b64 v[9:10], 1, v[1:2]
	v_ashrrev_i32_e32 v5, 31, v4
	s_mov_b32 s23, 0
	s_delay_alu instid0(VALU_DEP_1) | instskip(NEXT) | instid1(VALU_DEP_3)
	v_lshlrev_b64 v[11:12], 1, v[4:5]
	v_add_co_u32 v9, vcc_lo, s12, v9
	s_delay_alu instid0(VALU_DEP_4)
	v_add_co_ci_u32_e32 v10, vcc_lo, s13, v10, vcc_lo
	v_ashrrev_i32_e32 v4, 31, v3
	global_load_u16 v7, v[9:10], off
	v_add_co_u32 v9, vcc_lo, s14, v11
	v_add_co_ci_u32_e32 v10, vcc_lo, s15, v12, vcc_lo
	v_lshlrev_b64 v[2:3], 2, v[3:4]
	global_load_u16 v4, v[9:10], off
	v_add_co_u32 v2, vcc_lo, s16, v2
	v_add_co_ci_u32_e32 v3, vcc_lo, s17, v3, vcc_lo
	global_load_b32 v5, v[2:3], off
	s_waitcnt vmcnt(2)
	v_lshlrev_b32_e32 v7, 16, v7
	s_waitcnt vmcnt(1)
	s_delay_alu instid0(VALU_DEP_1) | instskip(NEXT) | instid1(VALU_DEP_1)
	v_dual_mul_f32 v7, s22, v7 :: v_dual_lshlrev_b32 v4, 16, v4
	v_mul_f32_e32 v7, v7, v4
.LBB74_38:                              ;   Parent Loop BB74_32 Depth=1
                                        ; =>  This Inner Loop Header: Depth=2
	s_waitcnt vmcnt(0)
	s_delay_alu instid0(VALU_DEP_1)
	v_add_f32_e32 v4, v5, v7
	global_atomic_cmpswap_b32 v4, v[2:3], v[4:5], off glc
	s_waitcnt vmcnt(0)
	v_cmp_eq_u32_e32 vcc_lo, v4, v5
	v_mov_b32_e32 v5, v4
	s_or_b32 s23, vcc_lo, s23
	s_delay_alu instid0(SALU_CYCLE_1)
	s_and_not1_b32 exec_lo, exec_lo, s23
	s_cbranch_execnz .LBB74_38
	s_branch .LBB74_31
.LBB74_39:
	s_or_b32 exec_lo, exec_lo, s4
	s_mov_b32 s2, 0
.LBB74_40:
	s_delay_alu instid0(SALU_CYCLE_1)
	s_and_b32 vcc_lo, exec_lo, s2
	s_cbranch_vccz .LBB74_158
; %bb.41:
	s_ashr_i32 s3, s18, 31
	s_mov_b32 s2, s18
	s_sub_i32 s7, 0, s21
	s_lshl_b64 s[2:3], s[2:3], 2
	v_cvt_f32_u32_e32 v1, s21
	s_add_u32 s2, s8, s2
	s_addc_u32 s3, s9, s3
	s_load_b32 s23, s[2:3], 0x0
	s_delay_alu instid0(VALU_DEP_1)
	v_rcp_iflag_f32_e32 v1, v1
	s_clause 0x1
	s_load_b64 s[4:5], s[0:1], 0x4
	s_load_b32 s1, s[0:1], 0x64
	s_waitcnt lgkmcnt(0)
	s_waitcnt_depctr 0xfff
	v_dual_mul_f32 v2, 0x4f7ffffe, v1 :: v_dual_add_nc_u32 v1, s23, v6
	s_delay_alu instid0(VALU_DEP_1) | instskip(NEXT) | instid1(VALU_DEP_2)
	v_cvt_u32_f32_e32 v2, v2
	v_add_nc_u32_e32 v9, 0x300, v1
	s_delay_alu instid0(VALU_DEP_2) | instskip(NEXT) | instid1(VALU_DEP_2)
	v_readfirstlane_b32 s6, v2
	v_cmp_le_i32_e32 vcc_lo, s4, v9
	s_delay_alu instid0(VALU_DEP_2) | instskip(NEXT) | instid1(SALU_CYCLE_1)
	s_mul_i32 s7, s7, s6
	s_mul_hi_u32 s4, s6, s7
	s_and_saveexec_b32 s0, vcc_lo
	s_delay_alu instid0(SALU_CYCLE_1)
	s_xor_b32 s7, exec_lo, s0
	s_cbranch_execz .LBB74_46
; %bb.42:
	s_ashr_i32 s25, s19, 31
	s_mov_b32 s24, s19
	s_delay_alu instid0(SALU_CYCLE_1) | instskip(NEXT) | instid1(SALU_CYCLE_1)
	s_lshl_b64 s[24:25], s[24:25], 2
	s_add_u32 s24, s8, s24
	s_addc_u32 s25, s9, s25
	s_load_b32 s0, s[24:25], 0x0
	s_mov_b32 s25, exec_lo
	s_waitcnt lgkmcnt(0)
	s_sub_i32 s24, s0, s23
	s_delay_alu instid0(SALU_CYCLE_1)
	v_cmpx_gt_i32_e64 s24, v0
	s_cbranch_execz .LBB74_45
; %bb.43:
	v_mov_b32_e32 v2, v0
	v_mov_b32_e32 v3, v8
	s_sub_i32 s26, s23, s20
	s_mov_b32 s27, 0
	.p2align	6
.LBB74_44:                              ; =>This Inner Loop Header: Depth=1
	s_delay_alu instid0(VALU_DEP_2) | instskip(SKIP_1) | instid1(VALU_DEP_2)
	v_add_nc_u32_e32 v4, s26, v2
	v_add_nc_u32_e32 v2, 0x100, v2
	v_ashrrev_i32_e32 v5, 31, v4
	s_delay_alu instid0(VALU_DEP_1) | instskip(NEXT) | instid1(VALU_DEP_1)
	v_lshlrev_b64 v[4:5], 1, v[4:5]
	v_add_co_u32 v4, s0, s12, v4
	s_delay_alu instid0(VALU_DEP_1)
	v_add_co_ci_u32_e64 v5, s0, s13, v5, s0
	v_cmp_le_i32_e64 s0, s24, v2
	global_load_u16 v4, v[4:5], off
	s_or_b32 s27, s0, s27
	s_waitcnt vmcnt(0)
	v_lshlrev_b32_e32 v4, 16, v4
	s_delay_alu instid0(VALU_DEP_1)
	v_mul_f32_e32 v4, s22, v4
	ds_store_b32 v3, v4
	v_add_nc_u32_e32 v3, 0x400, v3
	s_and_not1_b32 exec_lo, exec_lo, s27
	s_cbranch_execnz .LBB74_44
.LBB74_45:
	s_or_b32 exec_lo, exec_lo, s25
.LBB74_46:
	s_or_saveexec_b32 s7, s7
	v_ashrrev_i32_e32 v2, 31, v1
	s_and_b32 s1, s1, 0xffff
	s_add_i32 s6, s6, s4
	s_xor_b32 exec_lo, exec_lo, s7
	s_cbranch_execz .LBB74_48
; %bb.47:
	v_lshlrev_b64 v[3:4], 1, v[1:2]
	s_delay_alu instid0(VALU_DEP_1) | instskip(NEXT) | instid1(VALU_DEP_1)
	v_add_co_u32 v3, s0, s12, v3
	v_add_co_ci_u32_e64 v4, s0, s13, v4, s0
	s_clause 0x3
	global_load_u16 v5, v[3:4], off
	global_load_u16 v6, v[3:4], off offset:512
	global_load_u16 v7, v[3:4], off offset:1024
	;; [unrolled: 1-line block ×3, first 2 shown]
	s_waitcnt vmcnt(0)
	v_lshlrev_b32_e32 v3, 16, v3
	s_delay_alu instid0(VALU_DEP_1) | instskip(NEXT) | instid1(VALU_DEP_1)
	v_dual_mul_f32 v3, s22, v3 :: v_dual_lshlrev_b32 v4, 16, v5
	v_dual_mul_f32 v4, s22, v4 :: v_dual_lshlrev_b32 v5, 16, v6
	s_delay_alu instid0(VALU_DEP_1) | instskip(NEXT) | instid1(VALU_DEP_1)
	v_dual_mul_f32 v5, s22, v5 :: v_dual_lshlrev_b32 v6, 16, v7
	v_mul_f32_e32 v6, s22, v6
	ds_store_2addr_stride64_b32 v8, v4, v5 offset1:4
	ds_store_2addr_stride64_b32 v8, v6, v3 offset0:8 offset1:12
.LBB74_48:
	s_or_b32 exec_lo, exec_lo, s7
	s_mul_hi_u32 s4, s1, s6
	s_mov_b32 s6, exec_lo
	v_cmpx_gt_i32_e64 s5, v0
	s_cbranch_execz .LBB74_51
; %bb.49:
	v_lshl_add_u32 v3, v0, 2, 0x1000
	v_dual_mov_b32 v4, 0 :: v_dual_mov_b32 v5, v0
	s_mov_b32 s7, 0
.LBB74_50:                              ; =>This Inner Loop Header: Depth=1
	s_delay_alu instid0(VALU_DEP_1) | instskip(SKIP_3) | instid1(VALU_DEP_1)
	v_add_nc_u32_e32 v5, 0x100, v5
	ds_store_b32 v3, v4
	v_add_nc_u32_e32 v3, 0x400, v3
	v_cmp_le_i32_e64 s0, s5, v5
	s_or_b32 s7, s0, s7
	s_delay_alu instid0(SALU_CYCLE_1)
	s_and_not1_b32 exec_lo, exec_lo, s7
	s_cbranch_execnz .LBB74_50
.LBB74_51:
	s_or_b32 exec_lo, exec_lo, s6
	s_sub_i32 s0, s19, s5
	s_cmp_ge_i32 s19, s5
	s_waitcnt lgkmcnt(0)
	s_cselect_b32 s12, s0, 0
	s_barrier
	buffer_gl0_inv
	s_and_saveexec_b32 s0, vcc_lo
	s_delay_alu instid0(SALU_CYCLE_1)
	s_xor_b32 s6, exec_lo, s0
	s_cbranch_execz .LBB74_67
; %bb.52:
	s_ashr_i32 s25, s19, 31
	s_mov_b32 s24, s19
	s_mov_b32 s13, exec_lo
	s_lshl_b64 s[24:25], s[24:25], 2
	s_delay_alu instid0(SALU_CYCLE_1) | instskip(SKIP_4) | instid1(SALU_CYCLE_1)
	s_add_u32 s24, s8, s24
	s_addc_u32 s25, s9, s25
	s_load_b32 s0, s[24:25], 0x0
	s_waitcnt lgkmcnt(0)
	s_sub_i32 s7, s0, s23
	v_cmpx_gt_i32_e64 s7, v0
	s_cbranch_execz .LBB74_66
; %bb.53:
	s_add_i32 s22, s19, -1
	s_mov_b32 s26, 0
	s_cmp_gt_i32 s22, s18
	s_mov_b32 s27, 0
	s_cselect_b32 s24, -1, 0
	s_add_i32 s25, s19, -2
	s_delay_alu instid0(SALU_CYCLE_1) | instskip(SKIP_1) | instid1(SALU_CYCLE_1)
	s_cmp_lg_u32 s25, s18
	s_cselect_b32 s25, -1, 0
	s_and_b32 s24, s24, s25
	s_sub_i32 s25, s0, s20
	s_branch .LBB74_55
.LBB74_54:                              ;   in Loop: Header=BB74_55 Depth=1
	s_or_b32 exec_lo, exec_lo, s28
	s_addk_i32 s27, 0x100
	s_delay_alu instid0(SALU_CYCLE_1) | instskip(NEXT) | instid1(VALU_DEP_1)
	v_add_nc_u32_e32 v2, s27, v0
	v_cmp_le_i32_e32 vcc_lo, s7, v2
	s_or_b32 s26, vcc_lo, s26
	s_delay_alu instid0(SALU_CYCLE_1)
	s_and_not1_b32 exec_lo, exec_lo, s26
	s_cbranch_execz .LBB74_66
.LBB74_55:                              ; =>This Loop Header: Depth=1
                                        ;     Child Loop BB74_57 Depth 2
                                        ;     Child Loop BB74_62 Depth 2
	v_add_nc_u32_e32 v2, s27, v1
	v_mov_b32_e32 v6, s18
	v_mov_b32_e32 v4, s22
	s_and_not1_b32 vcc_lo, exec_lo, s24
	s_cbranch_vccnz .LBB74_59
; %bb.56:                               ;   in Loop: Header=BB74_55 Depth=1
	v_mov_b32_e32 v6, s18
	v_mov_b32_e32 v4, s22
	s_mov_b32 s28, 0
	.p2align	6
.LBB74_57:                              ;   Parent Loop BB74_55 Depth=1
                                        ; =>  This Inner Loop Header: Depth=2
	s_delay_alu instid0(VALU_DEP_1) | instskip(NEXT) | instid1(VALU_DEP_1)
	v_add_nc_u32_e32 v3, v4, v6
	v_lshrrev_b32_e32 v5, 31, v3
	s_delay_alu instid0(VALU_DEP_1) | instskip(NEXT) | instid1(VALU_DEP_1)
	v_add_nc_u32_e32 v3, v3, v5
	v_ashrrev_i32_e32 v9, 1, v3
	s_delay_alu instid0(VALU_DEP_1) | instskip(NEXT) | instid1(VALU_DEP_1)
	v_ashrrev_i32_e32 v10, 31, v9
	v_lshlrev_b64 v[10:11], 2, v[9:10]
	s_delay_alu instid0(VALU_DEP_1) | instskip(NEXT) | instid1(VALU_DEP_2)
	v_add_co_u32 v10, vcc_lo, s8, v10
	v_add_co_ci_u32_e32 v11, vcc_lo, s9, v11, vcc_lo
	global_load_b32 v3, v[10:11], off
	s_waitcnt vmcnt(0)
	v_subrev_nc_u32_e32 v3, s20, v3
	s_delay_alu instid0(VALU_DEP_1) | instskip(SKIP_2) | instid1(VALU_DEP_1)
	v_cmp_gt_i32_e32 vcc_lo, v3, v2
	v_cndmask_b32_e32 v6, v9, v6, vcc_lo
	v_cndmask_b32_e32 v4, v4, v9, vcc_lo
	v_add_nc_u32_e32 v3, -1, v4
	s_delay_alu instid0(VALU_DEP_3) | instskip(NEXT) | instid1(VALU_DEP_2)
	v_cmp_ge_i32_e32 vcc_lo, v6, v4
	v_cmp_eq_u32_e64 s0, v6, v3
	s_delay_alu instid0(VALU_DEP_1) | instskip(NEXT) | instid1(SALU_CYCLE_1)
	s_or_b32 s0, vcc_lo, s0
	s_and_b32 s0, exec_lo, s0
	s_delay_alu instid0(SALU_CYCLE_1) | instskip(NEXT) | instid1(SALU_CYCLE_1)
	s_or_b32 s28, s0, s28
	s_and_not1_b32 exec_lo, exec_lo, s28
	s_cbranch_execnz .LBB74_57
; %bb.58:                               ;   in Loop: Header=BB74_55 Depth=1
	s_or_b32 exec_lo, exec_lo, s28
.LBB74_59:                              ;   in Loop: Header=BB74_55 Depth=1
	s_delay_alu instid0(VALU_DEP_1) | instskip(SKIP_2) | instid1(VALU_DEP_3)
	v_ashrrev_i32_e32 v5, 31, v4
	v_ashrrev_i32_e32 v3, 31, v2
	v_cmp_gt_i32_e64 s0, s25, v2
	v_lshlrev_b64 v[9:10], 2, v[4:5]
	s_delay_alu instid0(VALU_DEP_3) | instskip(NEXT) | instid1(VALU_DEP_2)
	v_lshlrev_b64 v[11:12], 2, v[2:3]
	v_add_co_u32 v9, vcc_lo, s8, v9
	s_delay_alu instid0(VALU_DEP_3) | instskip(NEXT) | instid1(VALU_DEP_3)
	v_add_co_ci_u32_e32 v10, vcc_lo, s9, v10, vcc_lo
	v_add_co_u32 v11, vcc_lo, s10, v11
	s_delay_alu instid0(VALU_DEP_4)
	v_add_co_ci_u32_e32 v12, vcc_lo, s11, v12, vcc_lo
	global_load_b32 v3, v[9:10], off
	global_load_b32 v5, v[11:12], off
	s_waitcnt vmcnt(1)
	v_subrev_nc_u32_e32 v7, s20, v3
	s_waitcnt vmcnt(0)
	v_subrev_nc_u32_e32 v3, s20, v5
	s_delay_alu instid0(VALU_DEP_2) | instskip(SKIP_1) | instid1(VALU_DEP_1)
	v_cmp_gt_i32_e32 vcc_lo, v7, v2
	v_cndmask_b32_e32 v4, v4, v6, vcc_lo
	v_cmp_ne_u32_e32 vcc_lo, v3, v4
	s_and_b32 s0, vcc_lo, s0
	s_delay_alu instid0(SALU_CYCLE_1)
	s_and_saveexec_b32 s28, s0
	s_cbranch_execz .LBB74_54
; %bb.60:                               ;   in Loop: Header=BB74_55 Depth=1
	v_ashrrev_i32_e32 v5, 31, v4
	v_cmp_le_i32_e64 s0, s19, v3
	s_delay_alu instid0(VALU_DEP_2) | instskip(NEXT) | instid1(VALU_DEP_1)
	v_lshlrev_b64 v[4:5], 1, v[4:5]
	v_add_co_u32 v4, vcc_lo, s14, v4
	s_delay_alu instid0(VALU_DEP_2)
	v_add_co_ci_u32_e32 v5, vcc_lo, s15, v5, vcc_lo
	v_cmp_gt_i32_e32 vcc_lo, s12, v3
	global_load_u16 v2, v[4:5], off
	v_lshl_add_u32 v4, s27, 2, v8
	s_or_b32 s0, vcc_lo, s0
	ds_load_b32 v4, v4
	s_waitcnt vmcnt(0)
	v_lshlrev_b32_e32 v2, 16, v2
	s_waitcnt lgkmcnt(0)
	s_delay_alu instid0(VALU_DEP_1) | instskip(SKIP_1) | instid1(SALU_CYCLE_1)
	v_mul_f32_e32 v6, v4, v2
	s_and_saveexec_b32 s29, s0
	s_xor_b32 s0, exec_lo, s29
	s_cbranch_execz .LBB74_64
; %bb.61:                               ;   in Loop: Header=BB74_55 Depth=1
	v_ashrrev_i32_e32 v4, 31, v3
	s_mov_b32 s29, 0
	s_delay_alu instid0(VALU_DEP_1) | instskip(NEXT) | instid1(VALU_DEP_1)
	v_lshlrev_b64 v[2:3], 2, v[3:4]
	v_add_co_u32 v2, vcc_lo, s16, v2
	s_delay_alu instid0(VALU_DEP_2)
	v_add_co_ci_u32_e32 v3, vcc_lo, s17, v3, vcc_lo
	global_load_b32 v5, v[2:3], off
.LBB74_62:                              ;   Parent Loop BB74_55 Depth=1
                                        ; =>  This Inner Loop Header: Depth=2
	s_waitcnt vmcnt(0)
	v_add_f32_e32 v4, v5, v6
	global_atomic_cmpswap_b32 v4, v[2:3], v[4:5], off glc
	s_waitcnt vmcnt(0)
	v_cmp_eq_u32_e32 vcc_lo, v4, v5
	v_mov_b32_e32 v5, v4
	s_or_b32 s29, vcc_lo, s29
	s_delay_alu instid0(SALU_CYCLE_1)
	s_and_not1_b32 exec_lo, exec_lo, s29
	s_cbranch_execnz .LBB74_62
; %bb.63:                               ;   in Loop: Header=BB74_55 Depth=1
	s_or_b32 exec_lo, exec_lo, s29
                                        ; implicit-def: $vgpr3
                                        ; implicit-def: $vgpr6
.LBB74_64:                              ;   in Loop: Header=BB74_55 Depth=1
	s_and_not1_saveexec_b32 s0, s0
	s_cbranch_execz .LBB74_54
; %bb.65:                               ;   in Loop: Header=BB74_55 Depth=1
	v_subrev_nc_u32_e32 v2, s12, v3
	s_delay_alu instid0(VALU_DEP_1)
	v_lshl_add_u32 v2, v2, 2, 0x1000
	ds_add_f32 v2, v6
	s_branch .LBB74_54
.LBB74_66:
	s_or_b32 exec_lo, exec_lo, s13
                                        ; implicit-def: $vgpr9
                                        ; implicit-def: $vgpr1
.LBB74_67:
	s_and_not1_saveexec_b32 s13, s6
	s_cbranch_execz .LBB74_117
; %bb.68:
	s_add_i32 s22, s19, -1
	v_mov_b32_e32 v6, s18
	s_cmp_le_i32 s22, s18
	v_mov_b32_e32 v4, s22
	s_cselect_b32 s0, -1, 0
	s_add_i32 s6, s19, -2
	s_delay_alu instid0(SALU_CYCLE_1) | instskip(SKIP_1) | instid1(SALU_CYCLE_1)
	s_cmp_eq_u32 s6, s18
	s_cselect_b32 s6, -1, 0
	s_or_b32 s6, s0, s6
	s_delay_alu instid0(SALU_CYCLE_1)
	s_and_b32 vcc_lo, exec_lo, s6
	s_cbranch_vccnz .LBB74_72
; %bb.69:
	v_mov_b32_e32 v6, s18
	v_mov_b32_e32 v4, s22
	s_mov_b32 s7, 0
	.p2align	6
.LBB74_70:                              ; =>This Inner Loop Header: Depth=1
	s_delay_alu instid0(VALU_DEP_1) | instskip(NEXT) | instid1(VALU_DEP_1)
	v_add_nc_u32_e32 v3, v4, v6
	v_lshrrev_b32_e32 v5, 31, v3
	s_delay_alu instid0(VALU_DEP_1) | instskip(NEXT) | instid1(VALU_DEP_1)
	v_add_nc_u32_e32 v3, v3, v5
	v_ashrrev_i32_e32 v10, 1, v3
	s_delay_alu instid0(VALU_DEP_1) | instskip(NEXT) | instid1(VALU_DEP_1)
	v_ashrrev_i32_e32 v11, 31, v10
	v_lshlrev_b64 v[11:12], 2, v[10:11]
	s_delay_alu instid0(VALU_DEP_1) | instskip(NEXT) | instid1(VALU_DEP_2)
	v_add_co_u32 v11, vcc_lo, s8, v11
	v_add_co_ci_u32_e32 v12, vcc_lo, s9, v12, vcc_lo
	global_load_b32 v3, v[11:12], off
	s_waitcnt vmcnt(0)
	v_subrev_nc_u32_e32 v3, s20, v3
	s_delay_alu instid0(VALU_DEP_1) | instskip(SKIP_1) | instid1(VALU_DEP_1)
	v_cmp_gt_i32_e32 vcc_lo, v3, v1
	v_cndmask_b32_e32 v4, v4, v10, vcc_lo
	v_dual_cndmask_b32 v6, v10, v6 :: v_dual_add_nc_u32 v3, -1, v4
	s_delay_alu instid0(VALU_DEP_1) | instskip(NEXT) | instid1(VALU_DEP_2)
	v_cmp_ge_i32_e32 vcc_lo, v6, v4
	v_cmp_eq_u32_e64 s0, v6, v3
	s_delay_alu instid0(VALU_DEP_1) | instskip(NEXT) | instid1(SALU_CYCLE_1)
	s_or_b32 s0, vcc_lo, s0
	s_and_b32 s0, exec_lo, s0
	s_delay_alu instid0(SALU_CYCLE_1) | instskip(NEXT) | instid1(SALU_CYCLE_1)
	s_or_b32 s7, s0, s7
	s_and_not1_b32 exec_lo, exec_lo, s7
	s_cbranch_execnz .LBB74_70
; %bb.71:
	s_or_b32 exec_lo, exec_lo, s7
.LBB74_72:
	v_ashrrev_i32_e32 v5, 31, v4
	v_lshlrev_b64 v[2:3], 2, v[1:2]
	s_xor_b32 s24, s6, -1
	s_ashr_i32 s7, s19, 31
	s_mov_b32 s6, s19
	v_lshlrev_b64 v[10:11], 2, v[4:5]
	s_lshl_b64 s[6:7], s[6:7], 2
	s_delay_alu instid0(SALU_CYCLE_1) | instskip(SKIP_1) | instid1(VALU_DEP_1)
	s_add_u32 s6, s8, s6
	s_addc_u32 s7, s9, s7
	v_add_co_u32 v10, vcc_lo, s8, v10
	s_delay_alu instid0(VALU_DEP_2)
	v_add_co_ci_u32_e32 v11, vcc_lo, s9, v11, vcc_lo
	v_add_co_u32 v2, vcc_lo, s10, v2
	v_add_co_ci_u32_e32 v3, vcc_lo, s11, v3, vcc_lo
	global_load_b32 v5, v[10:11], off
	s_mov_b32 s10, exec_lo
	global_load_b32 v7, v[2:3], off
	s_waitcnt vmcnt(1)
	v_subrev_nc_u32_e32 v5, s20, v5
	s_delay_alu instid0(VALU_DEP_1) | instskip(SKIP_3) | instid1(VALU_DEP_1)
	v_cmp_gt_i32_e32 vcc_lo, v5, v1
	v_cndmask_b32_e32 v5, v4, v6, vcc_lo
	s_waitcnt vmcnt(0)
	v_subrev_nc_u32_e32 v4, s20, v7
	v_cmpx_ne_u32_e64 v4, v5
	s_cbranch_execz .LBB74_80
; %bb.73:
	s_load_b32 s0, s[6:7], 0x0
	s_waitcnt lgkmcnt(0)
	s_sub_i32 s0, s0, s20
	s_delay_alu instid0(SALU_CYCLE_1)
	v_cmp_gt_i32_e32 vcc_lo, s0, v1
	s_and_b32 exec_lo, exec_lo, vcc_lo
	s_cbranch_execz .LBB74_80
; %bb.74:
	v_ashrrev_i32_e32 v6, 31, v5
	v_cmp_le_i32_e64 s0, s19, v4
	s_delay_alu instid0(VALU_DEP_2) | instskip(NEXT) | instid1(VALU_DEP_1)
	v_lshlrev_b64 v[5:6], 1, v[5:6]
	v_add_co_u32 v5, vcc_lo, s14, v5
	s_delay_alu instid0(VALU_DEP_2)
	v_add_co_ci_u32_e32 v6, vcc_lo, s15, v6, vcc_lo
	v_cmp_gt_i32_e32 vcc_lo, s12, v4
	global_load_u16 v5, v[5:6], off
	ds_load_b32 v6, v8
	s_or_b32 s0, vcc_lo, s0
	s_waitcnt vmcnt(0)
	v_lshlrev_b32_e32 v5, 16, v5
	s_waitcnt lgkmcnt(0)
	s_delay_alu instid0(VALU_DEP_1) | instskip(SKIP_1) | instid1(SALU_CYCLE_1)
	v_mul_f32_e32 v10, v6, v5
	s_and_saveexec_b32 s11, s0
	s_xor_b32 s0, exec_lo, s11
	s_cbranch_execz .LBB74_78
; %bb.75:
	v_ashrrev_i32_e32 v5, 31, v4
	s_mov_b32 s11, 0
	s_delay_alu instid0(VALU_DEP_1) | instskip(NEXT) | instid1(VALU_DEP_1)
	v_lshlrev_b64 v[4:5], 2, v[4:5]
	v_add_co_u32 v4, vcc_lo, s16, v4
	s_delay_alu instid0(VALU_DEP_2)
	v_add_co_ci_u32_e32 v5, vcc_lo, s17, v5, vcc_lo
	global_load_b32 v7, v[4:5], off
.LBB74_76:                              ; =>This Inner Loop Header: Depth=1
	s_waitcnt vmcnt(0)
	v_add_f32_e32 v6, v7, v10
	global_atomic_cmpswap_b32 v6, v[4:5], v[6:7], off glc
	s_waitcnt vmcnt(0)
	v_cmp_eq_u32_e32 vcc_lo, v6, v7
	v_mov_b32_e32 v7, v6
	s_or_b32 s11, vcc_lo, s11
	s_delay_alu instid0(SALU_CYCLE_1)
	s_and_not1_b32 exec_lo, exec_lo, s11
	s_cbranch_execnz .LBB74_76
; %bb.77:
	s_or_b32 exec_lo, exec_lo, s11
                                        ; implicit-def: $vgpr4
                                        ; implicit-def: $vgpr10
.LBB74_78:
	s_and_not1_saveexec_b32 s0, s0
	s_cbranch_execz .LBB74_80
; %bb.79:
	v_subrev_nc_u32_e32 v4, s12, v4
	s_delay_alu instid0(VALU_DEP_1)
	v_lshl_add_u32 v4, v4, 2, 0x1000
	ds_add_f32 v4, v10
.LBB74_80:
	s_or_b32 exec_lo, exec_lo, s10
	v_cndmask_b32_e64 v10, 0, 1, s24
	v_dual_mov_b32 v7, s18 :: v_dual_add_nc_u32 v6, 0x100, v1
	v_mov_b32_e32 v4, s22
	s_and_not1_b32 vcc_lo, exec_lo, s24
	s_cbranch_vccnz .LBB74_84
; %bb.81:
	v_dual_mov_b32 v7, s18 :: v_dual_mov_b32 v4, s22
	s_mov_b32 s10, 0
	.p2align	6
.LBB74_82:                              ; =>This Inner Loop Header: Depth=1
	s_delay_alu instid0(VALU_DEP_1) | instskip(NEXT) | instid1(VALU_DEP_1)
	v_add_nc_u32_e32 v5, v4, v7
	v_lshrrev_b32_e32 v11, 31, v5
	s_delay_alu instid0(VALU_DEP_1) | instskip(NEXT) | instid1(VALU_DEP_1)
	v_add_nc_u32_e32 v5, v5, v11
	v_ashrrev_i32_e32 v11, 1, v5
	s_delay_alu instid0(VALU_DEP_1) | instskip(NEXT) | instid1(VALU_DEP_1)
	v_ashrrev_i32_e32 v12, 31, v11
	v_lshlrev_b64 v[12:13], 2, v[11:12]
	s_delay_alu instid0(VALU_DEP_1) | instskip(NEXT) | instid1(VALU_DEP_2)
	v_add_co_u32 v12, vcc_lo, s8, v12
	v_add_co_ci_u32_e32 v13, vcc_lo, s9, v13, vcc_lo
	global_load_b32 v5, v[12:13], off
	s_waitcnt vmcnt(0)
	v_subrev_nc_u32_e32 v5, s20, v5
	s_delay_alu instid0(VALU_DEP_1) | instskip(SKIP_2) | instid1(VALU_DEP_2)
	v_cmp_gt_i32_e32 vcc_lo, v5, v6
	v_cndmask_b32_e32 v4, v4, v11, vcc_lo
	v_cndmask_b32_e32 v7, v11, v7, vcc_lo
	v_add_nc_u32_e32 v5, -1, v4
	s_delay_alu instid0(VALU_DEP_2) | instskip(NEXT) | instid1(VALU_DEP_2)
	v_cmp_ge_i32_e32 vcc_lo, v7, v4
	v_cmp_eq_u32_e64 s0, v7, v5
	s_delay_alu instid0(VALU_DEP_1) | instskip(NEXT) | instid1(SALU_CYCLE_1)
	s_or_b32 s0, vcc_lo, s0
	s_and_b32 s0, exec_lo, s0
	s_delay_alu instid0(SALU_CYCLE_1) | instskip(NEXT) | instid1(SALU_CYCLE_1)
	s_or_b32 s10, s0, s10
	s_and_not1_b32 exec_lo, exec_lo, s10
	s_cbranch_execnz .LBB74_82
; %bb.83:
	s_or_b32 exec_lo, exec_lo, s10
.LBB74_84:
	s_delay_alu instid0(VALU_DEP_1) | instskip(SKIP_1) | instid1(VALU_DEP_1)
	v_ashrrev_i32_e32 v5, 31, v4
	s_mov_b32 s10, exec_lo
	v_lshlrev_b64 v[11:12], 2, v[4:5]
	s_delay_alu instid0(VALU_DEP_1) | instskip(NEXT) | instid1(VALU_DEP_2)
	v_add_co_u32 v11, vcc_lo, s8, v11
	v_add_co_ci_u32_e32 v12, vcc_lo, s9, v12, vcc_lo
	global_load_b32 v5, v[11:12], off
	global_load_b32 v11, v[2:3], off offset:1024
	s_waitcnt vmcnt(1)
	v_subrev_nc_u32_e32 v5, s20, v5
	s_delay_alu instid0(VALU_DEP_1) | instskip(SKIP_3) | instid1(VALU_DEP_1)
	v_cmp_gt_i32_e32 vcc_lo, v5, v6
	v_cndmask_b32_e32 v5, v4, v7, vcc_lo
	s_waitcnt vmcnt(0)
	v_subrev_nc_u32_e32 v4, s20, v11
	v_cmpx_ne_u32_e64 v4, v5
	s_cbranch_execz .LBB74_92
; %bb.85:
	s_load_b32 s0, s[6:7], 0x0
	s_waitcnt lgkmcnt(0)
	s_sub_i32 s0, s0, s20
	s_delay_alu instid0(SALU_CYCLE_1)
	v_cmp_gt_i32_e32 vcc_lo, s0, v6
	s_and_b32 exec_lo, exec_lo, vcc_lo
	s_cbranch_execz .LBB74_92
; %bb.86:
	v_ashrrev_i32_e32 v6, 31, v5
	v_cmp_le_i32_e64 s0, s19, v4
	s_delay_alu instid0(VALU_DEP_2) | instskip(NEXT) | instid1(VALU_DEP_1)
	v_lshlrev_b64 v[5:6], 1, v[5:6]
	v_add_co_u32 v5, vcc_lo, s14, v5
	s_delay_alu instid0(VALU_DEP_2)
	v_add_co_ci_u32_e32 v6, vcc_lo, s15, v6, vcc_lo
	v_cmp_gt_i32_e32 vcc_lo, s12, v4
	global_load_u16 v5, v[5:6], off
	ds_load_b32 v6, v8 offset:1024
	s_or_b32 s0, vcc_lo, s0
	s_waitcnt vmcnt(0)
	v_lshlrev_b32_e32 v5, 16, v5
	s_waitcnt lgkmcnt(0)
	s_delay_alu instid0(VALU_DEP_1) | instskip(SKIP_1) | instid1(SALU_CYCLE_1)
	v_mul_f32_e32 v11, v6, v5
	s_and_saveexec_b32 s11, s0
	s_xor_b32 s0, exec_lo, s11
	s_cbranch_execz .LBB74_90
; %bb.87:
	v_ashrrev_i32_e32 v5, 31, v4
	s_mov_b32 s11, 0
	s_delay_alu instid0(VALU_DEP_1) | instskip(NEXT) | instid1(VALU_DEP_1)
	v_lshlrev_b64 v[4:5], 2, v[4:5]
	v_add_co_u32 v4, vcc_lo, s16, v4
	s_delay_alu instid0(VALU_DEP_2)
	v_add_co_ci_u32_e32 v5, vcc_lo, s17, v5, vcc_lo
	global_load_b32 v7, v[4:5], off
.LBB74_88:                              ; =>This Inner Loop Header: Depth=1
	s_waitcnt vmcnt(0)
	v_add_f32_e32 v6, v7, v11
	global_atomic_cmpswap_b32 v6, v[4:5], v[6:7], off glc
	s_waitcnt vmcnt(0)
	v_cmp_eq_u32_e32 vcc_lo, v6, v7
	v_mov_b32_e32 v7, v6
	s_or_b32 s11, vcc_lo, s11
	s_delay_alu instid0(SALU_CYCLE_1)
	s_and_not1_b32 exec_lo, exec_lo, s11
	s_cbranch_execnz .LBB74_88
; %bb.89:
	s_or_b32 exec_lo, exec_lo, s11
                                        ; implicit-def: $vgpr4
                                        ; implicit-def: $vgpr11
.LBB74_90:
	s_and_not1_saveexec_b32 s0, s0
	s_cbranch_execz .LBB74_92
; %bb.91:
	v_subrev_nc_u32_e32 v4, s12, v4
	s_delay_alu instid0(VALU_DEP_1)
	v_lshl_add_u32 v4, v4, 2, 0x1000
	ds_add_f32 v4, v11
.LBB74_92:
	s_or_b32 exec_lo, exec_lo, s10
	v_cmp_ne_u32_e32 vcc_lo, 1, v10
	v_dual_mov_b32 v6, s18 :: v_dual_add_nc_u32 v1, 0x200, v1
	v_mov_b32_e32 v4, s22
	s_cbranch_vccnz .LBB74_96
; %bb.93:
	v_mov_b32_e32 v6, s18
	v_mov_b32_e32 v4, s22
	s_mov_b32 s10, 0
	.p2align	6
.LBB74_94:                              ; =>This Inner Loop Header: Depth=1
	s_delay_alu instid0(VALU_DEP_1) | instskip(NEXT) | instid1(VALU_DEP_1)
	v_add_nc_u32_e32 v5, v4, v6
	v_lshrrev_b32_e32 v7, 31, v5
	s_delay_alu instid0(VALU_DEP_1) | instskip(NEXT) | instid1(VALU_DEP_1)
	v_add_nc_u32_e32 v5, v5, v7
	v_ashrrev_i32_e32 v11, 1, v5
	s_delay_alu instid0(VALU_DEP_1) | instskip(NEXT) | instid1(VALU_DEP_1)
	v_ashrrev_i32_e32 v12, 31, v11
	v_lshlrev_b64 v[12:13], 2, v[11:12]
	s_delay_alu instid0(VALU_DEP_1) | instskip(NEXT) | instid1(VALU_DEP_2)
	v_add_co_u32 v12, vcc_lo, s8, v12
	v_add_co_ci_u32_e32 v13, vcc_lo, s9, v13, vcc_lo
	global_load_b32 v5, v[12:13], off
	s_waitcnt vmcnt(0)
	v_subrev_nc_u32_e32 v5, s20, v5
	s_delay_alu instid0(VALU_DEP_1) | instskip(SKIP_2) | instid1(VALU_DEP_1)
	v_cmp_gt_i32_e32 vcc_lo, v5, v1
	v_cndmask_b32_e32 v6, v11, v6, vcc_lo
	v_cndmask_b32_e32 v4, v4, v11, vcc_lo
	v_add_nc_u32_e32 v5, -1, v4
	s_delay_alu instid0(VALU_DEP_3) | instskip(NEXT) | instid1(VALU_DEP_2)
	v_cmp_ge_i32_e32 vcc_lo, v6, v4
	v_cmp_eq_u32_e64 s0, v6, v5
	s_delay_alu instid0(VALU_DEP_1) | instskip(NEXT) | instid1(SALU_CYCLE_1)
	s_or_b32 s0, vcc_lo, s0
	s_and_b32 s0, exec_lo, s0
	s_delay_alu instid0(SALU_CYCLE_1) | instskip(NEXT) | instid1(SALU_CYCLE_1)
	s_or_b32 s10, s0, s10
	s_and_not1_b32 exec_lo, exec_lo, s10
	s_cbranch_execnz .LBB74_94
; %bb.95:
	s_or_b32 exec_lo, exec_lo, s10
.LBB74_96:
	s_delay_alu instid0(VALU_DEP_1) | instskip(SKIP_1) | instid1(VALU_DEP_1)
	v_ashrrev_i32_e32 v5, 31, v4
	s_mov_b32 s10, exec_lo
	v_lshlrev_b64 v[11:12], 2, v[4:5]
	s_delay_alu instid0(VALU_DEP_1) | instskip(NEXT) | instid1(VALU_DEP_2)
	v_add_co_u32 v11, vcc_lo, s8, v11
	v_add_co_ci_u32_e32 v12, vcc_lo, s9, v12, vcc_lo
	global_load_b32 v5, v[11:12], off
	global_load_b32 v7, v[2:3], off offset:2048
	s_waitcnt vmcnt(1)
	v_subrev_nc_u32_e32 v5, s20, v5
	s_delay_alu instid0(VALU_DEP_1) | instskip(SKIP_3) | instid1(VALU_DEP_1)
	v_cmp_gt_i32_e32 vcc_lo, v5, v1
	v_cndmask_b32_e32 v5, v4, v6, vcc_lo
	s_waitcnt vmcnt(0)
	v_subrev_nc_u32_e32 v4, s20, v7
	v_cmpx_ne_u32_e64 v4, v5
	s_cbranch_execz .LBB74_104
; %bb.97:
	s_load_b32 s0, s[6:7], 0x0
	s_waitcnt lgkmcnt(0)
	s_sub_i32 s0, s0, s20
	s_delay_alu instid0(SALU_CYCLE_1)
	v_cmp_gt_i32_e32 vcc_lo, s0, v1
	s_and_b32 exec_lo, exec_lo, vcc_lo
	s_cbranch_execz .LBB74_104
; %bb.98:
	v_ashrrev_i32_e32 v6, 31, v5
	v_cmp_le_i32_e64 s0, s19, v4
	s_delay_alu instid0(VALU_DEP_2) | instskip(NEXT) | instid1(VALU_DEP_1)
	v_lshlrev_b64 v[5:6], 1, v[5:6]
	v_add_co_u32 v5, vcc_lo, s14, v5
	s_delay_alu instid0(VALU_DEP_2)
	v_add_co_ci_u32_e32 v6, vcc_lo, s15, v6, vcc_lo
	v_cmp_gt_i32_e32 vcc_lo, s12, v4
	global_load_u16 v1, v[5:6], off
	ds_load_b32 v5, v8 offset:2048
	s_or_b32 s0, vcc_lo, s0
	s_waitcnt vmcnt(0)
	v_lshlrev_b32_e32 v1, 16, v1
	s_waitcnt lgkmcnt(0)
	s_delay_alu instid0(VALU_DEP_1) | instskip(SKIP_1) | instid1(SALU_CYCLE_1)
	v_mul_f32_e32 v1, v5, v1
	s_and_saveexec_b32 s11, s0
	s_xor_b32 s0, exec_lo, s11
	s_cbranch_execz .LBB74_102
; %bb.99:
	v_ashrrev_i32_e32 v5, 31, v4
	s_mov_b32 s11, 0
	s_delay_alu instid0(VALU_DEP_1) | instskip(NEXT) | instid1(VALU_DEP_1)
	v_lshlrev_b64 v[4:5], 2, v[4:5]
	v_add_co_u32 v4, vcc_lo, s16, v4
	s_delay_alu instid0(VALU_DEP_2)
	v_add_co_ci_u32_e32 v5, vcc_lo, s17, v5, vcc_lo
	global_load_b32 v7, v[4:5], off
.LBB74_100:                             ; =>This Inner Loop Header: Depth=1
	s_waitcnt vmcnt(0)
	v_add_f32_e32 v6, v7, v1
	global_atomic_cmpswap_b32 v6, v[4:5], v[6:7], off glc
	s_waitcnt vmcnt(0)
	v_cmp_eq_u32_e32 vcc_lo, v6, v7
	v_mov_b32_e32 v7, v6
	s_or_b32 s11, vcc_lo, s11
	s_delay_alu instid0(SALU_CYCLE_1)
	s_and_not1_b32 exec_lo, exec_lo, s11
	s_cbranch_execnz .LBB74_100
; %bb.101:
	s_or_b32 exec_lo, exec_lo, s11
                                        ; implicit-def: $vgpr4
                                        ; implicit-def: $vgpr1
.LBB74_102:
	s_and_not1_saveexec_b32 s0, s0
	s_cbranch_execz .LBB74_104
; %bb.103:
	v_subrev_nc_u32_e32 v4, s12, v4
	s_delay_alu instid0(VALU_DEP_1)
	v_lshl_add_u32 v4, v4, 2, 0x1000
	ds_add_f32 v4, v1
.LBB74_104:
	s_or_b32 exec_lo, exec_lo, s10
	v_cmp_ne_u32_e32 vcc_lo, 1, v10
	v_dual_mov_b32 v1, s18 :: v_dual_mov_b32 v4, s22
	s_cbranch_vccnz .LBB74_108
; %bb.105:
	v_dual_mov_b32 v1, s18 :: v_dual_mov_b32 v4, s22
	s_mov_b32 s10, 0
	.p2align	6
.LBB74_106:                             ; =>This Inner Loop Header: Depth=1
	s_delay_alu instid0(VALU_DEP_1) | instskip(NEXT) | instid1(VALU_DEP_1)
	v_add_nc_u32_e32 v5, v4, v1
	v_lshrrev_b32_e32 v6, 31, v5
	s_delay_alu instid0(VALU_DEP_1) | instskip(NEXT) | instid1(VALU_DEP_1)
	v_add_nc_u32_e32 v5, v5, v6
	v_ashrrev_i32_e32 v5, 1, v5
	s_delay_alu instid0(VALU_DEP_1) | instskip(NEXT) | instid1(VALU_DEP_1)
	v_ashrrev_i32_e32 v6, 31, v5
	v_lshlrev_b64 v[6:7], 2, v[5:6]
	s_delay_alu instid0(VALU_DEP_1) | instskip(NEXT) | instid1(VALU_DEP_2)
	v_add_co_u32 v6, vcc_lo, s8, v6
	v_add_co_ci_u32_e32 v7, vcc_lo, s9, v7, vcc_lo
	global_load_b32 v6, v[6:7], off
	s_waitcnt vmcnt(0)
	v_subrev_nc_u32_e32 v6, s20, v6
	s_delay_alu instid0(VALU_DEP_1) | instskip(SKIP_2) | instid1(VALU_DEP_2)
	v_cmp_gt_i32_e32 vcc_lo, v6, v9
	v_cndmask_b32_e32 v4, v4, v5, vcc_lo
	v_cndmask_b32_e32 v1, v5, v1, vcc_lo
	v_add_nc_u32_e32 v5, -1, v4
	s_delay_alu instid0(VALU_DEP_2) | instskip(NEXT) | instid1(VALU_DEP_2)
	v_cmp_ge_i32_e32 vcc_lo, v1, v4
	v_cmp_eq_u32_e64 s0, v1, v5
	s_delay_alu instid0(VALU_DEP_1) | instskip(NEXT) | instid1(SALU_CYCLE_1)
	s_or_b32 s0, vcc_lo, s0
	s_and_b32 s0, exec_lo, s0
	s_delay_alu instid0(SALU_CYCLE_1) | instskip(NEXT) | instid1(SALU_CYCLE_1)
	s_or_b32 s10, s0, s10
	s_and_not1_b32 exec_lo, exec_lo, s10
	s_cbranch_execnz .LBB74_106
; %bb.107:
	s_or_b32 exec_lo, exec_lo, s10
.LBB74_108:
	s_delay_alu instid0(VALU_DEP_1) | instskip(SKIP_1) | instid1(VALU_DEP_1)
	v_ashrrev_i32_e32 v5, 31, v4
	s_mov_b32 s10, exec_lo
	v_lshlrev_b64 v[5:6], 2, v[4:5]
	s_delay_alu instid0(VALU_DEP_1) | instskip(NEXT) | instid1(VALU_DEP_2)
	v_add_co_u32 v5, vcc_lo, s8, v5
	v_add_co_ci_u32_e32 v6, vcc_lo, s9, v6, vcc_lo
	global_load_b32 v5, v[5:6], off
	global_load_b32 v3, v[2:3], off offset:3072
	s_waitcnt vmcnt(1)
	v_subrev_nc_u32_e32 v2, s20, v5
	s_delay_alu instid0(VALU_DEP_1) | instskip(SKIP_3) | instid1(VALU_DEP_1)
	v_cmp_gt_i32_e32 vcc_lo, v2, v9
	v_cndmask_b32_e32 v2, v4, v1, vcc_lo
	s_waitcnt vmcnt(0)
	v_subrev_nc_u32_e32 v1, s20, v3
	v_cmpx_ne_u32_e64 v1, v2
	s_cbranch_execz .LBB74_116
; %bb.109:
	s_load_b32 s0, s[6:7], 0x0
	s_waitcnt lgkmcnt(0)
	s_sub_i32 s0, s0, s20
	s_delay_alu instid0(SALU_CYCLE_1)
	v_cmp_gt_i32_e32 vcc_lo, s0, v9
	s_and_b32 exec_lo, exec_lo, vcc_lo
	s_cbranch_execz .LBB74_116
; %bb.110:
	v_ashrrev_i32_e32 v3, 31, v2
	v_cmp_le_i32_e64 s0, s19, v1
	s_delay_alu instid0(VALU_DEP_2) | instskip(NEXT) | instid1(VALU_DEP_1)
	v_lshlrev_b64 v[2:3], 1, v[2:3]
	v_add_co_u32 v2, vcc_lo, s14, v2
	s_delay_alu instid0(VALU_DEP_2)
	v_add_co_ci_u32_e32 v3, vcc_lo, s15, v3, vcc_lo
	v_cmp_gt_i32_e32 vcc_lo, s12, v1
	global_load_u16 v2, v[2:3], off
	ds_load_b32 v3, v8 offset:3072
	s_or_b32 s0, vcc_lo, s0
	s_waitcnt vmcnt(0)
	v_lshlrev_b32_e32 v2, 16, v2
	s_waitcnt lgkmcnt(0)
	s_delay_alu instid0(VALU_DEP_1) | instskip(SKIP_1) | instid1(SALU_CYCLE_1)
	v_mul_f32_e32 v5, v3, v2
	s_and_saveexec_b32 s6, s0
	s_xor_b32 s0, exec_lo, s6
	s_cbranch_execz .LBB74_114
; %bb.111:
	v_ashrrev_i32_e32 v2, 31, v1
	s_mov_b32 s6, 0
	s_delay_alu instid0(VALU_DEP_1) | instskip(NEXT) | instid1(VALU_DEP_1)
	v_lshlrev_b64 v[1:2], 2, v[1:2]
	v_add_co_u32 v1, vcc_lo, s16, v1
	s_delay_alu instid0(VALU_DEP_2)
	v_add_co_ci_u32_e32 v2, vcc_lo, s17, v2, vcc_lo
	global_load_b32 v4, v[1:2], off
.LBB74_112:                             ; =>This Inner Loop Header: Depth=1
	s_waitcnt vmcnt(0)
	v_add_f32_e32 v3, v4, v5
	global_atomic_cmpswap_b32 v3, v[1:2], v[3:4], off glc
	s_waitcnt vmcnt(0)
	v_cmp_eq_u32_e32 vcc_lo, v3, v4
	v_mov_b32_e32 v4, v3
	s_or_b32 s6, vcc_lo, s6
	s_delay_alu instid0(SALU_CYCLE_1)
	s_and_not1_b32 exec_lo, exec_lo, s6
	s_cbranch_execnz .LBB74_112
; %bb.113:
	s_or_b32 exec_lo, exec_lo, s6
                                        ; implicit-def: $vgpr1
                                        ; implicit-def: $vgpr5
.LBB74_114:
	s_and_not1_saveexec_b32 s0, s0
	s_cbranch_execz .LBB74_116
; %bb.115:
	v_subrev_nc_u32_e32 v1, s12, v1
	s_delay_alu instid0(VALU_DEP_1)
	v_lshl_add_u32 v1, v1, 2, 0x1000
	ds_add_f32 v1, v5
.LBB74_116:
	s_or_b32 exec_lo, exec_lo, s10
.LBB74_117:
	s_delay_alu instid0(SALU_CYCLE_1)
	s_or_b32 exec_lo, exec_lo, s13
	s_min_i32 s7, s19, s5
	s_mov_b32 s5, exec_lo
	s_sub_i32 s0, s7, s21
	s_waitcnt lgkmcnt(0)
	s_barrier
	buffer_gl0_inv
	v_cmpx_gt_i32_e64 s0, v0
	s_cbranch_execz .LBB74_122
; %bb.118:
	v_mov_b32_e32 v5, v0
	s_mov_b32 s6, 0
	.p2align	6
.LBB74_119:                             ; =>This Loop Header: Depth=1
                                        ;     Child Loop BB74_120 Depth 2
	s_delay_alu instid0(VALU_DEP_1) | instskip(SKIP_2) | instid1(VALU_DEP_2)
	v_add_nc_u32_e32 v1, s12, v5
	v_lshl_add_u32 v3, v5, 2, 0x1000
	s_mov_b32 s10, 0
	v_ashrrev_i32_e32 v2, 31, v1
	ds_load_b32 v6, v3
	v_lshlrev_b64 v[1:2], 2, v[1:2]
	s_delay_alu instid0(VALU_DEP_1) | instskip(NEXT) | instid1(VALU_DEP_2)
	v_add_co_u32 v1, vcc_lo, s16, v1
	v_add_co_ci_u32_e32 v2, vcc_lo, s17, v2, vcc_lo
	global_load_b32 v4, v[1:2], off
.LBB74_120:                             ;   Parent Loop BB74_119 Depth=1
                                        ; =>  This Inner Loop Header: Depth=2
	s_waitcnt vmcnt(0) lgkmcnt(0)
	v_add_f32_e32 v3, v4, v6
	global_atomic_cmpswap_b32 v3, v[1:2], v[3:4], off glc
	s_waitcnt vmcnt(0)
	v_cmp_eq_u32_e32 vcc_lo, v3, v4
	v_mov_b32_e32 v4, v3
	s_or_b32 s10, vcc_lo, s10
	s_delay_alu instid0(SALU_CYCLE_1)
	s_and_not1_b32 exec_lo, exec_lo, s10
	s_cbranch_execnz .LBB74_120
; %bb.121:                              ;   in Loop: Header=BB74_119 Depth=1
	s_or_b32 exec_lo, exec_lo, s10
	v_add_nc_u32_e32 v5, 0x100, v5
	s_delay_alu instid0(VALU_DEP_1) | instskip(SKIP_1) | instid1(SALU_CYCLE_1)
	v_cmp_le_i32_e32 vcc_lo, s0, v5
	s_or_b32 s6, vcc_lo, s6
	s_and_not1_b32 exec_lo, exec_lo, s6
	s_cbranch_execnz .LBB74_119
.LBB74_122:
	s_or_b32 exec_lo, exec_lo, s5
	s_mul_i32 s5, s4, s21
	s_add_i32 s6, s4, 1
	s_sub_i32 s5, s1, s5
	v_add_nc_u32_e32 v1, s18, v0
	s_sub_i32 s10, s5, s21
	s_cmp_ge_u32 s5, s21
	s_cselect_b32 s4, s6, s4
	s_cselect_b32 s5, s10, s5
	s_add_i32 s6, s4, 1
	s_cmp_ge_u32 s5, s21
	s_barrier
	s_cselect_b32 s4, s6, s4
	s_mov_b32 s6, -1
	s_add_i32 s4, s4, -1
	buffer_gl0_inv
	s_ashr_i32 s5, s4, 1
	s_delay_alu instid0(SALU_CYCLE_1) | instskip(NEXT) | instid1(SALU_CYCLE_1)
	s_or_b32 s4, s5, s4
	s_ashr_i32 s5, s4, 2
	s_delay_alu instid0(SALU_CYCLE_1) | instskip(NEXT) | instid1(SALU_CYCLE_1)
	s_or_b32 s4, s5, s4
	;; [unrolled: 3-line block ×5, first 2 shown]
	s_add_i32 s4, s4, 1
	s_delay_alu instid0(SALU_CYCLE_1) | instskip(NEXT) | instid1(SALU_CYCLE_1)
	s_ashr_i32 s5, s4, 1
	s_cmp_gt_i32 s5, 1
	s_cbranch_scc1 .LBB74_133
; %bb.123:
	s_mov_b32 s6, exec_lo
	v_cmpx_gt_i32_e64 s19, v1
	s_cbranch_execz .LBB74_132
; %bb.124:
	s_sub_i32 s7, s7, s19
	v_mov_b32_e32 v2, v1
	s_lshl_b32 s11, s23, 2
	s_lshl_b32 s7, s7, 2
	s_mov_b32 s10, 0
	s_addk_i32 s7, 0x1000
	s_sub_i32 s11, 0, s11
.LBB74_125:                             ; =>This Loop Header: Depth=1
                                        ;     Child Loop BB74_127 Depth 2
                                        ;     Child Loop BB74_130 Depth 2
	v_ashrrev_i32_e32 v3, 31, v2
	v_mov_b32_e32 v7, 0
	s_mov_b32 s12, exec_lo
	s_delay_alu instid0(VALU_DEP_2) | instskip(NEXT) | instid1(VALU_DEP_1)
	v_lshlrev_b64 v[3:4], 2, v[2:3]
	v_add_co_u32 v5, vcc_lo, s8, v3
	s_delay_alu instid0(VALU_DEP_2)
	v_add_co_ci_u32_e32 v6, vcc_lo, s9, v4, vcc_lo
	global_load_b64 v[5:6], v[5:6], off
	s_waitcnt vmcnt(0)
	v_cmpx_lt_i32_e64 v5, v6
	s_cbranch_execz .LBB74_129
; %bb.126:                              ;   in Loop: Header=BB74_125 Depth=1
	v_subrev_nc_u32_e32 v6, s23, v6
	v_subrev_nc_u32_e32 v9, s23, v5
	v_lshl_add_u32 v5, v5, 2, s11
	v_mov_b32_e32 v7, 0
	s_mov_b32 s13, 0
.LBB74_127:                             ;   Parent Loop BB74_125 Depth=1
                                        ; =>  This Inner Loop Header: Depth=2
	ds_load_b32 v10, v5
	v_add_nc_u32_e32 v9, 1, v9
	v_add_nc_u32_e32 v5, 4, v5
	s_delay_alu instid0(VALU_DEP_2)
	v_cmp_ge_i32_e32 vcc_lo, v9, v6
	s_or_b32 s13, vcc_lo, s13
	s_waitcnt lgkmcnt(0)
	v_add_f32_e32 v7, v7, v10
	s_and_not1_b32 exec_lo, exec_lo, s13
	s_cbranch_execnz .LBB74_127
; %bb.128:                              ;   in Loop: Header=BB74_125 Depth=1
	s_or_b32 exec_lo, exec_lo, s13
.LBB74_129:                             ;   in Loop: Header=BB74_125 Depth=1
	s_delay_alu instid0(SALU_CYCLE_1)
	s_or_b32 exec_lo, exec_lo, s12
	v_add_co_u32 v3, vcc_lo, s16, v3
	v_add_co_ci_u32_e32 v4, vcc_lo, s17, v4, vcc_lo
	v_lshl_add_u32 v5, v2, 2, s7
	s_mov_b32 s12, 0
	global_load_b32 v6, v[3:4], off
	ds_load_b32 v5, v5
	s_waitcnt lgkmcnt(0)
	v_add_f32_e32 v7, v7, v5
.LBB74_130:                             ;   Parent Loop BB74_125 Depth=1
                                        ; =>  This Inner Loop Header: Depth=2
	s_waitcnt vmcnt(0)
	s_delay_alu instid0(VALU_DEP_1)
	v_add_f32_e32 v5, v6, v7
	global_atomic_cmpswap_b32 v5, v[3:4], v[5:6], off glc
	s_waitcnt vmcnt(0)
	v_cmp_eq_u32_e32 vcc_lo, v5, v6
	v_mov_b32_e32 v6, v5
	s_or_b32 s12, vcc_lo, s12
	s_delay_alu instid0(SALU_CYCLE_1)
	s_and_not1_b32 exec_lo, exec_lo, s12
	s_cbranch_execnz .LBB74_130
; %bb.131:                              ;   in Loop: Header=BB74_125 Depth=1
	s_or_b32 exec_lo, exec_lo, s12
	v_add_nc_u32_e32 v2, s1, v2
	s_delay_alu instid0(VALU_DEP_1) | instskip(SKIP_1) | instid1(SALU_CYCLE_1)
	v_cmp_le_i32_e32 vcc_lo, s19, v2
	s_or_b32 s10, vcc_lo, s10
	s_and_not1_b32 exec_lo, exec_lo, s10
	s_cbranch_execnz .LBB74_125
.LBB74_132:
	s_or_b32 exec_lo, exec_lo, s6
	s_mov_b32 s6, 0
.LBB74_133:
	s_delay_alu instid0(SALU_CYCLE_1)
	s_and_not1_b32 vcc_lo, exec_lo, s6
	s_cbranch_vccnz .LBB74_158
; %bb.134:
	v_cvt_f32_u32_e32 v2, s5
	s_sub_i32 s1, 0, s5
	v_mov_b32_e32 v9, 0
	s_delay_alu instid0(VALU_DEP_2) | instskip(SKIP_2) | instid1(VALU_DEP_1)
	v_rcp_iflag_f32_e32 v2, v2
	s_waitcnt_depctr 0xfff
	v_mul_f32_e32 v2, 0x4f7ffffe, v2
	v_cvt_u32_f32_e32 v2, v2
	s_delay_alu instid0(VALU_DEP_1) | instskip(SKIP_1) | instid1(VALU_DEP_1)
	v_mul_lo_u32 v3, s1, v2
	s_mov_b32 s1, exec_lo
	v_mul_hi_u32 v3, v2, v3
	s_delay_alu instid0(VALU_DEP_1) | instskip(NEXT) | instid1(VALU_DEP_1)
	v_add_nc_u32_e32 v2, v2, v3
	v_mul_hi_u32 v2, v0, v2
	s_delay_alu instid0(VALU_DEP_1) | instskip(SKIP_1) | instid1(VALU_DEP_2)
	v_mul_lo_u32 v3, v2, s5
	v_add_nc_u32_e32 v4, 1, v2
	v_sub_nc_u32_e32 v3, v0, v3
	s_delay_alu instid0(VALU_DEP_1) | instskip(SKIP_1) | instid1(VALU_DEP_2)
	v_subrev_nc_u32_e32 v5, s5, v3
	v_cmp_le_u32_e32 vcc_lo, s5, v3
	v_dual_cndmask_b32 v2, v2, v4 :: v_dual_cndmask_b32 v3, v3, v5
	s_delay_alu instid0(VALU_DEP_1) | instskip(NEXT) | instid1(VALU_DEP_2)
	v_add_nc_u32_e32 v4, 1, v2
	v_cmp_le_u32_e32 vcc_lo, s5, v3
	s_delay_alu instid0(VALU_DEP_2) | instskip(NEXT) | instid1(VALU_DEP_1)
	v_cndmask_b32_e32 v2, v2, v4, vcc_lo
	v_lshlrev_b32_e32 v3, 2, v2
	global_load_b64 v[3:4], v3, s[2:3]
	v_cmpx_gt_i32_e64 s21, v2
	s_cbranch_execz .LBB74_148
; %bb.135:
	s_abs_i32 s2, s5
	s_waitcnt vmcnt(0)
	v_subrev_nc_u32_e32 v5, s23, v4
	v_cvt_f32_u32_e32 v2, s2
	s_sub_i32 s3, 0, s2
	s_delay_alu instid0(VALU_DEP_1) | instskip(SKIP_2) | instid1(VALU_DEP_1)
	v_rcp_iflag_f32_e32 v2, v2
	s_waitcnt_depctr 0xfff
	v_mul_f32_e32 v2, 0x4f7ffffe, v2
	v_cvt_u32_f32_e32 v6, v2
	v_subrev_nc_u32_e32 v2, s23, v3
	s_delay_alu instid0(VALU_DEP_2) | instskip(NEXT) | instid1(VALU_DEP_2)
	v_mul_lo_u32 v7, s3, v6
	v_sub_nc_u32_e32 v4, v5, v2
	s_ashr_i32 s3, s5, 31
	s_delay_alu instid0(VALU_DEP_1) | instskip(NEXT) | instid1(VALU_DEP_3)
	v_sub_nc_u32_e32 v9, 0, v4
	v_mul_hi_u32 v7, v6, v7
	s_delay_alu instid0(VALU_DEP_2) | instskip(SKIP_1) | instid1(VALU_DEP_3)
	v_max_i32_e32 v9, v4, v9
	v_ashrrev_i32_e32 v4, 31, v4
	v_add_nc_u32_e32 v10, v6, v7
	s_delay_alu instid0(VALU_DEP_2) | instskip(NEXT) | instid1(VALU_DEP_2)
	v_xor_b32_e32 v4, s3, v4
	v_mad_u64_u32 v[6:7], null, v9, v10, 0
	s_delay_alu instid0(VALU_DEP_1) | instskip(NEXT) | instid1(VALU_DEP_1)
	v_mul_lo_u32 v6, v7, s2
	v_sub_nc_u32_e32 v6, v9, v6
	v_add_nc_u32_e32 v9, 1, v7
	s_delay_alu instid0(VALU_DEP_2) | instskip(SKIP_1) | instid1(VALU_DEP_2)
	v_subrev_nc_u32_e32 v10, s2, v6
	v_cmp_le_u32_e32 vcc_lo, s2, v6
	v_dual_cndmask_b32 v7, v7, v9 :: v_dual_cndmask_b32 v6, v6, v10
	s_delay_alu instid0(VALU_DEP_1) | instskip(NEXT) | instid1(VALU_DEP_2)
	v_add_nc_u32_e32 v9, 1, v7
	v_cmp_le_u32_e32 vcc_lo, s2, v6
	s_add_i32 s2, s5, -1
	s_delay_alu instid0(VALU_DEP_2) | instskip(NEXT) | instid1(VALU_DEP_1)
	v_dual_cndmask_b32 v6, v7, v9 :: v_dual_mov_b32 v9, 0
	v_xor_b32_e32 v6, v6, v4
	s_delay_alu instid0(VALU_DEP_1) | instskip(SKIP_2) | instid1(VALU_DEP_2)
	v_sub_nc_u32_e32 v7, v6, v4
	v_and_b32_e32 v6, s2, v0
	s_mov_b32 s2, exec_lo
	v_cmpx_lt_i32_e32 0, v7
	s_cbranch_execz .LBB74_145
; %bb.136:
	v_dual_mov_b32 v4, 0 :: v_dual_mov_b32 v9, 0
	s_mov_b32 s3, exec_lo
	v_cmpx_lt_u32_e32 7, v7
	s_cbranch_execz .LBB74_140
; %bb.137:
	v_add_nc_u32_e32 v4, v3, v6
	s_lshl_b32 s6, s5, 5
	s_lshl_b32 s8, s5, 2
	s_mov_b32 s7, 0
	s_mov_b32 s9, 0
	v_subrev_nc_u32_e32 v9, s23, v4
	v_and_b32_e32 v4, 0x7ffffff8, v7
	s_delay_alu instid0(VALU_DEP_2)
	v_dual_mov_b32 v9, 0 :: v_dual_lshlrev_b32 v10, 2, v9
	s_set_inst_prefetch_distance 0x1
	.p2align	6
.LBB74_138:                             ; =>This Inner Loop Header: Depth=1
	s_delay_alu instid0(VALU_DEP_1) | instskip(SKIP_2) | instid1(SALU_CYCLE_1)
	v_add_nc_u32_e32 v11, s8, v10
	ds_load_b32 v12, v10
	s_add_i32 s9, s9, 8
	v_cmp_eq_u32_e32 vcc_lo, s9, v4
	v_add_nc_u32_e32 v13, s8, v11
	ds_load_b32 v11, v11
	s_or_b32 s7, vcc_lo, s7
	v_add_nc_u32_e32 v14, s8, v13
	ds_load_b32 v13, v13
	v_add_nc_u32_e32 v15, s8, v14
	ds_load_b32 v14, v14
	s_waitcnt lgkmcnt(3)
	v_dual_add_f32 v9, v9, v12 :: v_dual_add_nc_u32 v10, s6, v10
	ds_load_b32 v12, v15
	s_waitcnt lgkmcnt(3)
	v_add_f32_e32 v9, v9, v11
	s_waitcnt lgkmcnt(2)
	s_delay_alu instid0(VALU_DEP_1) | instskip(NEXT) | instid1(VALU_DEP_1)
	v_dual_add_f32 v9, v9, v13 :: v_dual_add_nc_u32 v16, s8, v15
	v_add_nc_u32_e32 v15, s8, v16
	ds_load_b32 v16, v16
	ds_load_b32 v17, v15
	v_add_nc_u32_e32 v11, s8, v15
	s_waitcnt lgkmcnt(3)
	v_add_f32_e32 v9, v9, v14
	ds_load_b32 v11, v11
	s_waitcnt lgkmcnt(3)
	v_add_f32_e32 v9, v9, v12
	s_waitcnt lgkmcnt(2)
	s_delay_alu instid0(VALU_DEP_1) | instskip(SKIP_1) | instid1(VALU_DEP_1)
	v_add_f32_e32 v9, v9, v16
	s_waitcnt lgkmcnt(1)
	v_add_f32_e32 v9, v9, v17
	s_waitcnt lgkmcnt(0)
	s_delay_alu instid0(VALU_DEP_1)
	v_add_f32_e32 v9, v9, v11
	s_and_not1_b32 exec_lo, exec_lo, s7
	s_cbranch_execnz .LBB74_138
; %bb.139:
	s_set_inst_prefetch_distance 0x2
	s_or_b32 exec_lo, exec_lo, s7
.LBB74_140:
	s_delay_alu instid0(SALU_CYCLE_1) | instskip(SKIP_3) | instid1(VALU_DEP_1)
	s_or_b32 exec_lo, exec_lo, s3
	v_and_b32_e32 v10, 7, v7
	s_mov_b32 s6, 0
	s_mov_b32 s3, exec_lo
	v_cmpx_ne_u32_e32 0, v10
	s_cbranch_execz .LBB74_144
; %bb.141:
	v_mul_lo_u32 v4, v4, s5
	s_lshl_b32 s7, s5, 2
	s_delay_alu instid0(VALU_DEP_1) | instskip(NEXT) | instid1(VALU_DEP_1)
	v_add3_u32 v3, v3, v6, v4
	v_subrev_nc_u32_e32 v3, s23, v3
	s_delay_alu instid0(VALU_DEP_1)
	v_lshlrev_b32_e32 v3, 2, v3
.LBB74_142:                             ; =>This Inner Loop Header: Depth=1
	ds_load_b32 v4, v3
	v_add_nc_u32_e32 v10, -1, v10
	v_add_nc_u32_e32 v3, s7, v3
	s_waitcnt lgkmcnt(0)
	v_add_f32_e32 v9, v9, v4
	s_delay_alu instid0(VALU_DEP_3) | instskip(SKIP_1) | instid1(SALU_CYCLE_1)
	v_cmp_eq_u32_e32 vcc_lo, 0, v10
	s_or_b32 s6, vcc_lo, s6
	s_and_not1_b32 exec_lo, exec_lo, s6
	s_cbranch_execnz .LBB74_142
; %bb.143:
	s_or_b32 exec_lo, exec_lo, s6
.LBB74_144:
	s_delay_alu instid0(SALU_CYCLE_1)
	s_or_b32 exec_lo, exec_lo, s3
.LBB74_145:
	s_delay_alu instid0(SALU_CYCLE_1) | instskip(SKIP_2) | instid1(VALU_DEP_1)
	s_or_b32 exec_lo, exec_lo, s2
	v_mad_u64_u32 v[3:4], null, v7, s5, v[2:3]
	s_mov_b32 s2, exec_lo
	v_sub_nc_u32_e32 v2, v5, v3
	s_delay_alu instid0(VALU_DEP_1)
	v_cmpx_lt_i32_e64 v6, v2
	s_cbranch_execz .LBB74_147
; %bb.146:
	v_add_lshl_u32 v2, v3, v6, 2
	ds_load_b32 v2, v2
	s_waitcnt lgkmcnt(0)
	v_add_f32_e32 v9, v9, v2
.LBB74_147:
	s_or_b32 exec_lo, exec_lo, s2
.LBB74_148:
	s_delay_alu instid0(SALU_CYCLE_1)
	s_or_b32 exec_lo, exec_lo, s1
	s_waitcnt vmcnt(0)
	s_barrier
	buffer_gl0_inv
	ds_store_b32 v8, v9
	s_waitcnt lgkmcnt(0)
	s_barrier
	buffer_gl0_inv
	s_mov_b32 s1, exec_lo
	v_cmpx_gt_i32_e64 s21, v0
	s_cbranch_execz .LBB74_158
; %bb.149:
	v_mul_lo_u32 v2, s5, v0
	s_cmp_lt_u32 s5, 8
	s_cbranch_scc1 .LBB74_152
; %bb.150:
	s_delay_alu instid0(VALU_DEP_1)
	v_dual_mov_b32 v3, 0 :: v_dual_lshlrev_b32 v4, 2, v2
	s_and_b32 s1, s5, 0x7ffffff8
	s_mov_b32 s2, 0
	.p2align	6
.LBB74_151:                             ; =>This Inner Loop Header: Depth=1
	ds_load_2addr_b32 v[5:6], v4 offset1:1
	ds_load_2addr_b32 v[7:8], v4 offset0:2 offset1:3
	ds_load_2addr_b32 v[9:10], v4 offset0:4 offset1:5
	;; [unrolled: 1-line block ×3, first 2 shown]
	s_add_i32 s2, s2, 8
	v_add_nc_u32_e32 v4, 32, v4
	s_cmp_eq_u32 s1, s2
	s_waitcnt lgkmcnt(3)
	v_add_f32_e32 v3, v3, v5
	s_delay_alu instid0(VALU_DEP_1) | instskip(SKIP_1) | instid1(VALU_DEP_1)
	v_add_f32_e32 v3, v3, v6
	s_waitcnt lgkmcnt(2)
	v_add_f32_e32 v3, v3, v7
	s_delay_alu instid0(VALU_DEP_1) | instskip(SKIP_1) | instid1(VALU_DEP_1)
	v_add_f32_e32 v3, v3, v8
	;; [unrolled: 4-line block ×3, first 2 shown]
	s_waitcnt lgkmcnt(0)
	v_add_f32_e32 v3, v3, v11
	s_delay_alu instid0(VALU_DEP_1)
	v_add_f32_e32 v3, v3, v12
	s_cbranch_scc0 .LBB74_151
	s_branch .LBB74_153
.LBB74_152:
	v_mov_b32_e32 v3, 0
	s_mov_b32 s1, 0
.LBB74_153:
	s_bfe_u32 s2, s4, 0x30001
	s_delay_alu instid0(SALU_CYCLE_1)
	s_cmp_eq_u32 s2, 0
	s_cbranch_scc1 .LBB74_156
; %bb.154:
	v_add_lshl_u32 v2, s1, v2, 2
.LBB74_155:                             ; =>This Inner Loop Header: Depth=1
	ds_load_b32 v4, v2
	v_add_nc_u32_e32 v2, 4, v2
	s_add_i32 s2, s2, -1
	s_delay_alu instid0(SALU_CYCLE_1)
	s_cmp_lg_u32 s2, 0
	s_waitcnt lgkmcnt(0)
	v_add_f32_e32 v3, v3, v4
	s_cbranch_scc1 .LBB74_155
.LBB74_156:
	v_ashrrev_i32_e32 v2, 31, v1
	v_lshlrev_b32_e32 v0, 2, v0
	s_lshl_b32 s0, s0, 2
	s_delay_alu instid0(VALU_DEP_2) | instskip(NEXT) | instid1(VALU_DEP_2)
	v_lshlrev_b64 v[1:2], 2, v[1:2]
	v_add3_u32 v0, 0x1000, s0, v0
	s_mov_b32 s0, 0
	ds_load_b32 v0, v0
	v_add_co_u32 v1, vcc_lo, s16, v1
	v_add_co_ci_u32_e32 v2, vcc_lo, s17, v2, vcc_lo
	global_load_b32 v4, v[1:2], off
	s_waitcnt lgkmcnt(0)
	v_add_f32_e32 v0, v3, v0
.LBB74_157:                             ; =>This Inner Loop Header: Depth=1
	s_waitcnt vmcnt(0)
	s_delay_alu instid0(VALU_DEP_1)
	v_add_f32_e32 v3, v4, v0
	global_atomic_cmpswap_b32 v3, v[1:2], v[3:4], off glc
	s_waitcnt vmcnt(0)
	v_cmp_eq_u32_e32 vcc_lo, v3, v4
	v_mov_b32_e32 v4, v3
	s_or_b32 s0, vcc_lo, s0
	s_delay_alu instid0(SALU_CYCLE_1)
	s_and_not1_b32 exec_lo, exec_lo, s0
	s_cbranch_execnz .LBB74_157
.LBB74_158:
	s_endpgm
	.section	.rodata,"a",@progbits
	.p2align	6, 0x0
	.amdhsa_kernel _ZN9rocsparseL27csrmvn_symm_adaptive_kernelIii18rocsparse_bfloat16S1_ffEEvbT_S2_PKS2_NS_24const_host_device_scalarIT4_EES4_PKT0_PKT1_PKT2_S7_PT3_21rocsparse_index_base_b
		.amdhsa_group_segment_fixed_size 4096
		.amdhsa_private_segment_fixed_size 0
		.amdhsa_kernarg_size 344
		.amdhsa_user_sgpr_count 15
		.amdhsa_user_sgpr_dispatch_ptr 0
		.amdhsa_user_sgpr_queue_ptr 0
		.amdhsa_user_sgpr_kernarg_segment_ptr 1
		.amdhsa_user_sgpr_dispatch_id 0
		.amdhsa_user_sgpr_private_segment_size 0
		.amdhsa_wavefront_size32 1
		.amdhsa_uses_dynamic_stack 0
		.amdhsa_enable_private_segment 0
		.amdhsa_system_sgpr_workgroup_id_x 1
		.amdhsa_system_sgpr_workgroup_id_y 0
		.amdhsa_system_sgpr_workgroup_id_z 0
		.amdhsa_system_sgpr_workgroup_info 0
		.amdhsa_system_vgpr_workitem_id 0
		.amdhsa_next_free_vgpr 18
		.amdhsa_next_free_sgpr 34
		.amdhsa_reserve_vcc 1
		.amdhsa_float_round_mode_32 0
		.amdhsa_float_round_mode_16_64 0
		.amdhsa_float_denorm_mode_32 3
		.amdhsa_float_denorm_mode_16_64 3
		.amdhsa_dx10_clamp 1
		.amdhsa_ieee_mode 1
		.amdhsa_fp16_overflow 0
		.amdhsa_workgroup_processor_mode 1
		.amdhsa_memory_ordered 1
		.amdhsa_forward_progress 0
		.amdhsa_shared_vgpr_count 0
		.amdhsa_exception_fp_ieee_invalid_op 0
		.amdhsa_exception_fp_denorm_src 0
		.amdhsa_exception_fp_ieee_div_zero 0
		.amdhsa_exception_fp_ieee_overflow 0
		.amdhsa_exception_fp_ieee_underflow 0
		.amdhsa_exception_fp_ieee_inexact 0
		.amdhsa_exception_int_div_zero 0
	.end_amdhsa_kernel
	.section	.text._ZN9rocsparseL27csrmvn_symm_adaptive_kernelIii18rocsparse_bfloat16S1_ffEEvbT_S2_PKS2_NS_24const_host_device_scalarIT4_EES4_PKT0_PKT1_PKT2_S7_PT3_21rocsparse_index_base_b,"axG",@progbits,_ZN9rocsparseL27csrmvn_symm_adaptive_kernelIii18rocsparse_bfloat16S1_ffEEvbT_S2_PKS2_NS_24const_host_device_scalarIT4_EES4_PKT0_PKT1_PKT2_S7_PT3_21rocsparse_index_base_b,comdat
.Lfunc_end74:
	.size	_ZN9rocsparseL27csrmvn_symm_adaptive_kernelIii18rocsparse_bfloat16S1_ffEEvbT_S2_PKS2_NS_24const_host_device_scalarIT4_EES4_PKT0_PKT1_PKT2_S7_PT3_21rocsparse_index_base_b, .Lfunc_end74-_ZN9rocsparseL27csrmvn_symm_adaptive_kernelIii18rocsparse_bfloat16S1_ffEEvbT_S2_PKS2_NS_24const_host_device_scalarIT4_EES4_PKT0_PKT1_PKT2_S7_PT3_21rocsparse_index_base_b
                                        ; -- End function
	.section	.AMDGPU.csdata,"",@progbits
; Kernel info:
; codeLenInByte = 7364
; NumSgprs: 36
; NumVgprs: 18
; ScratchSize: 0
; MemoryBound: 0
; FloatMode: 240
; IeeeMode: 1
; LDSByteSize: 4096 bytes/workgroup (compile time only)
; SGPRBlocks: 4
; VGPRBlocks: 2
; NumSGPRsForWavesPerEU: 36
; NumVGPRsForWavesPerEU: 18
; Occupancy: 16
; WaveLimiterHint : 1
; COMPUTE_PGM_RSRC2:SCRATCH_EN: 0
; COMPUTE_PGM_RSRC2:USER_SGPR: 15
; COMPUTE_PGM_RSRC2:TRAP_HANDLER: 0
; COMPUTE_PGM_RSRC2:TGID_X_EN: 1
; COMPUTE_PGM_RSRC2:TGID_Y_EN: 0
; COMPUTE_PGM_RSRC2:TGID_Z_EN: 0
; COMPUTE_PGM_RSRC2:TIDIG_COMP_CNT: 0
	.section	.text._ZL33csrmvn_symm_large_adaptive_kernelIii18rocsparse_bfloat16S0_ffEvbT_PKS1_N9rocsparse24const_host_device_scalarIT4_EES3_PKT0_PKT1_PKT2_S7_PT3_21rocsparse_index_base_b,"axG",@progbits,_ZL33csrmvn_symm_large_adaptive_kernelIii18rocsparse_bfloat16S0_ffEvbT_PKS1_N9rocsparse24const_host_device_scalarIT4_EES3_PKT0_PKT1_PKT2_S7_PT3_21rocsparse_index_base_b,comdat
	.globl	_ZL33csrmvn_symm_large_adaptive_kernelIii18rocsparse_bfloat16S0_ffEvbT_PKS1_N9rocsparse24const_host_device_scalarIT4_EES3_PKT0_PKT1_PKT2_S7_PT3_21rocsparse_index_base_b ; -- Begin function _ZL33csrmvn_symm_large_adaptive_kernelIii18rocsparse_bfloat16S0_ffEvbT_PKS1_N9rocsparse24const_host_device_scalarIT4_EES3_PKT0_PKT1_PKT2_S7_PT3_21rocsparse_index_base_b
	.p2align	8
	.type	_ZL33csrmvn_symm_large_adaptive_kernelIii18rocsparse_bfloat16S0_ffEvbT_PKS1_N9rocsparse24const_host_device_scalarIT4_EES3_PKT0_PKT1_PKT2_S7_PT3_21rocsparse_index_base_b,@function
_ZL33csrmvn_symm_large_adaptive_kernelIii18rocsparse_bfloat16S0_ffEvbT_PKS1_N9rocsparse24const_host_device_scalarIT4_EES3_PKT0_PKT1_PKT2_S7_PT3_21rocsparse_index_base_b: ; @_ZL33csrmvn_symm_large_adaptive_kernelIii18rocsparse_bfloat16S0_ffEvbT_PKS1_N9rocsparse24const_host_device_scalarIT4_EES3_PKT0_PKT1_PKT2_S7_PT3_21rocsparse_index_base_b
; %bb.0:
	s_clause 0x2
	s_load_b64 s[6:7], s[0:1], 0x48
	s_load_b64 s[16:17], s[0:1], 0x10
	;; [unrolled: 1-line block ×3, first 2 shown]
	s_mov_b32 s2, s15
	s_waitcnt lgkmcnt(0)
	s_bitcmp1_b32 s7, 0
	s_cselect_b32 s3, -1, 0
	s_delay_alu instid0(SALU_CYCLE_1)
	s_and_b32 vcc_lo, exec_lo, s3
	s_xor_b32 s3, s3, -1
	s_cbranch_vccnz .LBB75_2
; %bb.1:
	s_load_b32 s16, s[16:17], 0x0
.LBB75_2:
	s_and_not1_b32 vcc_lo, exec_lo, s3
	s_cbranch_vccnz .LBB75_4
; %bb.3:
	s_load_b32 s4, s[4:5], 0x0
.LBB75_4:
	s_waitcnt lgkmcnt(0)
	v_cmp_neq_f32_e64 s3, s16, 0
	v_cmp_neq_f32_e64 s4, s4, 1.0
	s_delay_alu instid0(VALU_DEP_1) | instskip(NEXT) | instid1(SALU_CYCLE_1)
	s_or_b32 s3, s3, s4
	s_and_not1_b32 vcc_lo, exec_lo, s3
	s_cbranch_vccnz .LBB75_38
; %bb.5:
	s_load_b64 s[4:5], s[0:1], 0x8
	s_ashr_i32 s3, s2, 31
	v_lshlrev_b32_e32 v5, 2, v0
	v_mov_b32_e32 v1, 0
	s_lshl_b64 s[2:3], s[2:3], 2
	ds_store_2addr_stride64_b32 v5, v1, v1 offset1:4
	ds_store_2addr_stride64_b32 v5, v1, v1 offset0:8 offset1:12
	s_waitcnt lgkmcnt(0)
	s_barrier
	buffer_gl0_inv
	s_add_u32 s2, s4, s2
	s_addc_u32 s3, s5, s3
	s_load_b64 s[18:19], s[2:3], 0x0
	s_clause 0x1
	s_load_b256 s[8:15], s[0:1], 0x18
	s_load_b64 s[20:21], s[0:1], 0x40
	s_waitcnt lgkmcnt(0)
	s_cmp_lt_i32 s18, s19
	s_cbranch_scc1 .LBB75_7
; %bb.6:
	s_ashr_i32 s1, s18, 31
	s_mov_b32 s0, s18
	s_delay_alu instid0(SALU_CYCLE_1) | instskip(NEXT) | instid1(SALU_CYCLE_1)
	s_lshl_b64 s[0:1], s[0:1], 2
	s_add_u32 s0, s8, s0
	s_addc_u32 s1, s9, s1
	s_load_b32 s7, s[0:1], 0x0
	v_subrev_nc_u32_e32 v6, s6, v0
	s_cbranch_execz .LBB75_8
	s_branch .LBB75_28
.LBB75_7:
                                        ; implicit-def: $sgpr7
	v_subrev_nc_u32_e32 v6, s6, v0
.LBB75_8:
	s_ashr_i32 s1, s18, 31
	s_mov_b32 s0, s18
	v_cmp_gt_u32_e32 vcc_lo, 0x100, v0
	s_lshl_b64 s[0:1], s[0:1], 2
	v_cmp_gt_u32_e64 s2, 4, v0
	s_add_u32 s0, s8, s0
	s_addc_u32 s1, s9, s1
	v_cmp_eq_u32_e64 s3, 0, v0
	s_waitcnt lgkmcnt(0)
	s_load_b32 s7, s[0:1], 0x0
	v_cmp_gt_u32_e64 s0, 64, v0
	v_cmp_gt_u32_e64 s1, 16, v0
	v_mov_b32_e32 v7, 0
	s_add_u32 s17, s8, 4
	s_addc_u32 s26, s9, 0
	s_mov_b32 s22, s18
	s_waitcnt lgkmcnt(0)
	s_mov_b32 s27, s7
	s_branch .LBB75_10
.LBB75_9:                               ;   in Loop: Header=BB75_10 Depth=1
	s_or_b32 exec_lo, exec_lo, s5
	s_add_i32 s22, s22, 1
	s_delay_alu instid0(SALU_CYCLE_1)
	s_cmp_ge_i32 s22, s19
	s_cbranch_scc1 .LBB75_28
.LBB75_10:                              ; =>This Loop Header: Depth=1
                                        ;     Child Loop BB75_12 Depth 2
                                        ;     Child Loop BB75_27 Depth 2
	s_ashr_i32 s23, s22, 31
	v_mov_b32_e32 v8, 0
	s_lshl_b64 s[24:25], s[22:23], 2
	s_mov_b32 s23, s27
	s_add_u32 s4, s17, s24
	s_addc_u32 s5, s26, s25
	v_add_nc_u32_e32 v0, s23, v6
	s_load_b32 s27, s[4:5], 0x0
	s_mov_b32 s23, exec_lo
	s_waitcnt lgkmcnt(0)
	s_sub_i32 s28, s27, s6
	s_delay_alu instid0(SALU_CYCLE_1)
	v_cmpx_gt_i32_e64 s28, v0
	s_cbranch_execz .LBB75_14
; %bb.11:                               ;   in Loop: Header=BB75_10 Depth=1
	v_ashrrev_i32_e32 v1, 31, v0
	s_mov_b32 s29, 0
	s_delay_alu instid0(VALU_DEP_1) | instskip(SKIP_1) | instid1(VALU_DEP_2)
	v_lshlrev_b64 v[2:3], 2, v[0:1]
	v_lshlrev_b64 v[8:9], 1, v[0:1]
	v_add_co_u32 v1, s4, s10, v2
	s_delay_alu instid0(VALU_DEP_1) | instskip(NEXT) | instid1(VALU_DEP_3)
	v_add_co_ci_u32_e64 v2, s4, s11, v3, s4
	v_add_co_u32 v3, s4, s12, v8
	s_delay_alu instid0(VALU_DEP_1)
	v_add_co_ci_u32_e64 v4, s4, s13, v9, s4
	v_mov_b32_e32 v8, 0
	s_set_inst_prefetch_distance 0x1
	.p2align	6
.LBB75_12:                              ;   Parent Loop BB75_10 Depth=1
                                        ; =>  This Inner Loop Header: Depth=2
	global_load_b32 v9, v[1:2], off
	v_add_nc_u32_e32 v0, 0x100, v0
	s_delay_alu instid0(VALU_DEP_1) | instskip(NEXT) | instid1(VALU_DEP_1)
	v_cmp_le_i32_e64 s5, s28, v0
	s_or_b32 s29, s5, s29
	s_waitcnt vmcnt(0)
	v_subrev_nc_u32_e32 v9, s6, v9
	s_delay_alu instid0(VALU_DEP_1) | instskip(NEXT) | instid1(VALU_DEP_1)
	v_ashrrev_i32_e32 v10, 31, v9
	v_lshlrev_b64 v[9:10], 1, v[9:10]
	s_delay_alu instid0(VALU_DEP_1) | instskip(NEXT) | instid1(VALU_DEP_1)
	v_add_co_u32 v9, s4, s14, v9
	v_add_co_ci_u32_e64 v10, s4, s15, v10, s4
	v_add_co_u32 v1, s4, 0x400, v1
	global_load_u16 v11, v[3:4], off
	global_load_u16 v9, v[9:10], off
	v_add_co_ci_u32_e64 v2, s4, 0, v2, s4
	v_add_co_u32 v3, s4, 0x200, v3
	s_delay_alu instid0(VALU_DEP_1) | instskip(SKIP_4) | instid1(VALU_DEP_1)
	v_add_co_ci_u32_e64 v4, s4, 0, v4, s4
	s_waitcnt vmcnt(1)
	v_lshlrev_b32_e32 v10, 16, v11
	s_waitcnt vmcnt(0)
	v_lshlrev_b32_e32 v9, 16, v9
	v_fmac_f32_e32 v8, v10, v9
	s_and_not1_b32 exec_lo, exec_lo, s29
	s_cbranch_execnz .LBB75_12
; %bb.13:                               ;   in Loop: Header=BB75_10 Depth=1
	s_set_inst_prefetch_distance 0x2
	s_or_b32 exec_lo, exec_lo, s29
.LBB75_14:                              ;   in Loop: Header=BB75_10 Depth=1
	s_delay_alu instid0(SALU_CYCLE_1)
	s_or_b32 exec_lo, exec_lo, s23
	ds_store_b32 v5, v8
	s_waitcnt lgkmcnt(0)
	s_barrier
	buffer_gl0_inv
	s_and_saveexec_b32 s4, vcc_lo
	s_cbranch_execz .LBB75_16
; %bb.15:                               ;   in Loop: Header=BB75_10 Depth=1
	ds_load_2addr_stride64_b32 v[0:1], v5 offset1:4
	ds_load_2addr_stride64_b32 v[2:3], v5 offset0:8 offset1:12
	s_waitcnt lgkmcnt(0)
	v_add_f32_e32 v1, v1, v2
	s_delay_alu instid0(VALU_DEP_1) | instskip(NEXT) | instid1(VALU_DEP_1)
	v_add_f32_e32 v1, v1, v3
	v_add_f32_e32 v0, v0, v1
	ds_store_b32 v5, v0
.LBB75_16:                              ;   in Loop: Header=BB75_10 Depth=1
	s_or_b32 exec_lo, exec_lo, s4
	s_waitcnt lgkmcnt(0)
	s_barrier
	buffer_gl0_inv
	s_and_saveexec_b32 s4, s0
	s_cbranch_execz .LBB75_18
; %bb.17:                               ;   in Loop: Header=BB75_10 Depth=1
	ds_load_2addr_stride64_b32 v[0:1], v5 offset1:1
	ds_load_2addr_stride64_b32 v[2:3], v5 offset0:2 offset1:3
	s_waitcnt lgkmcnt(0)
	v_add_f32_e32 v1, v1, v2
	s_delay_alu instid0(VALU_DEP_1) | instskip(NEXT) | instid1(VALU_DEP_1)
	v_add_f32_e32 v1, v1, v3
	v_add_f32_e32 v0, v0, v1
	ds_store_b32 v5, v0
.LBB75_18:                              ;   in Loop: Header=BB75_10 Depth=1
	s_or_b32 exec_lo, exec_lo, s4
	s_waitcnt lgkmcnt(0)
	s_barrier
	buffer_gl0_inv
	s_and_saveexec_b32 s4, s1
	s_cbranch_execz .LBB75_20
; %bb.19:                               ;   in Loop: Header=BB75_10 Depth=1
	ds_load_2addr_b32 v[0:1], v5 offset1:16
	ds_load_2addr_b32 v[2:3], v5 offset0:32 offset1:48
	s_waitcnt lgkmcnt(0)
	v_add_f32_e32 v1, v1, v2
	s_delay_alu instid0(VALU_DEP_1) | instskip(NEXT) | instid1(VALU_DEP_1)
	v_add_f32_e32 v1, v1, v3
	v_add_f32_e32 v0, v0, v1
	ds_store_b32 v5, v0
.LBB75_20:                              ;   in Loop: Header=BB75_10 Depth=1
	s_or_b32 exec_lo, exec_lo, s4
	s_waitcnt lgkmcnt(0)
	s_barrier
	buffer_gl0_inv
	s_and_saveexec_b32 s4, s2
	s_cbranch_execz .LBB75_22
; %bb.21:                               ;   in Loop: Header=BB75_10 Depth=1
	ds_load_2addr_b32 v[0:1], v5 offset1:4
	ds_load_2addr_b32 v[2:3], v5 offset0:8 offset1:12
	s_waitcnt lgkmcnt(0)
	v_add_f32_e32 v1, v1, v2
	s_delay_alu instid0(VALU_DEP_1) | instskip(NEXT) | instid1(VALU_DEP_1)
	v_add_f32_e32 v1, v1, v3
	v_add_f32_e32 v0, v0, v1
	ds_store_b32 v5, v0
.LBB75_22:                              ;   in Loop: Header=BB75_10 Depth=1
	s_or_b32 exec_lo, exec_lo, s4
	s_waitcnt lgkmcnt(0)
	s_barrier
	buffer_gl0_inv
	s_and_saveexec_b32 s4, s3
	s_cbranch_execz .LBB75_24
; %bb.23:                               ;   in Loop: Header=BB75_10 Depth=1
	ds_load_2addr_b32 v[0:1], v7 offset0:1 offset1:2
	ds_load_b32 v2, v7 offset:12
	ds_load_b32 v3, v5
	s_waitcnt lgkmcnt(2)
	v_add_f32_e32 v0, v0, v1
	s_waitcnt lgkmcnt(1)
	s_delay_alu instid0(VALU_DEP_1) | instskip(SKIP_1) | instid1(VALU_DEP_1)
	v_add_f32_e32 v0, v0, v2
	s_waitcnt lgkmcnt(0)
	v_add_f32_e32 v0, v3, v0
	ds_store_b32 v5, v0
.LBB75_24:                              ;   in Loop: Header=BB75_10 Depth=1
	s_or_b32 exec_lo, exec_lo, s4
	s_waitcnt lgkmcnt(0)
	s_barrier
	buffer_gl0_inv
	s_and_saveexec_b32 s5, s3
	s_cbranch_execz .LBB75_9
; %bb.25:                               ;   in Loop: Header=BB75_10 Depth=1
	s_mov_b32 s23, exec_lo
	s_delay_alu instid0(SALU_CYCLE_1) | instskip(NEXT) | instid1(VALU_DEP_1)
	v_mbcnt_lo_u32_b32 v0, s23, 0
	v_cmp_eq_u32_e64 s4, 0, v0
	s_delay_alu instid0(VALU_DEP_1) | instskip(NEXT) | instid1(SALU_CYCLE_1)
	s_and_b32 s4, exec_lo, s4
	s_mov_b32 exec_lo, s4
	s_cbranch_execz .LBB75_9
; %bb.26:                               ;   in Loop: Header=BB75_10 Depth=1
	s_add_u32 s24, s20, s24
	s_addc_u32 s25, s21, s25
	s_bcnt1_i32_b32 s4, s23
	global_load_b32 v1, v7, s[24:25]
	ds_load_b32 v0, v7
	v_cvt_f32_ubyte0_e32 v2, s4
	s_mov_b32 s23, 0
	s_waitcnt lgkmcnt(0)
	v_mul_f32_e32 v0, s16, v0
	s_delay_alu instid0(VALU_DEP_1)
	v_mul_f32_e32 v2, v0, v2
.LBB75_27:                              ;   Parent Loop BB75_10 Depth=1
                                        ; =>  This Inner Loop Header: Depth=2
	s_waitcnt vmcnt(0)
	s_delay_alu instid0(VALU_DEP_1) | instskip(SKIP_4) | instid1(VALU_DEP_2)
	v_add_f32_e32 v0, v1, v2
	global_atomic_cmpswap_b32 v0, v7, v[0:1], s[24:25] glc
	s_waitcnt vmcnt(0)
	v_cmp_eq_u32_e64 s4, v0, v1
	v_mov_b32_e32 v1, v0
	s_or_b32 s23, s4, s23
	s_delay_alu instid0(SALU_CYCLE_1)
	s_and_not1_b32 exec_lo, exec_lo, s23
	s_cbranch_execnz .LBB75_27
	s_branch .LBB75_9
.LBB75_28:
	s_ashr_i32 s1, s19, 31
	s_mov_b32 s0, s19
	s_waitcnt lgkmcnt(0)
	v_add_nc_u32_e32 v0, s7, v6
	s_lshl_b64 s[0:1], s[0:1], 2
	s_delay_alu instid0(SALU_CYCLE_1)
	s_add_u32 s0, s8, s0
	s_addc_u32 s1, s9, s1
	s_load_b32 s0, s[0:1], 0x0
	s_waitcnt lgkmcnt(0)
	s_sub_i32 s1, s0, s6
	s_mov_b32 s0, exec_lo
	v_cmpx_gt_i32_e64 s1, v0
	s_cbranch_execz .LBB75_38
; %bb.29:
	s_add_i32 s2, s19, -1
	s_mov_b32 s4, 0
	s_cmp_gt_i32 s2, s18
	s_cselect_b32 s0, -1, 0
	s_add_i32 s3, s19, -2
	s_delay_alu instid0(SALU_CYCLE_1) | instskip(SKIP_1) | instid1(SALU_CYCLE_1)
	s_cmp_lg_u32 s3, s18
	s_cselect_b32 s3, -1, 0
	s_and_b32 s3, s0, s3
	s_branch .LBB75_31
.LBB75_30:                              ;   in Loop: Header=BB75_31 Depth=1
	s_or_b32 exec_lo, exec_lo, s0
	v_add_nc_u32_e32 v0, 0x100, v0
	s_delay_alu instid0(VALU_DEP_1) | instskip(SKIP_1) | instid1(SALU_CYCLE_1)
	v_cmp_le_i32_e32 vcc_lo, s1, v0
	s_or_b32 s4, vcc_lo, s4
	s_and_not1_b32 exec_lo, exec_lo, s4
	s_cbranch_execz .LBB75_38
.LBB75_31:                              ; =>This Loop Header: Depth=1
                                        ;     Child Loop BB75_33 Depth 2
                                        ;     Child Loop BB75_37 Depth 2
	v_mov_b32_e32 v4, s18
	v_mov_b32_e32 v2, s2
	s_and_not1_b32 vcc_lo, exec_lo, s3
	s_cbranch_vccnz .LBB75_35
; %bb.32:                               ;   in Loop: Header=BB75_31 Depth=1
	v_mov_b32_e32 v4, s18
	v_mov_b32_e32 v2, s2
	s_mov_b32 s5, 0
	.p2align	6
.LBB75_33:                              ;   Parent Loop BB75_31 Depth=1
                                        ; =>  This Inner Loop Header: Depth=2
	s_delay_alu instid0(VALU_DEP_1) | instskip(NEXT) | instid1(VALU_DEP_1)
	v_add_nc_u32_e32 v1, v2, v4
	v_lshrrev_b32_e32 v3, 31, v1
	s_delay_alu instid0(VALU_DEP_1) | instskip(NEXT) | instid1(VALU_DEP_1)
	v_add_nc_u32_e32 v1, v1, v3
	v_ashrrev_i32_e32 v5, 1, v1
	s_delay_alu instid0(VALU_DEP_1) | instskip(NEXT) | instid1(VALU_DEP_1)
	v_ashrrev_i32_e32 v6, 31, v5
	v_lshlrev_b64 v[6:7], 2, v[5:6]
	s_delay_alu instid0(VALU_DEP_1) | instskip(NEXT) | instid1(VALU_DEP_2)
	v_add_co_u32 v6, vcc_lo, s8, v6
	v_add_co_ci_u32_e32 v7, vcc_lo, s9, v7, vcc_lo
	global_load_b32 v1, v[6:7], off
	s_waitcnt vmcnt(0)
	v_subrev_nc_u32_e32 v1, s6, v1
	s_delay_alu instid0(VALU_DEP_1) | instskip(SKIP_1) | instid1(VALU_DEP_1)
	v_cmp_gt_i32_e32 vcc_lo, v1, v0
	v_cndmask_b32_e32 v2, v2, v5, vcc_lo
	v_dual_cndmask_b32 v4, v5, v4 :: v_dual_add_nc_u32 v1, -1, v2
	s_delay_alu instid0(VALU_DEP_1) | instskip(NEXT) | instid1(VALU_DEP_2)
	v_cmp_ge_i32_e32 vcc_lo, v4, v2
	v_cmp_eq_u32_e64 s0, v4, v1
	s_delay_alu instid0(VALU_DEP_1) | instskip(NEXT) | instid1(SALU_CYCLE_1)
	s_or_b32 s0, vcc_lo, s0
	s_and_b32 s0, exec_lo, s0
	s_delay_alu instid0(SALU_CYCLE_1) | instskip(NEXT) | instid1(SALU_CYCLE_1)
	s_or_b32 s5, s0, s5
	s_and_not1_b32 exec_lo, exec_lo, s5
	s_cbranch_execnz .LBB75_33
; %bb.34:                               ;   in Loop: Header=BB75_31 Depth=1
	s_or_b32 exec_lo, exec_lo, s5
.LBB75_35:                              ;   in Loop: Header=BB75_31 Depth=1
	s_delay_alu instid0(VALU_DEP_1) | instskip(SKIP_2) | instid1(VALU_DEP_2)
	v_ashrrev_i32_e32 v3, 31, v2
	v_ashrrev_i32_e32 v1, 31, v0
	s_mov_b32 s0, exec_lo
	v_lshlrev_b64 v[5:6], 2, v[2:3]
	s_delay_alu instid0(VALU_DEP_2) | instskip(NEXT) | instid1(VALU_DEP_2)
	v_lshlrev_b64 v[7:8], 2, v[0:1]
	v_add_co_u32 v5, vcc_lo, s8, v5
	s_delay_alu instid0(VALU_DEP_3)
	v_add_co_ci_u32_e32 v6, vcc_lo, s9, v6, vcc_lo
	global_load_b32 v3, v[5:6], off
	v_add_co_u32 v5, vcc_lo, s10, v7
	v_add_co_ci_u32_e32 v6, vcc_lo, s11, v8, vcc_lo
	global_load_b32 v5, v[5:6], off
	s_waitcnt vmcnt(1)
	v_subrev_nc_u32_e32 v3, s6, v3
	s_delay_alu instid0(VALU_DEP_1) | instskip(SKIP_3) | instid1(VALU_DEP_1)
	v_cmp_gt_i32_e32 vcc_lo, v3, v0
	v_cndmask_b32_e32 v3, v2, v4, vcc_lo
	s_waitcnt vmcnt(0)
	v_subrev_nc_u32_e32 v2, s6, v5
	v_cmpx_ne_u32_e64 v2, v3
	s_cbranch_execz .LBB75_30
; %bb.36:                               ;   in Loop: Header=BB75_31 Depth=1
	v_lshlrev_b64 v[5:6], 1, v[0:1]
	v_ashrrev_i32_e32 v4, 31, v3
	s_mov_b32 s5, 0
	s_delay_alu instid0(VALU_DEP_1) | instskip(NEXT) | instid1(VALU_DEP_3)
	v_lshlrev_b64 v[7:8], 1, v[3:4]
	v_add_co_u32 v5, vcc_lo, s12, v5
	s_delay_alu instid0(VALU_DEP_4) | instskip(SKIP_1) | instid1(VALU_DEP_4)
	v_add_co_ci_u32_e32 v6, vcc_lo, s13, v6, vcc_lo
	v_ashrrev_i32_e32 v3, 31, v2
	v_add_co_u32 v4, vcc_lo, s14, v7
	global_load_u16 v6, v[5:6], off
	v_add_co_ci_u32_e32 v5, vcc_lo, s15, v8, vcc_lo
	v_lshlrev_b64 v[1:2], 2, v[2:3]
	global_load_u16 v3, v[4:5], off
	v_add_co_u32 v1, vcc_lo, s20, v1
	v_add_co_ci_u32_e32 v2, vcc_lo, s21, v2, vcc_lo
	global_load_b32 v4, v[1:2], off
	s_waitcnt vmcnt(2)
	v_lshlrev_b32_e32 v5, 16, v6
	s_delay_alu instid0(VALU_DEP_1) | instskip(SKIP_2) | instid1(VALU_DEP_1)
	v_mul_f32_e32 v5, s16, v5
	s_waitcnt vmcnt(1)
	v_lshlrev_b32_e32 v3, 16, v3
	v_mul_f32_e32 v5, v5, v3
.LBB75_37:                              ;   Parent Loop BB75_31 Depth=1
                                        ; =>  This Inner Loop Header: Depth=2
	s_waitcnt vmcnt(0)
	s_delay_alu instid0(VALU_DEP_1)
	v_add_f32_e32 v3, v4, v5
	global_atomic_cmpswap_b32 v3, v[1:2], v[3:4], off glc
	s_waitcnt vmcnt(0)
	v_cmp_eq_u32_e32 vcc_lo, v3, v4
	v_mov_b32_e32 v4, v3
	s_or_b32 s5, vcc_lo, s5
	s_delay_alu instid0(SALU_CYCLE_1)
	s_and_not1_b32 exec_lo, exec_lo, s5
	s_cbranch_execnz .LBB75_37
	s_branch .LBB75_30
.LBB75_38:
	s_endpgm
	.section	.rodata,"a",@progbits
	.p2align	6, 0x0
	.amdhsa_kernel _ZL33csrmvn_symm_large_adaptive_kernelIii18rocsparse_bfloat16S0_ffEvbT_PKS1_N9rocsparse24const_host_device_scalarIT4_EES3_PKT0_PKT1_PKT2_S7_PT3_21rocsparse_index_base_b
		.amdhsa_group_segment_fixed_size 4096
		.amdhsa_private_segment_fixed_size 0
		.amdhsa_kernarg_size 80
		.amdhsa_user_sgpr_count 15
		.amdhsa_user_sgpr_dispatch_ptr 0
		.amdhsa_user_sgpr_queue_ptr 0
		.amdhsa_user_sgpr_kernarg_segment_ptr 1
		.amdhsa_user_sgpr_dispatch_id 0
		.amdhsa_user_sgpr_private_segment_size 0
		.amdhsa_wavefront_size32 1
		.amdhsa_uses_dynamic_stack 0
		.amdhsa_enable_private_segment 0
		.amdhsa_system_sgpr_workgroup_id_x 1
		.amdhsa_system_sgpr_workgroup_id_y 0
		.amdhsa_system_sgpr_workgroup_id_z 0
		.amdhsa_system_sgpr_workgroup_info 0
		.amdhsa_system_vgpr_workitem_id 0
		.amdhsa_next_free_vgpr 12
		.amdhsa_next_free_sgpr 30
		.amdhsa_reserve_vcc 1
		.amdhsa_float_round_mode_32 0
		.amdhsa_float_round_mode_16_64 0
		.amdhsa_float_denorm_mode_32 3
		.amdhsa_float_denorm_mode_16_64 3
		.amdhsa_dx10_clamp 1
		.amdhsa_ieee_mode 1
		.amdhsa_fp16_overflow 0
		.amdhsa_workgroup_processor_mode 1
		.amdhsa_memory_ordered 1
		.amdhsa_forward_progress 0
		.amdhsa_shared_vgpr_count 0
		.amdhsa_exception_fp_ieee_invalid_op 0
		.amdhsa_exception_fp_denorm_src 0
		.amdhsa_exception_fp_ieee_div_zero 0
		.amdhsa_exception_fp_ieee_overflow 0
		.amdhsa_exception_fp_ieee_underflow 0
		.amdhsa_exception_fp_ieee_inexact 0
		.amdhsa_exception_int_div_zero 0
	.end_amdhsa_kernel
	.section	.text._ZL33csrmvn_symm_large_adaptive_kernelIii18rocsparse_bfloat16S0_ffEvbT_PKS1_N9rocsparse24const_host_device_scalarIT4_EES3_PKT0_PKT1_PKT2_S7_PT3_21rocsparse_index_base_b,"axG",@progbits,_ZL33csrmvn_symm_large_adaptive_kernelIii18rocsparse_bfloat16S0_ffEvbT_PKS1_N9rocsparse24const_host_device_scalarIT4_EES3_PKT0_PKT1_PKT2_S7_PT3_21rocsparse_index_base_b,comdat
.Lfunc_end75:
	.size	_ZL33csrmvn_symm_large_adaptive_kernelIii18rocsparse_bfloat16S0_ffEvbT_PKS1_N9rocsparse24const_host_device_scalarIT4_EES3_PKT0_PKT1_PKT2_S7_PT3_21rocsparse_index_base_b, .Lfunc_end75-_ZL33csrmvn_symm_large_adaptive_kernelIii18rocsparse_bfloat16S0_ffEvbT_PKS1_N9rocsparse24const_host_device_scalarIT4_EES3_PKT0_PKT1_PKT2_S7_PT3_21rocsparse_index_base_b
                                        ; -- End function
	.section	.AMDGPU.csdata,"",@progbits
; Kernel info:
; codeLenInByte = 1880
; NumSgprs: 32
; NumVgprs: 12
; ScratchSize: 0
; MemoryBound: 0
; FloatMode: 240
; IeeeMode: 1
; LDSByteSize: 4096 bytes/workgroup (compile time only)
; SGPRBlocks: 3
; VGPRBlocks: 1
; NumSGPRsForWavesPerEU: 32
; NumVGPRsForWavesPerEU: 12
; Occupancy: 16
; WaveLimiterHint : 1
; COMPUTE_PGM_RSRC2:SCRATCH_EN: 0
; COMPUTE_PGM_RSRC2:USER_SGPR: 15
; COMPUTE_PGM_RSRC2:TRAP_HANDLER: 0
; COMPUTE_PGM_RSRC2:TGID_X_EN: 1
; COMPUTE_PGM_RSRC2:TGID_Y_EN: 0
; COMPUTE_PGM_RSRC2:TGID_Z_EN: 0
; COMPUTE_PGM_RSRC2:TIDIG_COMP_CNT: 0
	.section	.text._ZN9rocsparseL22csrmvn_adaptive_kernelIli18rocsparse_bfloat16S1_ffEEvbT_PKS2_PjPKT0_NS_24const_host_device_scalarIT4_EES4_S8_PKT1_PKT2_SB_PT3_21rocsparse_index_base_b,"axG",@progbits,_ZN9rocsparseL22csrmvn_adaptive_kernelIli18rocsparse_bfloat16S1_ffEEvbT_PKS2_PjPKT0_NS_24const_host_device_scalarIT4_EES4_S8_PKT1_PKT2_SB_PT3_21rocsparse_index_base_b,comdat
	.globl	_ZN9rocsparseL22csrmvn_adaptive_kernelIli18rocsparse_bfloat16S1_ffEEvbT_PKS2_PjPKT0_NS_24const_host_device_scalarIT4_EES4_S8_PKT1_PKT2_SB_PT3_21rocsparse_index_base_b ; -- Begin function _ZN9rocsparseL22csrmvn_adaptive_kernelIli18rocsparse_bfloat16S1_ffEEvbT_PKS2_PjPKT0_NS_24const_host_device_scalarIT4_EES4_S8_PKT1_PKT2_SB_PT3_21rocsparse_index_base_b
	.p2align	8
	.type	_ZN9rocsparseL22csrmvn_adaptive_kernelIli18rocsparse_bfloat16S1_ffEEvbT_PKS2_PjPKT0_NS_24const_host_device_scalarIT4_EES4_S8_PKT1_PKT2_SB_PT3_21rocsparse_index_base_b,@function
_ZN9rocsparseL22csrmvn_adaptive_kernelIli18rocsparse_bfloat16S1_ffEEvbT_PKS2_PjPKT0_NS_24const_host_device_scalarIT4_EES4_S8_PKT1_PKT2_SB_PT3_21rocsparse_index_base_b: ; @_ZN9rocsparseL22csrmvn_adaptive_kernelIli18rocsparse_bfloat16S1_ffEEvbT_PKS2_PjPKT0_NS_24const_host_device_scalarIT4_EES4_S8_PKT1_PKT2_SB_PT3_21rocsparse_index_base_b
; %bb.0:
	s_clause 0x2
	s_load_b64 s[36:37], s[0:1], 0x60
	s_load_b64 s[34:35], s[0:1], 0x28
	;; [unrolled: 1-line block ×3, first 2 shown]
	s_mov_b32 s38, s15
	s_waitcnt lgkmcnt(0)
	s_bitcmp1_b32 s37, 0
	s_cselect_b32 s2, -1, 0
	s_delay_alu instid0(SALU_CYCLE_1)
	s_and_b32 vcc_lo, exec_lo, s2
	s_xor_b32 s2, s2, -1
	s_cbranch_vccnz .LBB76_2
; %bb.1:
	s_load_b32 s34, s[34:35], 0x0
.LBB76_2:
	s_and_not1_b32 vcc_lo, exec_lo, s2
	s_cbranch_vccnz .LBB76_4
; %bb.3:
	s_load_b32 s24, s[24:25], 0x0
.LBB76_4:
	s_waitcnt lgkmcnt(0)
	v_cmp_neq_f32_e64 s2, s34, 0
	v_cmp_neq_f32_e64 s3, s24, 1.0
	s_delay_alu instid0(VALU_DEP_1) | instskip(NEXT) | instid1(SALU_CYCLE_1)
	s_or_b32 s2, s2, s3
	s_and_not1_b32 vcc_lo, exec_lo, s2
	s_cbranch_vccnz .LBB76_116
; %bb.5:
	s_clause 0x2
	s_load_b64 s[2:3], s[0:1], 0x10
	s_load_b64 s[6:7], s[0:1], 0x20
	s_load_b64 s[26:27], s[0:1], 0x58
	s_ashr_i32 s39, s38, 31
	s_delay_alu instid0(SALU_CYCLE_1)
	s_lshl_b64 s[4:5], s[38:39], 3
	s_waitcnt lgkmcnt(0)
	s_add_u32 s2, s2, s4
	s_addc_u32 s3, s3, s5
	s_lshl_b64 s[40:41], s[38:39], 2
	s_load_b128 s[20:23], s[2:3], 0x0
	s_load_b256 s[12:19], s[0:1], 0x30
	s_mov_b32 s3, -1
	s_waitcnt lgkmcnt(0)
	s_sub_i32 s2, s22, s20
	s_add_u32 s4, s6, s40
	s_addc_u32 s5, s7, s41
	s_lshl_b64 s[6:7], s[20:21], 3
	s_delay_alu instid0(SALU_CYCLE_1)
	s_add_u32 s28, s12, s6
	s_addc_u32 s29, s13, s7
	s_load_b32 s25, s[4:5], 0x0
	s_load_b64 s[30:31], s[28:29], 0x0
	s_cmp_lt_i32 s2, 2
	s_cbranch_scc0 .LBB76_72
; %bb.6:
	s_cmp_lg_u32 s2, 1
	s_cselect_b32 s2, -1, 0
	s_waitcnt lgkmcnt(0)
	s_cmp_lg_u32 s25, 0
	s_cselect_b32 s3, -1, 0
	s_delay_alu instid0(SALU_CYCLE_1) | instskip(NEXT) | instid1(SALU_CYCLE_1)
	s_or_b32 s2, s2, s3
	s_and_b32 vcc_lo, exec_lo, s2
	s_mov_b32 s2, -1
	s_cbranch_vccnz .LBB76_35
; %bb.7:
	v_cmp_le_i64_e64 s2, s[22:23], s[20:21]
	s_delay_alu instid0(VALU_DEP_1)
	s_and_b32 vcc_lo, exec_lo, s2
	s_cbranch_vccnz .LBB76_34
; %bb.8:
	v_sub_co_u32 v7, s2, v0, s36
	s_delay_alu instid0(VALU_DEP_1)
	v_sub_co_ci_u32_e64 v8, null, 0, 0, s2
	v_dual_mov_b32 v10, 0 :: v_dual_lshlrev_b32 v9, 2, v0
	v_cmp_gt_u32_e64 s2, 0x80, v0
	v_cmp_gt_u32_e64 s3, 64, v0
	;; [unrolled: 1-line block ×7, first 2 shown]
	v_cmp_eq_u32_e64 s9, 0, v0
	v_cmp_neq_f32_e64 s33, s24, 0
	s_add_u32 s11, s12, 8
	s_addc_u32 s35, s13, 0
	s_mov_b64 s[44:45], s[30:31]
	s_mov_b64 s[42:43], s[20:21]
	s_branch .LBB76_11
.LBB76_9:                               ;   in Loop: Header=BB76_11 Depth=1
	s_lshl_b64 s[46:47], s[42:43], 2
	s_delay_alu instid0(SALU_CYCLE_1)
	s_add_u32 s46, s26, s46
	s_addc_u32 s47, s27, s47
	s_waitcnt lgkmcnt(0)
	global_store_b32 v10, v1, s[46:47]
.LBB76_10:                              ;   in Loop: Header=BB76_11 Depth=1
	s_or_b32 exec_lo, exec_lo, s10
	s_add_u32 s42, s42, 1
	s_addc_u32 s43, s43, 0
	s_delay_alu instid0(SALU_CYCLE_1) | instskip(NEXT) | instid1(VALU_DEP_1)
	v_cmp_ge_i64_e64 s10, s[42:43], s[22:23]
	s_and_b32 vcc_lo, exec_lo, s10
	s_cbranch_vccnz .LBB76_34
.LBB76_11:                              ; =>This Loop Header: Depth=1
                                        ;     Child Loop BB76_13 Depth 2
	s_lshl_b64 s[46:47], s[42:43], 3
	s_mov_b64 s[48:49], s[44:45]
	s_add_u32 s46, s11, s46
	s_addc_u32 s47, s35, s47
	v_add_co_u32 v1, vcc_lo, s48, v7
	s_load_b64 s[44:45], s[46:47], 0x0
	v_add_co_ci_u32_e32 v2, vcc_lo, s49, v8, vcc_lo
	v_mov_b32_e32 v11, 0
	s_mov_b32 s37, exec_lo
	s_waitcnt lgkmcnt(0)
	s_sub_u32 s46, s44, s36
	s_subb_u32 s47, s45, 0
	s_delay_alu instid0(SALU_CYCLE_1)
	v_cmpx_gt_i64_e64 s[46:47], v[1:2]
	s_cbranch_execz .LBB76_15
; %bb.12:                               ;   in Loop: Header=BB76_11 Depth=1
	v_lshlrev_b64 v[3:4], 1, v[1:2]
	v_lshlrev_b64 v[5:6], 2, v[1:2]
	v_mov_b32_e32 v11, 0
	s_mov_b32 s39, 0
	s_delay_alu instid0(VALU_DEP_3) | instskip(NEXT) | instid1(VALU_DEP_4)
	v_add_co_u32 v3, vcc_lo, s16, v3
	v_add_co_ci_u32_e32 v4, vcc_lo, s17, v4, vcc_lo
	s_delay_alu instid0(VALU_DEP_4)
	v_add_co_u32 v5, vcc_lo, s14, v5
	v_add_co_ci_u32_e32 v6, vcc_lo, s15, v6, vcc_lo
	s_set_inst_prefetch_distance 0x1
	.p2align	6
.LBB76_13:                              ;   Parent Loop BB76_11 Depth=1
                                        ; =>  This Inner Loop Header: Depth=2
	global_load_b32 v12, v[5:6], off
	global_load_u16 v14, v[3:4], off
	v_add_co_u32 v5, s10, 0x400, v5
	s_delay_alu instid0(VALU_DEP_1) | instskip(SKIP_2) | instid1(VALU_DEP_1)
	v_add_co_ci_u32_e64 v6, s10, 0, v6, s10
	s_waitcnt vmcnt(1)
	v_subrev_nc_u32_e32 v12, s36, v12
	v_ashrrev_i32_e32 v13, 31, v12
	s_delay_alu instid0(VALU_DEP_1) | instskip(NEXT) | instid1(VALU_DEP_1)
	v_lshlrev_b64 v[12:13], 1, v[12:13]
	v_add_co_u32 v12, vcc_lo, s18, v12
	s_delay_alu instid0(VALU_DEP_2)
	v_add_co_ci_u32_e32 v13, vcc_lo, s19, v13, vcc_lo
	v_add_co_u32 v1, vcc_lo, 0x100, v1
	v_add_co_ci_u32_e32 v2, vcc_lo, 0, v2, vcc_lo
	global_load_u16 v12, v[12:13], off
	s_waitcnt vmcnt(1)
	v_lshlrev_b32_e32 v13, 16, v14
	v_add_co_u32 v3, vcc_lo, 0x200, v3
	v_add_co_ci_u32_e32 v4, vcc_lo, 0, v4, vcc_lo
	s_delay_alu instid0(VALU_DEP_3) | instskip(SKIP_4) | instid1(VALU_DEP_1)
	v_mul_f32_e32 v13, s34, v13
	v_cmp_le_i64_e32 vcc_lo, s[46:47], v[1:2]
	s_or_b32 s39, vcc_lo, s39
	s_waitcnt vmcnt(0)
	v_lshlrev_b32_e32 v12, 16, v12
	v_fmac_f32_e32 v11, v13, v12
	s_and_not1_b32 exec_lo, exec_lo, s39
	s_cbranch_execnz .LBB76_13
; %bb.14:                               ;   in Loop: Header=BB76_11 Depth=1
	s_set_inst_prefetch_distance 0x2
	s_or_b32 exec_lo, exec_lo, s39
.LBB76_15:                              ;   in Loop: Header=BB76_11 Depth=1
	s_delay_alu instid0(SALU_CYCLE_1)
	s_or_b32 exec_lo, exec_lo, s37
	ds_store_b32 v9, v11
	s_waitcnt lgkmcnt(0)
	s_waitcnt_vscnt null, 0x0
	s_barrier
	buffer_gl0_inv
	s_and_saveexec_b32 s10, s2
	s_cbranch_execz .LBB76_17
; %bb.16:                               ;   in Loop: Header=BB76_11 Depth=1
	ds_load_2addr_stride64_b32 v[1:2], v9 offset1:2
	s_waitcnt lgkmcnt(0)
	v_add_f32_e32 v1, v1, v2
	ds_store_b32 v9, v1
.LBB76_17:                              ;   in Loop: Header=BB76_11 Depth=1
	s_or_b32 exec_lo, exec_lo, s10
	s_waitcnt lgkmcnt(0)
	s_barrier
	buffer_gl0_inv
	s_and_saveexec_b32 s10, s3
	s_cbranch_execz .LBB76_19
; %bb.18:                               ;   in Loop: Header=BB76_11 Depth=1
	ds_load_2addr_stride64_b32 v[1:2], v9 offset1:1
	s_waitcnt lgkmcnt(0)
	v_add_f32_e32 v1, v1, v2
	ds_store_b32 v9, v1
.LBB76_19:                              ;   in Loop: Header=BB76_11 Depth=1
	s_or_b32 exec_lo, exec_lo, s10
	s_waitcnt lgkmcnt(0)
	s_barrier
	buffer_gl0_inv
	s_and_saveexec_b32 s10, s4
	s_cbranch_execz .LBB76_21
; %bb.20:                               ;   in Loop: Header=BB76_11 Depth=1
	ds_load_2addr_b32 v[1:2], v9 offset1:32
	s_waitcnt lgkmcnt(0)
	v_add_f32_e32 v1, v1, v2
	ds_store_b32 v9, v1
.LBB76_21:                              ;   in Loop: Header=BB76_11 Depth=1
	s_or_b32 exec_lo, exec_lo, s10
	s_waitcnt lgkmcnt(0)
	s_barrier
	buffer_gl0_inv
	s_and_saveexec_b32 s10, s5
	s_cbranch_execz .LBB76_23
; %bb.22:                               ;   in Loop: Header=BB76_11 Depth=1
	ds_load_2addr_b32 v[1:2], v9 offset1:16
	s_waitcnt lgkmcnt(0)
	v_add_f32_e32 v1, v1, v2
	ds_store_b32 v9, v1
.LBB76_23:                              ;   in Loop: Header=BB76_11 Depth=1
	;; [unrolled: 12-line block ×5, first 2 shown]
	s_or_b32 exec_lo, exec_lo, s10
	s_waitcnt lgkmcnt(0)
	s_barrier
	buffer_gl0_inv
	s_and_saveexec_b32 s10, s9
	s_cbranch_execz .LBB76_31
; %bb.30:                               ;   in Loop: Header=BB76_11 Depth=1
	ds_load_b64 v[1:2], v10
	s_waitcnt lgkmcnt(0)
	v_add_f32_e32 v1, v1, v2
	ds_store_b32 v10, v1
.LBB76_31:                              ;   in Loop: Header=BB76_11 Depth=1
	s_or_b32 exec_lo, exec_lo, s10
	s_waitcnt lgkmcnt(0)
	s_barrier
	buffer_gl0_inv
	s_and_saveexec_b32 s10, s9
	s_cbranch_execz .LBB76_10
; %bb.32:                               ;   in Loop: Header=BB76_11 Depth=1
	ds_load_b32 v1, v10
	s_and_not1_b32 vcc_lo, exec_lo, s33
	s_cbranch_vccnz .LBB76_9
; %bb.33:                               ;   in Loop: Header=BB76_11 Depth=1
	s_lshl_b64 s[46:47], s[42:43], 2
	s_delay_alu instid0(SALU_CYCLE_1)
	s_add_u32 s46, s26, s46
	s_addc_u32 s47, s27, s47
	global_load_b32 v2, v10, s[46:47]
	s_waitcnt vmcnt(0) lgkmcnt(0)
	v_fmac_f32_e32 v1, s24, v2
	s_branch .LBB76_9
.LBB76_34:
	s_mov_b32 s2, 0
.LBB76_35:
	s_delay_alu instid0(SALU_CYCLE_1)
	s_and_not1_b32 vcc_lo, exec_lo, s2
	s_cbranch_vccnz .LBB76_71
; %bb.36:
	s_load_b64 s[6:7], s[0:1], 0x18
	s_sub_i32 s8, s38, s25
	v_or_b32_e32 v1, s25, v0
	v_mov_b32_e32 v7, 0
	s_mov_b32 s2, exec_lo
	s_waitcnt lgkmcnt(0)
	s_add_u32 s4, s6, s40
	s_addc_u32 s5, s7, s41
	s_load_b32 s33, s[4:5], 0x0
	v_cmpx_eq_u32_e32 0, v1
	s_cbranch_execz .LBB76_40
; %bb.37:
	s_lshl_b64 s[38:39], s[20:21], 2
	s_mov_b32 s10, exec_lo
	s_add_u32 s38, s26, s38
	s_addc_u32 s39, s27, s39
	v_mbcnt_lo_u32_b32 v2, s10, 0
	s_load_b32 s3, s[38:39], 0x0
	v_add_f32_e64 v1, s24, -1.0
	s_mov_b32 s11, exec_lo
	s_waitcnt vmcnt(0) expcnt(0) lgkmcnt(0)
	s_waitcnt_vscnt null, 0x0
	v_cmpx_eq_u32_e32 0, v2
	s_cbranch_execz .LBB76_39
; %bb.38:
	s_ashr_i32 s9, s8, 31
	s_delay_alu instid0(SALU_CYCLE_1) | instskip(NEXT) | instid1(SALU_CYCLE_1)
	s_lshl_b64 s[38:39], s[8:9], 2
	s_add_u32 s38, s6, s38
	s_addc_u32 s39, s7, s39
	s_bcnt1_i32_b32 s9, s10
	s_delay_alu instid0(SALU_CYCLE_1) | instskip(NEXT) | instid1(SALU_CYCLE_1)
	s_and_b32 s9, s9, 1
	v_dual_mov_b32 v2, 0 :: v_dual_mov_b32 v3, s9
	global_atomic_xor_b32 v2, v3, s[38:39]
.LBB76_39:
	s_or_b32 exec_lo, exec_lo, s11
	v_mul_f32_e32 v7, s3, v1
.LBB76_40:
	s_or_b32 exec_lo, exec_lo, s2
	s_load_b64 s[2:3], s[28:29], 0x8
	s_mul_i32 s10, s25, 0xc00
	s_sub_u32 s11, s30, s36
	s_subb_u32 s35, s31, 0
	s_mul_hi_i32 s9, s25, 0xc00
	s_add_u32 s11, s11, s10
	s_addc_u32 s10, s35, s9
	v_add_co_u32 v1, s9, s11, v0
	s_delay_alu instid0(VALU_DEP_1) | instskip(SKIP_4) | instid1(SALU_CYCLE_1)
	v_add_co_ci_u32_e64 v2, null, s10, 0, s9
	s_mov_b32 s9, exec_lo
	s_waitcnt lgkmcnt(0)
	s_sub_u32 s2, s2, s36
	s_subb_u32 s3, s3, 0
	v_cmpx_gt_i64_e64 s[2:3], v[1:2]
	s_cbranch_execz .LBB76_44
; %bb.41:
	v_lshlrev_b64 v[3:4], 1, v[1:2]
	v_lshlrev_b64 v[5:6], 2, v[1:2]
	s_add_u32 s38, s11, 0xc00
	s_addc_u32 s39, s10, 0
	s_delay_alu instid0(SALU_CYCLE_1) | instskip(NEXT) | instid1(VALU_DEP_3)
	v_cmp_lt_i64_e64 s10, s[38:39], s[2:3]
	v_add_co_u32 v3, vcc_lo, s16, v3
	v_add_co_ci_u32_e32 v4, vcc_lo, s17, v4, vcc_lo
	v_add_co_u32 v5, vcc_lo, s14, v5
	v_add_co_ci_u32_e32 v6, vcc_lo, s15, v6, vcc_lo
	s_and_b32 s10, s10, exec_lo
	s_cselect_b32 s11, s39, s3
	s_cselect_b32 s10, s38, s2
	s_mov_b32 s3, 0
	s_set_inst_prefetch_distance 0x1
	.p2align	6
.LBB76_42:                              ; =>This Inner Loop Header: Depth=1
	global_load_b32 v8, v[5:6], off
	global_load_u16 v10, v[3:4], off
	v_add_co_u32 v5, s2, 0x400, v5
	s_delay_alu instid0(VALU_DEP_1) | instskip(SKIP_2) | instid1(VALU_DEP_1)
	v_add_co_ci_u32_e64 v6, s2, 0, v6, s2
	s_waitcnt vmcnt(1)
	v_subrev_nc_u32_e32 v8, s36, v8
	v_ashrrev_i32_e32 v9, 31, v8
	s_delay_alu instid0(VALU_DEP_1) | instskip(NEXT) | instid1(VALU_DEP_1)
	v_lshlrev_b64 v[8:9], 1, v[8:9]
	v_add_co_u32 v8, vcc_lo, s18, v8
	s_delay_alu instid0(VALU_DEP_2)
	v_add_co_ci_u32_e32 v9, vcc_lo, s19, v9, vcc_lo
	v_add_co_u32 v1, vcc_lo, 0x100, v1
	v_add_co_ci_u32_e32 v2, vcc_lo, 0, v2, vcc_lo
	global_load_u16 v8, v[8:9], off
	s_waitcnt vmcnt(1)
	v_lshlrev_b32_e32 v9, 16, v10
	v_add_co_u32 v3, vcc_lo, 0x200, v3
	v_add_co_ci_u32_e32 v4, vcc_lo, 0, v4, vcc_lo
	s_delay_alu instid0(VALU_DEP_3) | instskip(SKIP_4) | instid1(VALU_DEP_1)
	v_mul_f32_e32 v9, s34, v9
	v_cmp_le_i64_e32 vcc_lo, s[10:11], v[1:2]
	s_or_b32 s3, vcc_lo, s3
	s_waitcnt vmcnt(0)
	v_lshlrev_b32_e32 v8, 16, v8
	v_fmac_f32_e32 v7, v9, v8
	s_and_not1_b32 exec_lo, exec_lo, s3
	s_cbranch_execnz .LBB76_42
; %bb.43:
	s_set_inst_prefetch_distance 0x2
	s_or_b32 exec_lo, exec_lo, s3
.LBB76_44:
	s_delay_alu instid0(SALU_CYCLE_1)
	s_or_b32 exec_lo, exec_lo, s9
	v_lshlrev_b32_e32 v1, 2, v0
	s_mov_b32 s2, exec_lo
	ds_store_b32 v1, v7
	s_waitcnt lgkmcnt(0)
	s_waitcnt_vscnt null, 0x0
	s_barrier
	buffer_gl0_inv
	v_cmpx_gt_u32_e32 0x80, v0
	s_cbranch_execz .LBB76_46
; %bb.45:
	ds_load_2addr_stride64_b32 v[2:3], v1 offset1:2
	s_waitcnt lgkmcnt(0)
	v_add_f32_e32 v2, v2, v3
	ds_store_b32 v1, v2
.LBB76_46:
	s_or_b32 exec_lo, exec_lo, s2
	s_delay_alu instid0(SALU_CYCLE_1)
	s_mov_b32 s2, exec_lo
	s_waitcnt lgkmcnt(0)
	s_barrier
	buffer_gl0_inv
	v_cmpx_gt_u32_e32 64, v0
	s_cbranch_execz .LBB76_48
; %bb.47:
	ds_load_2addr_stride64_b32 v[2:3], v1 offset1:1
	s_waitcnt lgkmcnt(0)
	v_add_f32_e32 v2, v2, v3
	ds_store_b32 v1, v2
.LBB76_48:
	s_or_b32 exec_lo, exec_lo, s2
	s_delay_alu instid0(SALU_CYCLE_1)
	s_mov_b32 s2, exec_lo
	s_waitcnt lgkmcnt(0)
	s_barrier
	buffer_gl0_inv
	v_cmpx_gt_u32_e32 32, v0
	s_cbranch_execz .LBB76_50
; %bb.49:
	ds_load_2addr_b32 v[2:3], v1 offset1:32
	s_waitcnt lgkmcnt(0)
	v_add_f32_e32 v2, v2, v3
	ds_store_b32 v1, v2
.LBB76_50:
	s_or_b32 exec_lo, exec_lo, s2
	s_delay_alu instid0(SALU_CYCLE_1)
	s_mov_b32 s2, exec_lo
	s_waitcnt lgkmcnt(0)
	s_barrier
	buffer_gl0_inv
	v_cmpx_gt_u32_e32 16, v0
	s_cbranch_execz .LBB76_52
; %bb.51:
	ds_load_2addr_b32 v[2:3], v1 offset1:16
	s_waitcnt lgkmcnt(0)
	v_add_f32_e32 v2, v2, v3
	ds_store_b32 v1, v2
.LBB76_52:
	;; [unrolled: 14-line block ×5, first 2 shown]
	s_or_b32 exec_lo, exec_lo, s2
	v_cmp_eq_u32_e32 vcc_lo, 0, v0
	s_waitcnt lgkmcnt(0)
	s_barrier
	buffer_gl0_inv
	s_and_saveexec_b32 s2, vcc_lo
	s_cbranch_execz .LBB76_60
; %bb.59:
	v_mov_b32_e32 v3, 0
	ds_load_b64 v[1:2], v3
	s_waitcnt lgkmcnt(0)
	v_add_f32_e32 v1, v1, v2
	ds_store_b32 v3, v1
.LBB76_60:
	s_or_b32 exec_lo, exec_lo, s2
	s_waitcnt lgkmcnt(0)
	s_barrier
	buffer_gl0_inv
	s_and_saveexec_b32 s10, vcc_lo
	s_cbranch_execz .LBB76_70
; %bb.61:
	s_cmp_eq_u32 s25, 0
	s_cbranch_scc1 .LBB76_67
; %bb.62:
	s_ashr_i32 s9, s8, 31
	v_mov_b32_e32 v1, 0
	s_lshl_b64 s[2:3], s[8:9], 2
	s_delay_alu instid0(SALU_CYCLE_1)
	s_add_u32 s2, s6, s2
	s_addc_u32 s3, s7, s3
	s_branch .LBB76_64
.LBB76_63:                              ;   in Loop: Header=BB76_64 Depth=1
	s_or_b32 exec_lo, exec_lo, s6
	s_waitcnt vmcnt(0)
	v_readfirstlane_b32 s6, v2
	s_delay_alu instid0(VALU_DEP_1)
	s_cmp_eq_u32 s6, s33
	s_cbranch_scc0 .LBB76_66
.LBB76_64:                              ; =>This Inner Loop Header: Depth=1
	v_mbcnt_lo_u32_b32 v2, exec_lo, 0
	s_delay_alu instid0(VALU_DEP_1)
	v_cmp_eq_u32_e32 vcc_lo, 0, v2
                                        ; implicit-def: $vgpr2
	s_and_saveexec_b32 s6, vcc_lo
	s_cbranch_execz .LBB76_63
; %bb.65:                               ;   in Loop: Header=BB76_64 Depth=1
	global_load_b32 v2, v1, s[2:3] glc
	s_branch .LBB76_63
.LBB76_66:
	v_mov_b32_e32 v1, 0
	global_load_b32 v2, v1, s[4:5]
	s_waitcnt vmcnt(0)
	v_xor_b32_e32 v2, 1, v2
	global_store_b32 v1, v2, s[4:5]
.LBB76_67:
	s_mov_b32 s4, exec_lo
	s_delay_alu instid0(SALU_CYCLE_1) | instskip(NEXT) | instid1(VALU_DEP_1)
	v_mbcnt_lo_u32_b32 v1, s4, 0
	v_cmp_eq_u32_e32 vcc_lo, 0, v1
	s_and_b32 s2, exec_lo, vcc_lo
	s_delay_alu instid0(SALU_CYCLE_1)
	s_mov_b32 exec_lo, s2
	s_cbranch_execz .LBB76_70
; %bb.68:
	s_lshl_b64 s[2:3], s[20:21], 2
	s_delay_alu instid0(SALU_CYCLE_1) | instskip(SKIP_2) | instid1(SALU_CYCLE_1)
	s_add_u32 s2, s26, s2
	s_addc_u32 s3, s27, s3
	s_bcnt1_i32_b32 s4, s4
	v_cvt_f32_ubyte0_e32 v4, s4
	v_mov_b32_e32 v3, 0
	s_mov_b32 s4, 0
	global_load_b32 v2, v3, s[2:3]
	ds_load_b32 v1, v3
	s_waitcnt lgkmcnt(0)
	v_mul_f32_e32 v4, v1, v4
.LBB76_69:                              ; =>This Inner Loop Header: Depth=1
	s_waitcnt vmcnt(0)
	s_delay_alu instid0(VALU_DEP_1)
	v_add_f32_e32 v1, v2, v4
	global_atomic_cmpswap_b32 v1, v3, v[1:2], s[2:3] glc
	s_waitcnt vmcnt(0)
	v_cmp_eq_u32_e32 vcc_lo, v1, v2
	v_mov_b32_e32 v2, v1
	s_or_b32 s4, vcc_lo, s4
	s_delay_alu instid0(SALU_CYCLE_1)
	s_and_not1_b32 exec_lo, exec_lo, s4
	s_cbranch_execnz .LBB76_69
.LBB76_70:
	s_or_b32 exec_lo, exec_lo, s10
.LBB76_71:
	s_mov_b32 s3, 0
.LBB76_72:
	s_delay_alu instid0(SALU_CYCLE_1)
	s_and_not1_b32 vcc_lo, exec_lo, s3
	s_cbranch_vccnz .LBB76_116
; %bb.73:
	s_load_b64 s[0:1], s[0:1], 0x8
	v_sub_co_u32 v1, s2, v0, s36
	s_delay_alu instid0(VALU_DEP_1) | instskip(SKIP_1) | instid1(VALU_DEP_2)
	v_sub_co_ci_u32_e64 v2, null, 0, 0, s2
	s_waitcnt lgkmcnt(0)
	v_add_co_u32 v1, vcc_lo, s30, v1
	s_delay_alu instid0(VALU_DEP_2) | instskip(NEXT) | instid1(VALU_DEP_2)
	v_add_co_ci_u32_e32 v2, vcc_lo, s31, v2, vcc_lo
	v_add_co_u32 v3, vcc_lo, 0x300, v1
	s_delay_alu instid0(VALU_DEP_2) | instskip(NEXT) | instid1(VALU_DEP_1)
	v_add_co_ci_u32_e32 v4, vcc_lo, 0, v2, vcc_lo
	v_cmp_le_i64_e32 vcc_lo, s[0:1], v[3:4]
	s_and_saveexec_b32 s0, vcc_lo
	s_delay_alu instid0(SALU_CYCLE_1)
	s_xor_b32 s1, exec_lo, s0
	s_cbranch_execz .LBB76_78
; %bb.74:
	s_lshl_b64 s[2:3], s[22:23], 3
	s_mov_b32 s4, exec_lo
	s_add_u32 s2, s12, s2
	s_addc_u32 s3, s13, s3
	s_load_b64 s[2:3], s[2:3], 0x0
	s_waitcnt lgkmcnt(0)
	s_sub_u32 s2, s2, s36
	s_subb_u32 s3, s3, 0
	s_delay_alu instid0(SALU_CYCLE_1)
	v_cmpx_gt_i64_e64 s[2:3], v[1:2]
	s_cbranch_execz .LBB76_77
; %bb.75:
	v_lshlrev_b64 v[3:4], 1, v[1:2]
	v_lshlrev_b64 v[5:6], 2, v[1:2]
	v_lshlrev_b32_e32 v7, 2, v0
	s_mov_b32 s5, 0
	s_delay_alu instid0(VALU_DEP_3) | instskip(NEXT) | instid1(VALU_DEP_4)
	v_add_co_u32 v3, vcc_lo, s16, v3
	v_add_co_ci_u32_e32 v4, vcc_lo, s17, v4, vcc_lo
	s_delay_alu instid0(VALU_DEP_4)
	v_add_co_u32 v5, vcc_lo, s14, v5
	v_add_co_ci_u32_e32 v6, vcc_lo, s15, v6, vcc_lo
	s_set_inst_prefetch_distance 0x1
	.p2align	6
.LBB76_76:                              ; =>This Inner Loop Header: Depth=1
	global_load_b32 v8, v[5:6], off
	global_load_u16 v10, v[3:4], off
	s_waitcnt vmcnt(1)
	v_subrev_nc_u32_e32 v8, s36, v8
	s_delay_alu instid0(VALU_DEP_1) | instskip(NEXT) | instid1(VALU_DEP_1)
	v_ashrrev_i32_e32 v9, 31, v8
	v_lshlrev_b64 v[8:9], 1, v[8:9]
	s_delay_alu instid0(VALU_DEP_1) | instskip(NEXT) | instid1(VALU_DEP_2)
	v_add_co_u32 v8, vcc_lo, s18, v8
	v_add_co_ci_u32_e32 v9, vcc_lo, s19, v9, vcc_lo
	v_add_co_u32 v1, vcc_lo, 0x100, v1
	v_add_co_ci_u32_e32 v2, vcc_lo, 0, v2, vcc_lo
	global_load_u16 v8, v[8:9], off
	s_waitcnt vmcnt(1)
	v_lshlrev_b32_e32 v9, 16, v10
	v_add_co_u32 v3, vcc_lo, 0x200, v3
	v_add_co_ci_u32_e32 v4, vcc_lo, 0, v4, vcc_lo
	s_delay_alu instid0(VALU_DEP_3) | instskip(SKIP_3) | instid1(VALU_DEP_3)
	v_mul_f32_e32 v9, s34, v9
	v_cmp_le_i64_e64 s0, s[2:3], v[1:2]
	v_add_co_u32 v5, vcc_lo, 0x400, v5
	v_add_co_ci_u32_e32 v6, vcc_lo, 0, v6, vcc_lo
	s_or_b32 s5, s0, s5
	s_waitcnt vmcnt(0)
	v_lshlrev_b32_e32 v8, 16, v8
	s_delay_alu instid0(VALU_DEP_1)
	v_mul_f32_e32 v8, v9, v8
	ds_store_b32 v7, v8
	v_add_nc_u32_e32 v7, 0x400, v7
	s_and_not1_b32 exec_lo, exec_lo, s5
	s_cbranch_execnz .LBB76_76
.LBB76_77:
	s_set_inst_prefetch_distance 0x2
	s_or_b32 exec_lo, exec_lo, s4
                                        ; implicit-def: $vgpr1_vgpr2
.LBB76_78:
	s_or_saveexec_b32 s0, s1
	v_lshlrev_b32_e32 v7, 2, v0
	s_xor_b32 exec_lo, exec_lo, s0
	s_cbranch_execz .LBB76_80
; %bb.79:
	v_lshlrev_b64 v[3:4], 2, v[1:2]
	v_lshlrev_b64 v[1:2], 1, v[1:2]
	s_delay_alu instid0(VALU_DEP_2) | instskip(NEXT) | instid1(VALU_DEP_3)
	v_add_co_u32 v3, vcc_lo, s14, v3
	v_add_co_ci_u32_e32 v4, vcc_lo, s15, v4, vcc_lo
	s_delay_alu instid0(VALU_DEP_3) | instskip(NEXT) | instid1(VALU_DEP_4)
	v_add_co_u32 v1, vcc_lo, s16, v1
	v_add_co_ci_u32_e32 v2, vcc_lo, s17, v2, vcc_lo
	s_clause 0x3
	global_load_b32 v5, v[3:4], off
	global_load_b32 v6, v[3:4], off offset:1024
	global_load_b32 v8, v[3:4], off offset:2048
	;; [unrolled: 1-line block ×3, first 2 shown]
	s_clause 0x3
	global_load_u16 v12, v[1:2], off
	global_load_u16 v13, v[1:2], off offset:512
	global_load_u16 v14, v[1:2], off offset:1024
	;; [unrolled: 1-line block ×3, first 2 shown]
	s_waitcnt vmcnt(7)
	v_subrev_nc_u32_e32 v3, s36, v5
	s_waitcnt vmcnt(6)
	v_subrev_nc_u32_e32 v5, s36, v6
	;; [unrolled: 2-line block ×4, first 2 shown]
	v_ashrrev_i32_e32 v4, 31, v3
	v_ashrrev_i32_e32 v6, 31, v5
	;; [unrolled: 1-line block ×3, first 2 shown]
	s_delay_alu instid0(VALU_DEP_4) | instskip(NEXT) | instid1(VALU_DEP_4)
	v_ashrrev_i32_e32 v11, 31, v10
	v_lshlrev_b64 v[3:4], 1, v[3:4]
	s_delay_alu instid0(VALU_DEP_4) | instskip(NEXT) | instid1(VALU_DEP_4)
	v_lshlrev_b64 v[1:2], 1, v[5:6]
	v_lshlrev_b64 v[5:6], 1, v[8:9]
	s_delay_alu instid0(VALU_DEP_4) | instskip(NEXT) | instid1(VALU_DEP_4)
	v_lshlrev_b64 v[8:9], 1, v[10:11]
	v_add_co_u32 v3, vcc_lo, s18, v3
	v_add_co_ci_u32_e32 v4, vcc_lo, s19, v4, vcc_lo
	v_add_co_u32 v1, vcc_lo, s18, v1
	v_add_co_ci_u32_e32 v2, vcc_lo, s19, v2, vcc_lo
	;; [unrolled: 2-line block ×4, first 2 shown]
	s_clause 0x3
	global_load_u16 v3, v[3:4], off
	global_load_u16 v1, v[1:2], off
	;; [unrolled: 1-line block ×4, first 2 shown]
	s_waitcnt vmcnt(3)
	v_lshlrev_b32_e32 v3, 16, v3
	v_lshlrev_b32_e32 v6, 16, v13
	v_lshlrev_b32_e32 v5, 16, v12
	s_waitcnt vmcnt(1)
	v_lshlrev_b32_e32 v2, 16, v2
	s_delay_alu instid0(VALU_DEP_3) | instskip(NEXT) | instid1(VALU_DEP_3)
	v_mul_f32_e32 v6, s34, v6
	v_dual_mul_f32 v5, s34, v5 :: v_dual_lshlrev_b32 v8, 16, v14
	v_lshlrev_b32_e32 v9, 16, v15
	s_waitcnt vmcnt(0)
	v_lshlrev_b32_e32 v4, 16, v4
	s_delay_alu instid0(VALU_DEP_2) | instskip(NEXT) | instid1(VALU_DEP_1)
	v_dual_mul_f32 v8, s34, v8 :: v_dual_mul_f32 v9, s34, v9
	v_dual_mul_f32 v2, v8, v2 :: v_dual_lshlrev_b32 v1, 16, v1
	v_mul_f32_e32 v3, v5, v3
	s_delay_alu instid0(VALU_DEP_2)
	v_dual_mul_f32 v4, v9, v4 :: v_dual_mul_f32 v1, v6, v1
	ds_store_2addr_stride64_b32 v7, v3, v1 offset1:4
	ds_store_2addr_stride64_b32 v7, v2, v4 offset0:8 offset1:12
.LBB76_80:
	s_or_b32 exec_lo, exec_lo, s0
	s_cmp_lt_i32 s25, 2
	s_mov_b32 s0, -1
	s_waitcnt lgkmcnt(0)
	s_waitcnt_vscnt null, 0x0
	s_barrier
	buffer_gl0_inv
	s_cbranch_scc0 .LBB76_91
; %bb.81:
	v_add_co_u32 v5, s0, s20, v0
	s_delay_alu instid0(VALU_DEP_1) | instskip(SKIP_1) | instid1(VALU_DEP_1)
	v_add_co_ci_u32_e64 v6, null, s21, 0, s0
	s_mov_b32 s1, exec_lo
	v_cmpx_gt_i64_e64 s[22:23], v[5:6]
	s_cbranch_execz .LBB76_90
; %bb.82:
	v_cmp_neq_f32_e64 s2, s24, 0
	s_lshl_b32 s0, s30, 2
	s_mov_b32 s3, 0
	s_sub_i32 s4, 0, s0
	s_branch .LBB76_84
.LBB76_83:                              ;   in Loop: Header=BB76_84 Depth=1
	v_add_co_u32 v5, vcc_lo, 0x100, v5
	v_add_co_ci_u32_e32 v6, vcc_lo, 0, v6, vcc_lo
	s_delay_alu instid0(VALU_DEP_3) | instskip(NEXT) | instid1(VALU_DEP_1)
	v_add_co_u32 v1, s0, s26, v1
	v_add_co_ci_u32_e64 v2, s0, s27, v2, s0
	s_delay_alu instid0(VALU_DEP_3) | instskip(SKIP_2) | instid1(SALU_CYCLE_1)
	v_cmp_le_i64_e32 vcc_lo, s[22:23], v[5:6]
	global_store_b32 v[1:2], v3, off
	s_or_b32 s3, vcc_lo, s3
	s_and_not1_b32 exec_lo, exec_lo, s3
	s_cbranch_execz .LBB76_90
.LBB76_84:                              ; =>This Loop Header: Depth=1
                                        ;     Child Loop BB76_86 Depth 2
	v_lshlrev_b64 v[1:2], 3, v[5:6]
	s_mov_b32 s0, exec_lo
	s_delay_alu instid0(VALU_DEP_1) | instskip(NEXT) | instid1(VALU_DEP_2)
	v_add_co_u32 v1, vcc_lo, s12, v1
	v_add_co_ci_u32_e32 v2, vcc_lo, s13, v2, vcc_lo
	global_load_b128 v[1:4], v[1:2], off
	s_waitcnt vmcnt(0)
	v_subrev_nc_u32_e32 v2, s30, v1
	v_subrev_nc_u32_e32 v4, s30, v3
	v_mov_b32_e32 v3, 0
	s_delay_alu instid0(VALU_DEP_2)
	v_cmpx_lt_i32_e64 v2, v4
	s_cbranch_execz .LBB76_88
; %bb.85:                               ;   in Loop: Header=BB76_84 Depth=1
	v_lshl_add_u32 v1, v1, 2, s4
	v_mov_b32_e32 v3, 0
	s_mov_b32 s5, 0
.LBB76_86:                              ;   Parent Loop BB76_84 Depth=1
                                        ; =>  This Inner Loop Header: Depth=2
	ds_load_b32 v8, v1
	v_add_nc_u32_e32 v2, 1, v2
	v_add_nc_u32_e32 v1, 4, v1
	s_waitcnt lgkmcnt(0)
	v_add_f32_e32 v3, v3, v8
	s_delay_alu instid0(VALU_DEP_3) | instskip(SKIP_1) | instid1(SALU_CYCLE_1)
	v_cmp_ge_i32_e32 vcc_lo, v2, v4
	s_or_b32 s5, vcc_lo, s5
	s_and_not1_b32 exec_lo, exec_lo, s5
	s_cbranch_execnz .LBB76_86
; %bb.87:                               ;   in Loop: Header=BB76_84 Depth=1
	s_or_b32 exec_lo, exec_lo, s5
.LBB76_88:                              ;   in Loop: Header=BB76_84 Depth=1
	s_delay_alu instid0(SALU_CYCLE_1)
	s_or_b32 exec_lo, exec_lo, s0
	v_lshlrev_b64 v[1:2], 2, v[5:6]
	s_and_b32 vcc_lo, exec_lo, s2
	s_cbranch_vccz .LBB76_83
; %bb.89:                               ;   in Loop: Header=BB76_84 Depth=1
	s_delay_alu instid0(VALU_DEP_1) | instskip(NEXT) | instid1(VALU_DEP_2)
	v_add_co_u32 v8, vcc_lo, s26, v1
	v_add_co_ci_u32_e32 v9, vcc_lo, s27, v2, vcc_lo
	global_load_b32 v4, v[8:9], off
	s_waitcnt vmcnt(0)
	v_fmac_f32_e32 v3, s24, v4
	s_branch .LBB76_83
.LBB76_90:
	s_or_b32 exec_lo, exec_lo, s1
	s_mov_b32 s0, 0
.LBB76_91:
	s_delay_alu instid0(SALU_CYCLE_1)
	s_and_not1_b32 vcc_lo, exec_lo, s0
	s_cbranch_vccnz .LBB76_116
; %bb.92:
	s_clz_i32_u32 s0, s25
	s_add_i32 s1, s25, -1
	s_xor_b32 s0, s0, 31
	v_mov_b32_e32 v3, 0
	v_lshrrev_b32_e32 v4, s0, v0
	v_and_b32_e32 v0, s1, v0
	s_mov_b32 s1, exec_lo
	s_delay_alu instid0(VALU_DEP_2) | instskip(NEXT) | instid1(VALU_DEP_1)
	v_add_co_u32 v1, s0, s20, v4
	v_add_co_ci_u32_e64 v2, null, s21, 0, s0
	s_delay_alu instid0(VALU_DEP_1)
	v_cmp_le_i64_e32 vcc_lo, s[22:23], v[1:2]
	v_cmpx_gt_i64_e64 s[22:23], v[1:2]
	s_cbranch_execz .LBB76_98
; %bb.93:
	v_lshlrev_b32_e32 v3, 3, v4
	s_mov_b32 s2, exec_lo
	s_clause 0x1
	global_load_b32 v4, v3, s[28:29]
	global_load_b32 v3, v3, s[28:29] offset:8
	s_waitcnt vmcnt(1)
	v_subrev_nc_u32_e32 v5, s30, v4
	s_waitcnt vmcnt(0)
	v_subrev_nc_u32_e32 v4, s30, v3
	v_mov_b32_e32 v3, 0
	s_delay_alu instid0(VALU_DEP_3) | instskip(NEXT) | instid1(VALU_DEP_1)
	v_add_nc_u32_e32 v5, v0, v5
	v_cmpx_lt_i32_e64 v5, v4
	s_cbranch_execz .LBB76_97
; %bb.94:
	v_dual_mov_b32 v3, 0 :: v_dual_lshlrev_b32 v6, 2, v5
	s_lshl_b32 s4, s25, 2
	s_mov_b32 s3, 0
.LBB76_95:                              ; =>This Inner Loop Header: Depth=1
	ds_load_b32 v8, v6
	v_add_nc_u32_e32 v5, s25, v5
	v_add_nc_u32_e32 v6, s4, v6
	s_delay_alu instid0(VALU_DEP_2) | instskip(NEXT) | instid1(VALU_DEP_1)
	v_cmp_ge_i32_e64 s0, v5, v4
	s_or_b32 s3, s0, s3
	s_waitcnt lgkmcnt(0)
	v_add_f32_e32 v3, v3, v8
	s_and_not1_b32 exec_lo, exec_lo, s3
	s_cbranch_execnz .LBB76_95
; %bb.96:
	s_or_b32 exec_lo, exec_lo, s3
.LBB76_97:
	s_delay_alu instid0(SALU_CYCLE_1)
	s_or_b32 exec_lo, exec_lo, s2
.LBB76_98:
	s_delay_alu instid0(SALU_CYCLE_1)
	s_or_b32 exec_lo, exec_lo, s1
	s_cmpk_lt_i32 s25, 0x81
	s_waitcnt_vscnt null, 0x0
	s_barrier
	buffer_gl0_inv
	ds_store_b32 v7, v3
	s_waitcnt lgkmcnt(0)
	s_barrier
	buffer_gl0_inv
	s_cbranch_scc1 .LBB76_100
; %bb.99:
	ds_load_b32 v4, v7 offset:512
	s_waitcnt lgkmcnt(0)
	s_barrier
	buffer_gl0_inv
	v_add_f32_e32 v3, v3, v4
	ds_store_b32 v7, v3
.LBB76_100:
	s_cmpk_lt_i32 s25, 0x41
	s_waitcnt lgkmcnt(0)
	s_barrier
	buffer_gl0_inv
	s_cbranch_scc1 .LBB76_102
; %bb.101:
	ds_load_b32 v4, v7 offset:256
	s_waitcnt lgkmcnt(0)
	s_barrier
	buffer_gl0_inv
	v_add_f32_e32 v3, v3, v4
	ds_store_b32 v7, v3
.LBB76_102:
	s_cmp_lt_i32 s25, 33
	s_waitcnt lgkmcnt(0)
	s_barrier
	buffer_gl0_inv
	s_cbranch_scc1 .LBB76_104
; %bb.103:
	ds_load_b32 v4, v7 offset:128
	s_waitcnt lgkmcnt(0)
	s_barrier
	buffer_gl0_inv
	v_add_f32_e32 v3, v3, v4
	ds_store_b32 v7, v3
.LBB76_104:
	s_cmp_lt_i32 s25, 17
	;; [unrolled: 13-line block ×4, first 2 shown]
	s_waitcnt lgkmcnt(0)
	s_barrier
	buffer_gl0_inv
	s_cbranch_scc1 .LBB76_110
; %bb.109:
	ds_load_b32 v4, v7 offset:16
	s_waitcnt lgkmcnt(0)
	s_barrier
	buffer_gl0_inv
	v_add_f32_e32 v3, v3, v4
	ds_store_b32 v7, v3
.LBB76_110:
	s_cmp_eq_u32 s25, 2
	s_waitcnt lgkmcnt(0)
	s_barrier
	buffer_gl0_inv
	s_cbranch_scc1 .LBB76_112
; %bb.111:
	ds_load_b32 v4, v7 offset:8
	s_waitcnt lgkmcnt(0)
	s_barrier
	buffer_gl0_inv
	v_add_f32_e32 v3, v3, v4
	ds_store_b32 v7, v3
.LBB76_112:
	s_waitcnt lgkmcnt(0)
	s_barrier
	buffer_gl0_inv
	ds_load_b32 v4, v7 offset:4
	v_cmp_eq_u32_e64 s0, 0, v0
	s_xor_b32 s1, vcc_lo, -1
	s_waitcnt lgkmcnt(0)
	s_barrier
	buffer_gl0_inv
	s_and_b32 s0, s0, s1
	v_add_f32_e32 v3, v3, v4
	ds_store_b32 v7, v3
	s_and_saveexec_b32 s1, s0
	s_cbranch_execz .LBB76_116
; %bb.113:
	v_cmp_eq_f32_e64 s0, s24, 0
	v_lshlrev_b64 v[0:1], 2, v[1:2]
	s_delay_alu instid0(VALU_DEP_2)
	s_and_b32 vcc_lo, exec_lo, s0
	s_cbranch_vccnz .LBB76_115
; %bb.114:
	s_delay_alu instid0(VALU_DEP_1) | instskip(NEXT) | instid1(VALU_DEP_2)
	v_add_co_u32 v4, vcc_lo, s26, v0
	v_add_co_ci_u32_e32 v5, vcc_lo, s27, v1, vcc_lo
	global_load_b32 v2, v[4:5], off
	s_waitcnt vmcnt(0)
	v_fmac_f32_e32 v3, s24, v2
.LBB76_115:
	s_delay_alu instid0(VALU_DEP_1) | instskip(NEXT) | instid1(VALU_DEP_2)
	v_add_co_u32 v0, vcc_lo, s26, v0
	v_add_co_ci_u32_e32 v1, vcc_lo, s27, v1, vcc_lo
	global_store_b32 v[0:1], v3, off
.LBB76_116:
	s_nop 0
	s_sendmsg sendmsg(MSG_DEALLOC_VGPRS)
	s_endpgm
	.section	.rodata,"a",@progbits
	.p2align	6, 0x0
	.amdhsa_kernel _ZN9rocsparseL22csrmvn_adaptive_kernelIli18rocsparse_bfloat16S1_ffEEvbT_PKS2_PjPKT0_NS_24const_host_device_scalarIT4_EES4_S8_PKT1_PKT2_SB_PT3_21rocsparse_index_base_b
		.amdhsa_group_segment_fixed_size 4096
		.amdhsa_private_segment_fixed_size 0
		.amdhsa_kernarg_size 104
		.amdhsa_user_sgpr_count 15
		.amdhsa_user_sgpr_dispatch_ptr 0
		.amdhsa_user_sgpr_queue_ptr 0
		.amdhsa_user_sgpr_kernarg_segment_ptr 1
		.amdhsa_user_sgpr_dispatch_id 0
		.amdhsa_user_sgpr_private_segment_size 0
		.amdhsa_wavefront_size32 1
		.amdhsa_uses_dynamic_stack 0
		.amdhsa_enable_private_segment 0
		.amdhsa_system_sgpr_workgroup_id_x 1
		.amdhsa_system_sgpr_workgroup_id_y 0
		.amdhsa_system_sgpr_workgroup_id_z 0
		.amdhsa_system_sgpr_workgroup_info 0
		.amdhsa_system_vgpr_workitem_id 0
		.amdhsa_next_free_vgpr 16
		.amdhsa_next_free_sgpr 50
		.amdhsa_reserve_vcc 1
		.amdhsa_float_round_mode_32 0
		.amdhsa_float_round_mode_16_64 0
		.amdhsa_float_denorm_mode_32 3
		.amdhsa_float_denorm_mode_16_64 3
		.amdhsa_dx10_clamp 1
		.amdhsa_ieee_mode 1
		.amdhsa_fp16_overflow 0
		.amdhsa_workgroup_processor_mode 1
		.amdhsa_memory_ordered 1
		.amdhsa_forward_progress 0
		.amdhsa_shared_vgpr_count 0
		.amdhsa_exception_fp_ieee_invalid_op 0
		.amdhsa_exception_fp_denorm_src 0
		.amdhsa_exception_fp_ieee_div_zero 0
		.amdhsa_exception_fp_ieee_overflow 0
		.amdhsa_exception_fp_ieee_underflow 0
		.amdhsa_exception_fp_ieee_inexact 0
		.amdhsa_exception_int_div_zero 0
	.end_amdhsa_kernel
	.section	.text._ZN9rocsparseL22csrmvn_adaptive_kernelIli18rocsparse_bfloat16S1_ffEEvbT_PKS2_PjPKT0_NS_24const_host_device_scalarIT4_EES4_S8_PKT1_PKT2_SB_PT3_21rocsparse_index_base_b,"axG",@progbits,_ZN9rocsparseL22csrmvn_adaptive_kernelIli18rocsparse_bfloat16S1_ffEEvbT_PKS2_PjPKT0_NS_24const_host_device_scalarIT4_EES4_S8_PKT1_PKT2_SB_PT3_21rocsparse_index_base_b,comdat
.Lfunc_end76:
	.size	_ZN9rocsparseL22csrmvn_adaptive_kernelIli18rocsparse_bfloat16S1_ffEEvbT_PKS2_PjPKT0_NS_24const_host_device_scalarIT4_EES4_S8_PKT1_PKT2_SB_PT3_21rocsparse_index_base_b, .Lfunc_end76-_ZN9rocsparseL22csrmvn_adaptive_kernelIli18rocsparse_bfloat16S1_ffEEvbT_PKS2_PjPKT0_NS_24const_host_device_scalarIT4_EES4_S8_PKT1_PKT2_SB_PT3_21rocsparse_index_base_b
                                        ; -- End function
	.section	.AMDGPU.csdata,"",@progbits
; Kernel info:
; codeLenInByte = 4668
; NumSgprs: 52
; NumVgprs: 16
; ScratchSize: 0
; MemoryBound: 0
; FloatMode: 240
; IeeeMode: 1
; LDSByteSize: 4096 bytes/workgroup (compile time only)
; SGPRBlocks: 6
; VGPRBlocks: 1
; NumSGPRsForWavesPerEU: 52
; NumVGPRsForWavesPerEU: 16
; Occupancy: 16
; WaveLimiterHint : 1
; COMPUTE_PGM_RSRC2:SCRATCH_EN: 0
; COMPUTE_PGM_RSRC2:USER_SGPR: 15
; COMPUTE_PGM_RSRC2:TRAP_HANDLER: 0
; COMPUTE_PGM_RSRC2:TGID_X_EN: 1
; COMPUTE_PGM_RSRC2:TGID_Y_EN: 0
; COMPUTE_PGM_RSRC2:TGID_Z_EN: 0
; COMPUTE_PGM_RSRC2:TIDIG_COMP_CNT: 0
	.section	.text._ZN9rocsparseL27csrmvn_symm_adaptive_kernelIli18rocsparse_bfloat16S1_ffEEvbT_S2_PKS2_NS_24const_host_device_scalarIT4_EES4_PKT0_PKT1_PKT2_S7_PT3_21rocsparse_index_base_b,"axG",@progbits,_ZN9rocsparseL27csrmvn_symm_adaptive_kernelIli18rocsparse_bfloat16S1_ffEEvbT_S2_PKS2_NS_24const_host_device_scalarIT4_EES4_PKT0_PKT1_PKT2_S7_PT3_21rocsparse_index_base_b,comdat
	.globl	_ZN9rocsparseL27csrmvn_symm_adaptive_kernelIli18rocsparse_bfloat16S1_ffEEvbT_S2_PKS2_NS_24const_host_device_scalarIT4_EES4_PKT0_PKT1_PKT2_S7_PT3_21rocsparse_index_base_b ; -- Begin function _ZN9rocsparseL27csrmvn_symm_adaptive_kernelIli18rocsparse_bfloat16S1_ffEEvbT_S2_PKS2_NS_24const_host_device_scalarIT4_EES4_PKT0_PKT1_PKT2_S7_PT3_21rocsparse_index_base_b
	.p2align	8
	.type	_ZN9rocsparseL27csrmvn_symm_adaptive_kernelIli18rocsparse_bfloat16S1_ffEEvbT_S2_PKS2_NS_24const_host_device_scalarIT4_EES4_PKT0_PKT1_PKT2_S7_PT3_21rocsparse_index_base_b,@function
_ZN9rocsparseL27csrmvn_symm_adaptive_kernelIli18rocsparse_bfloat16S1_ffEEvbT_S2_PKS2_NS_24const_host_device_scalarIT4_EES4_PKT0_PKT1_PKT2_S7_PT3_21rocsparse_index_base_b: ; @_ZN9rocsparseL27csrmvn_symm_adaptive_kernelIli18rocsparse_bfloat16S1_ffEEvbT_S2_PKS2_NS_24const_host_device_scalarIT4_EES4_PKT0_PKT1_PKT2_S7_PT3_21rocsparse_index_base_b
; %bb.0:
	s_clause 0x2
	s_load_b64 s[24:25], s[0:1], 0x58
	s_load_b64 s[30:31], s[0:1], 0x20
	;; [unrolled: 1-line block ×3, first 2 shown]
	s_mov_b32 s2, s15
	s_waitcnt lgkmcnt(0)
	s_bitcmp1_b32 s25, 0
	s_cselect_b32 s3, -1, 0
	s_delay_alu instid0(SALU_CYCLE_1)
	s_and_b32 vcc_lo, exec_lo, s3
	s_xor_b32 s3, s3, -1
	s_cbranch_vccnz .LBB77_2
; %bb.1:
	s_load_b32 s30, s[30:31], 0x0
.LBB77_2:
	s_and_not1_b32 vcc_lo, exec_lo, s3
	s_cbranch_vccnz .LBB77_4
; %bb.3:
	s_load_b32 s4, s[4:5], 0x0
.LBB77_4:
	s_waitcnt lgkmcnt(0)
	v_cmp_neq_f32_e64 s3, s30, 0
	v_cmp_neq_f32_e64 s4, s4, 1.0
	s_delay_alu instid0(VALU_DEP_1) | instskip(NEXT) | instid1(SALU_CYCLE_1)
	s_or_b32 s3, s3, s4
	s_and_not1_b32 vcc_lo, exec_lo, s3
	s_cbranch_vccnz .LBB77_164
; %bb.5:
	s_load_b64 s[4:5], s[0:1], 0x18
	s_ashr_i32 s3, s2, 31
	v_dual_mov_b32 v1, 0 :: v_dual_lshlrev_b32 v16, 2, v0
	s_lshl_b64 s[2:3], s[2:3], 3
	ds_store_2addr_stride64_b32 v16, v1, v1 offset1:4
	ds_store_2addr_stride64_b32 v16, v1, v1 offset0:8 offset1:12
	s_waitcnt lgkmcnt(0)
	s_barrier
	buffer_gl0_inv
	s_add_u32 s2, s4, s2
	s_addc_u32 s3, s5, s3
	s_load_b128 s[16:19], s[2:3], 0x0
	s_clause 0x1
	s_load_b256 s[8:15], s[0:1], 0x28
	s_load_b64 s[20:21], s[0:1], 0x50
	s_waitcnt lgkmcnt(0)
	s_sub_u32 s22, s18, s16
	s_subb_u32 s23, s19, s17
	s_delay_alu instid0(SALU_CYCLE_1) | instskip(NEXT) | instid1(VALU_DEP_1)
	v_cmp_gt_i64_e64 s2, s[22:23], 2
	s_and_b32 vcc_lo, exec_lo, s2
	s_mov_b32 s2, -1
	s_cbranch_vccnz .LBB77_40
; %bb.6:
	v_cmp_gt_i64_e64 s2, s[18:19], s[16:17]
	v_sub_co_u32 v7, s3, v0, s24
	s_delay_alu instid0(VALU_DEP_1) | instskip(NEXT) | instid1(VALU_DEP_3)
	v_sub_co_ci_u32_e64 v8, null, 0, 0, s3
	s_and_b32 vcc_lo, exec_lo, s2
	s_mov_b32 s2, 0
	s_cbranch_vccnz .LBB77_8
; %bb.7:
	s_lshl_b64 s[4:5], s[16:17], 3
	s_delay_alu instid0(SALU_CYCLE_1)
	s_add_u32 s4, s8, s4
	s_addc_u32 s5, s9, s5
	s_load_b64 s[26:27], s[4:5], 0x0
	s_and_not1_b32 vcc_lo, exec_lo, s2
	s_cbranch_vccz .LBB77_9
	s_branch .LBB77_29
.LBB77_8:
                                        ; implicit-def: $sgpr26_sgpr27
.LBB77_9:
	s_lshl_b64 s[2:3], s[16:17], 3
	v_cmp_gt_u32_e64 s4, 16, v0
	s_add_u32 s2, s8, s2
	s_addc_u32 s3, s9, s3
	v_cmp_gt_u32_e64 s5, 4, v0
	s_waitcnt lgkmcnt(0)
	s_load_b64 s[26:27], s[2:3], 0x0
	v_cmp_gt_u32_e64 s2, 0x100, v0
	v_cmp_gt_u32_e64 s3, 64, v0
	v_cmp_eq_u32_e64 s6, 0, v0
	v_mov_b32_e32 v9, 0
	s_add_u32 s25, s8, 8
	s_addc_u32 s31, s9, 0
	s_mov_b64 s[28:29], s[16:17]
	s_waitcnt lgkmcnt(0)
	s_mov_b64 s[34:35], s[26:27]
	s_branch .LBB77_11
.LBB77_10:                              ;   in Loop: Header=BB77_11 Depth=1
	s_or_b32 exec_lo, exec_lo, s7
	s_add_u32 s28, s28, 1
	s_addc_u32 s29, s29, 0
	s_delay_alu instid0(SALU_CYCLE_1) | instskip(NEXT) | instid1(VALU_DEP_1)
	v_cmp_ge_i64_e64 s7, s[28:29], s[18:19]
	s_and_b32 vcc_lo, exec_lo, s7
	s_cbranch_vccnz .LBB77_29
.LBB77_11:                              ; =>This Loop Header: Depth=1
                                        ;     Child Loop BB77_13 Depth 2
                                        ;     Child Loop BB77_28 Depth 2
	s_lshl_b64 s[36:37], s[28:29], 3
	s_mov_b64 s[38:39], s[34:35]
	s_add_u32 s36, s25, s36
	s_addc_u32 s37, s31, s37
	v_add_co_u32 v1, vcc_lo, s38, v7
	s_load_b64 s[34:35], s[36:37], 0x0
	v_add_co_ci_u32_e32 v2, vcc_lo, s39, v8, vcc_lo
	v_mov_b32_e32 v10, 0
	s_mov_b32 s33, exec_lo
	s_waitcnt lgkmcnt(0)
	s_sub_u32 s36, s34, s24
	s_subb_u32 s37, s35, 0
	s_delay_alu instid0(SALU_CYCLE_1)
	v_cmpx_gt_i64_e64 s[36:37], v[1:2]
	s_cbranch_execz .LBB77_15
; %bb.12:                               ;   in Loop: Header=BB77_11 Depth=1
	v_lshlrev_b64 v[3:4], 2, v[1:2]
	v_lshlrev_b64 v[5:6], 1, v[1:2]
	v_mov_b32_e32 v10, 0
	s_mov_b32 s38, 0
	s_delay_alu instid0(VALU_DEP_3) | instskip(NEXT) | instid1(VALU_DEP_4)
	v_add_co_u32 v3, vcc_lo, s10, v3
	v_add_co_ci_u32_e32 v4, vcc_lo, s11, v4, vcc_lo
	s_delay_alu instid0(VALU_DEP_4)
	v_add_co_u32 v5, vcc_lo, s12, v5
	v_add_co_ci_u32_e32 v6, vcc_lo, s13, v6, vcc_lo
	s_set_inst_prefetch_distance 0x1
	.p2align	6
.LBB77_13:                              ;   Parent Loop BB77_11 Depth=1
                                        ; =>  This Inner Loop Header: Depth=2
	global_load_b32 v11, v[3:4], off
	s_waitcnt vmcnt(0)
	v_subrev_nc_u32_e32 v11, s24, v11
	s_delay_alu instid0(VALU_DEP_1) | instskip(NEXT) | instid1(VALU_DEP_1)
	v_ashrrev_i32_e32 v12, 31, v11
	v_lshlrev_b64 v[11:12], 1, v[11:12]
	s_delay_alu instid0(VALU_DEP_1) | instskip(NEXT) | instid1(VALU_DEP_2)
	v_add_co_u32 v11, vcc_lo, s14, v11
	v_add_co_ci_u32_e32 v12, vcc_lo, s15, v12, vcc_lo
	v_add_co_u32 v1, vcc_lo, 0x100, v1
	global_load_u16 v13, v[5:6], off
	global_load_u16 v11, v[11:12], off
	v_add_co_ci_u32_e32 v2, vcc_lo, 0, v2, vcc_lo
	v_add_co_u32 v3, vcc_lo, 0x400, v3
	v_add_co_ci_u32_e32 v4, vcc_lo, 0, v4, vcc_lo
	s_delay_alu instid0(VALU_DEP_3) | instskip(SKIP_1) | instid1(VALU_DEP_1)
	v_cmp_le_i64_e32 vcc_lo, s[36:37], v[1:2]
	v_add_co_u32 v5, s7, 0x200, v5
	v_add_co_ci_u32_e64 v6, s7, 0, v6, s7
	s_or_b32 s38, vcc_lo, s38
	s_waitcnt vmcnt(1)
	v_lshlrev_b32_e32 v12, 16, v13
	s_waitcnt vmcnt(0)
	v_lshlrev_b32_e32 v11, 16, v11
	s_delay_alu instid0(VALU_DEP_1)
	v_fmac_f32_e32 v10, v12, v11
	s_and_not1_b32 exec_lo, exec_lo, s38
	s_cbranch_execnz .LBB77_13
; %bb.14:                               ;   in Loop: Header=BB77_11 Depth=1
	s_set_inst_prefetch_distance 0x2
	s_or_b32 exec_lo, exec_lo, s38
.LBB77_15:                              ;   in Loop: Header=BB77_11 Depth=1
	s_delay_alu instid0(SALU_CYCLE_1)
	s_or_b32 exec_lo, exec_lo, s33
	ds_store_b32 v16, v10
	s_waitcnt lgkmcnt(0)
	s_barrier
	buffer_gl0_inv
	s_and_saveexec_b32 s7, s2
	s_cbranch_execz .LBB77_17
; %bb.16:                               ;   in Loop: Header=BB77_11 Depth=1
	ds_load_2addr_stride64_b32 v[1:2], v16 offset1:4
	ds_load_2addr_stride64_b32 v[3:4], v16 offset0:8 offset1:12
	s_waitcnt lgkmcnt(0)
	v_add_f32_e32 v2, v2, v3
	s_delay_alu instid0(VALU_DEP_1) | instskip(NEXT) | instid1(VALU_DEP_1)
	v_add_f32_e32 v2, v2, v4
	v_add_f32_e32 v1, v1, v2
	ds_store_b32 v16, v1
.LBB77_17:                              ;   in Loop: Header=BB77_11 Depth=1
	s_or_b32 exec_lo, exec_lo, s7
	s_waitcnt lgkmcnt(0)
	s_barrier
	buffer_gl0_inv
	s_and_saveexec_b32 s7, s3
	s_cbranch_execz .LBB77_19
; %bb.18:                               ;   in Loop: Header=BB77_11 Depth=1
	ds_load_2addr_stride64_b32 v[1:2], v16 offset1:1
	ds_load_2addr_stride64_b32 v[3:4], v16 offset0:2 offset1:3
	s_waitcnt lgkmcnt(0)
	v_add_f32_e32 v2, v2, v3
	s_delay_alu instid0(VALU_DEP_1) | instskip(NEXT) | instid1(VALU_DEP_1)
	v_add_f32_e32 v2, v2, v4
	v_add_f32_e32 v1, v1, v2
	ds_store_b32 v16, v1
.LBB77_19:                              ;   in Loop: Header=BB77_11 Depth=1
	s_or_b32 exec_lo, exec_lo, s7
	s_waitcnt lgkmcnt(0)
	s_barrier
	buffer_gl0_inv
	s_and_saveexec_b32 s7, s4
	s_cbranch_execz .LBB77_21
; %bb.20:                               ;   in Loop: Header=BB77_11 Depth=1
	ds_load_2addr_b32 v[1:2], v16 offset1:16
	ds_load_2addr_b32 v[3:4], v16 offset0:32 offset1:48
	s_waitcnt lgkmcnt(0)
	v_add_f32_e32 v2, v2, v3
	s_delay_alu instid0(VALU_DEP_1) | instskip(NEXT) | instid1(VALU_DEP_1)
	v_add_f32_e32 v2, v2, v4
	v_add_f32_e32 v1, v1, v2
	ds_store_b32 v16, v1
.LBB77_21:                              ;   in Loop: Header=BB77_11 Depth=1
	s_or_b32 exec_lo, exec_lo, s7
	s_waitcnt lgkmcnt(0)
	s_barrier
	buffer_gl0_inv
	s_and_saveexec_b32 s7, s5
	s_cbranch_execz .LBB77_23
; %bb.22:                               ;   in Loop: Header=BB77_11 Depth=1
	ds_load_2addr_b32 v[1:2], v16 offset1:4
	ds_load_2addr_b32 v[3:4], v16 offset0:8 offset1:12
	s_waitcnt lgkmcnt(0)
	v_add_f32_e32 v2, v2, v3
	s_delay_alu instid0(VALU_DEP_1) | instskip(NEXT) | instid1(VALU_DEP_1)
	v_add_f32_e32 v2, v2, v4
	v_add_f32_e32 v1, v1, v2
	ds_store_b32 v16, v1
.LBB77_23:                              ;   in Loop: Header=BB77_11 Depth=1
	s_or_b32 exec_lo, exec_lo, s7
	s_waitcnt lgkmcnt(0)
	s_barrier
	buffer_gl0_inv
	s_and_saveexec_b32 s7, s6
	s_cbranch_execz .LBB77_25
; %bb.24:                               ;   in Loop: Header=BB77_11 Depth=1
	ds_load_2addr_b32 v[1:2], v9 offset0:1 offset1:2
	ds_load_b32 v3, v9 offset:12
	ds_load_b32 v4, v16
	s_waitcnt lgkmcnt(2)
	v_add_f32_e32 v1, v1, v2
	s_waitcnt lgkmcnt(1)
	s_delay_alu instid0(VALU_DEP_1) | instskip(SKIP_1) | instid1(VALU_DEP_1)
	v_add_f32_e32 v1, v1, v3
	s_waitcnt lgkmcnt(0)
	v_add_f32_e32 v1, v4, v1
	ds_store_b32 v16, v1
.LBB77_25:                              ;   in Loop: Header=BB77_11 Depth=1
	s_or_b32 exec_lo, exec_lo, s7
	s_waitcnt lgkmcnt(0)
	s_barrier
	buffer_gl0_inv
	s_and_saveexec_b32 s7, s6
	s_cbranch_execz .LBB77_10
; %bb.26:                               ;   in Loop: Header=BB77_11 Depth=1
	s_mov_b32 s33, exec_lo
	s_delay_alu instid0(SALU_CYCLE_1) | instskip(NEXT) | instid1(VALU_DEP_1)
	v_mbcnt_lo_u32_b32 v1, s33, 0
	v_cmp_eq_u32_e32 vcc_lo, 0, v1
	s_and_b32 s36, exec_lo, vcc_lo
	s_delay_alu instid0(SALU_CYCLE_1)
	s_mov_b32 exec_lo, s36
	s_cbranch_execz .LBB77_10
; %bb.27:                               ;   in Loop: Header=BB77_11 Depth=1
	s_lshl_b64 s[36:37], s[28:29], 2
	ds_load_b32 v1, v9
	s_add_u32 s36, s20, s36
	s_addc_u32 s37, s21, s37
	s_bcnt1_i32_b32 s33, s33
	global_load_b32 v2, v9, s[36:37]
	v_cvt_f32_ubyte0_e32 v3, s33
	s_mov_b32 s33, 0
	s_waitcnt lgkmcnt(0)
	v_mul_f32_e32 v1, s30, v1
	s_delay_alu instid0(VALU_DEP_1)
	v_mul_f32_e32 v3, v1, v3
.LBB77_28:                              ;   Parent Loop BB77_11 Depth=1
                                        ; =>  This Inner Loop Header: Depth=2
	s_waitcnt vmcnt(0)
	s_delay_alu instid0(VALU_DEP_1)
	v_add_f32_e32 v1, v2, v3
	global_atomic_cmpswap_b32 v1, v9, v[1:2], s[36:37] glc
	s_waitcnt vmcnt(0)
	v_cmp_eq_u32_e32 vcc_lo, v1, v2
	v_mov_b32_e32 v2, v1
	s_or_b32 s33, vcc_lo, s33
	s_delay_alu instid0(SALU_CYCLE_1)
	s_and_not1_b32 exec_lo, exec_lo, s33
	s_cbranch_execnz .LBB77_28
	s_branch .LBB77_10
.LBB77_29:
	s_lshl_b64 s[2:3], s[18:19], 3
	s_waitcnt lgkmcnt(0)
	v_add_co_u32 v1, vcc_lo, s26, v7
	s_add_u32 s2, s8, s2
	s_addc_u32 s3, s9, s3
	v_add_co_ci_u32_e32 v2, vcc_lo, s27, v8, vcc_lo
	s_load_b64 s[2:3], s[2:3], 0x0
	s_waitcnt lgkmcnt(0)
	s_sub_u32 s4, s2, s24
	s_subb_u32 s5, s3, 0
	s_mov_b32 s3, exec_lo
	v_cmpx_gt_i64_e64 s[4:5], v[1:2]
	s_cbranch_execz .LBB77_39
; %bb.30:
	s_add_u32 s6, s18, -1
	s_addc_u32 s7, s19, -1
	s_add_u32 s26, s18, -2
	v_cmp_gt_i64_e64 s2, s[6:7], s[16:17]
	s_addc_u32 s27, s19, -1
	s_delay_alu instid0(SALU_CYCLE_1)
	s_cmp_lg_u64 s[26:27], s[16:17]
	s_mov_b32 s26, 0
	s_cselect_b32 s25, -1, 0
	s_delay_alu instid0(VALU_DEP_1) | instid1(SALU_CYCLE_1)
	s_and_b32 s25, s2, s25
	s_branch .LBB77_32
.LBB77_31:                              ;   in Loop: Header=BB77_32 Depth=1
	s_or_b32 exec_lo, exec_lo, s2
	v_add_co_u32 v1, vcc_lo, 0x100, v1
	v_add_co_ci_u32_e32 v2, vcc_lo, 0, v2, vcc_lo
	s_delay_alu instid0(VALU_DEP_1) | instskip(SKIP_1) | instid1(SALU_CYCLE_1)
	v_cmp_le_i64_e32 vcc_lo, s[4:5], v[1:2]
	s_or_b32 s26, vcc_lo, s26
	s_and_not1_b32 exec_lo, exec_lo, s26
	s_cbranch_execz .LBB77_39
.LBB77_32:                              ; =>This Loop Header: Depth=1
                                        ;     Child Loop BB77_34 Depth 2
                                        ;     Child Loop BB77_38 Depth 2
	v_dual_mov_b32 v3, s16 :: v_dual_mov_b32 v4, s17
	v_dual_mov_b32 v5, s6 :: v_dual_mov_b32 v6, s7
	s_and_not1_b32 vcc_lo, exec_lo, s25
	s_cbranch_vccnz .LBB77_36
; %bb.33:                               ;   in Loop: Header=BB77_32 Depth=1
	v_dual_mov_b32 v3, s16 :: v_dual_mov_b32 v4, s17
	v_dual_mov_b32 v5, s6 :: v_dual_mov_b32 v6, s7
	s_mov_b32 s27, 0
	s_set_inst_prefetch_distance 0x1
	.p2align	6
.LBB77_34:                              ;   Parent Loop BB77_32 Depth=1
                                        ; =>  This Inner Loop Header: Depth=2
	s_delay_alu instid0(VALU_DEP_1) | instskip(NEXT) | instid1(VALU_DEP_2)
	v_add_co_u32 v7, vcc_lo, v5, v3
	v_add_co_ci_u32_e32 v8, vcc_lo, v6, v4, vcc_lo
	s_delay_alu instid0(VALU_DEP_1) | instskip(NEXT) | instid1(VALU_DEP_1)
	v_lshrrev_b32_e32 v9, 31, v8
	v_add_co_u32 v7, vcc_lo, v7, v9
	v_add_co_ci_u32_e32 v8, vcc_lo, 0, v8, vcc_lo
	s_delay_alu instid0(VALU_DEP_1) | instskip(NEXT) | instid1(VALU_DEP_1)
	v_ashrrev_i64 v[7:8], 1, v[7:8]
	v_lshlrev_b64 v[9:10], 3, v[7:8]
	s_delay_alu instid0(VALU_DEP_1) | instskip(NEXT) | instid1(VALU_DEP_2)
	v_add_co_u32 v9, vcc_lo, s8, v9
	v_add_co_ci_u32_e32 v10, vcc_lo, s9, v10, vcc_lo
	global_load_b64 v[9:10], v[9:10], off
	s_waitcnt vmcnt(0)
	v_sub_co_u32 v9, vcc_lo, v9, s24
	v_subrev_co_ci_u32_e32 v10, vcc_lo, 0, v10, vcc_lo
	s_delay_alu instid0(VALU_DEP_1) | instskip(SKIP_2) | instid1(VALU_DEP_2)
	v_cmp_gt_i64_e32 vcc_lo, v[9:10], v[1:2]
	v_dual_cndmask_b32 v6, v6, v8 :: v_dual_cndmask_b32 v5, v5, v7
	v_dual_cndmask_b32 v4, v8, v4 :: v_dual_cndmask_b32 v3, v7, v3
	v_add_co_u32 v7, vcc_lo, v5, -1
	s_delay_alu instid0(VALU_DEP_3) | instskip(NEXT) | instid1(VALU_DEP_3)
	v_add_co_ci_u32_e32 v8, vcc_lo, -1, v6, vcc_lo
	v_cmp_ge_i64_e32 vcc_lo, v[3:4], v[5:6]
	s_delay_alu instid0(VALU_DEP_2) | instskip(NEXT) | instid1(VALU_DEP_1)
	v_cmp_eq_u64_e64 s2, v[3:4], v[7:8]
	s_or_b32 s2, vcc_lo, s2
	s_delay_alu instid0(SALU_CYCLE_1) | instskip(NEXT) | instid1(SALU_CYCLE_1)
	s_and_b32 s2, exec_lo, s2
	s_or_b32 s27, s2, s27
	s_delay_alu instid0(SALU_CYCLE_1)
	s_and_not1_b32 exec_lo, exec_lo, s27
	s_cbranch_execnz .LBB77_34
; %bb.35:                               ;   in Loop: Header=BB77_32 Depth=1
	s_set_inst_prefetch_distance 0x2
	s_or_b32 exec_lo, exec_lo, s27
.LBB77_36:                              ;   in Loop: Header=BB77_32 Depth=1
	s_delay_alu instid0(VALU_DEP_1) | instskip(SKIP_2) | instid1(VALU_DEP_2)
	v_lshlrev_b64 v[7:8], 3, v[5:6]
	v_lshlrev_b64 v[9:10], 2, v[1:2]
	s_mov_b32 s2, exec_lo
	v_add_co_u32 v7, vcc_lo, s8, v7
	s_delay_alu instid0(VALU_DEP_3) | instskip(NEXT) | instid1(VALU_DEP_3)
	v_add_co_ci_u32_e32 v8, vcc_lo, s9, v8, vcc_lo
	v_add_co_u32 v9, vcc_lo, s10, v9
	s_delay_alu instid0(VALU_DEP_4)
	v_add_co_ci_u32_e32 v10, vcc_lo, s11, v10, vcc_lo
	global_load_b64 v[7:8], v[7:8], off
	global_load_b32 v9, v[9:10], off
	s_waitcnt vmcnt(1)
	v_sub_co_u32 v7, vcc_lo, v7, s24
	v_subrev_co_ci_u32_e32 v8, vcc_lo, 0, v8, vcc_lo
	s_delay_alu instid0(VALU_DEP_1) | instskip(SKIP_2) | instid1(VALU_DEP_1)
	v_cmp_gt_i64_e32 vcc_lo, v[7:8], v[1:2]
	s_waitcnt vmcnt(0)
	v_subrev_nc_u32_e32 v7, s24, v9
	v_ashrrev_i32_e32 v8, 31, v7
	v_dual_cndmask_b32 v4, v6, v4 :: v_dual_cndmask_b32 v3, v5, v3
	s_delay_alu instid0(VALU_DEP_1)
	v_cmpx_ne_u64_e64 v[3:4], v[7:8]
	s_cbranch_execz .LBB77_31
; %bb.37:                               ;   in Loop: Header=BB77_32 Depth=1
	v_lshlrev_b64 v[5:6], 1, v[1:2]
	v_lshlrev_b64 v[3:4], 1, v[3:4]
	s_mov_b32 s27, 0
	s_delay_alu instid0(VALU_DEP_2) | instskip(NEXT) | instid1(VALU_DEP_3)
	v_add_co_u32 v5, vcc_lo, s12, v5
	v_add_co_ci_u32_e32 v6, vcc_lo, s13, v6, vcc_lo
	s_delay_alu instid0(VALU_DEP_3) | instskip(NEXT) | instid1(VALU_DEP_4)
	v_add_co_u32 v3, vcc_lo, s14, v3
	v_add_co_ci_u32_e32 v4, vcc_lo, s15, v4, vcc_lo
	global_load_u16 v9, v[5:6], off
	v_lshlrev_b64 v[5:6], 2, v[7:8]
	global_load_u16 v7, v[3:4], off
	v_add_co_u32 v3, vcc_lo, s20, v5
	v_add_co_ci_u32_e32 v4, vcc_lo, s21, v6, vcc_lo
	global_load_b32 v6, v[3:4], off
	s_waitcnt vmcnt(2)
	v_lshlrev_b32_e32 v5, 16, v9
	s_waitcnt vmcnt(1)
	v_lshlrev_b32_e32 v7, 16, v7
	s_delay_alu instid0(VALU_DEP_2) | instskip(NEXT) | instid1(VALU_DEP_1)
	v_mul_f32_e32 v5, s30, v5
	v_mul_f32_e32 v7, v5, v7
.LBB77_38:                              ;   Parent Loop BB77_32 Depth=1
                                        ; =>  This Inner Loop Header: Depth=2
	s_waitcnt vmcnt(0)
	s_delay_alu instid0(VALU_DEP_1)
	v_add_f32_e32 v5, v6, v7
	global_atomic_cmpswap_b32 v5, v[3:4], v[5:6], off glc
	s_waitcnt vmcnt(0)
	v_cmp_eq_u32_e32 vcc_lo, v5, v6
	v_mov_b32_e32 v6, v5
	s_or_b32 s27, vcc_lo, s27
	s_delay_alu instid0(SALU_CYCLE_1)
	s_and_not1_b32 exec_lo, exec_lo, s27
	s_cbranch_execnz .LBB77_38
	s_branch .LBB77_31
.LBB77_39:
	s_or_b32 exec_lo, exec_lo, s3
	s_mov_b32 s2, 0
.LBB77_40:
	s_delay_alu instid0(SALU_CYCLE_1)
	s_and_b32 vcc_lo, exec_lo, s2
	s_cbranch_vccz .LBB77_164
; %bb.41:
	s_load_b32 s2, s[0:1], 0x6c
	s_mov_b32 s7, 0
	s_mov_b64 s[28:29], 0
	s_waitcnt lgkmcnt(0)
	s_and_b32 s6, s2, 0xffff
	s_delay_alu instid0(SALU_CYCLE_1) | instskip(NEXT) | instid1(VALU_DEP_1)
	v_cmp_lt_u64_e64 s2, s[6:7], s[22:23]
	s_and_b32 vcc_lo, exec_lo, s2
	s_cbranch_vccnz .LBB77_43
; %bb.42:
	v_cvt_f32_u32_e32 v1, s22
	s_sub_i32 s3, 0, s22
	s_delay_alu instid0(VALU_DEP_1) | instskip(SKIP_2) | instid1(VALU_DEP_1)
	v_rcp_iflag_f32_e32 v1, v1
	s_waitcnt_depctr 0xfff
	v_mul_f32_e32 v1, 0x4f7ffffe, v1
	v_cvt_u32_f32_e32 v1, v1
	s_delay_alu instid0(VALU_DEP_1) | instskip(NEXT) | instid1(VALU_DEP_1)
	v_readfirstlane_b32 s2, v1
	s_mul_i32 s3, s3, s2
	s_delay_alu instid0(SALU_CYCLE_1) | instskip(NEXT) | instid1(SALU_CYCLE_1)
	s_mul_hi_u32 s3, s2, s3
	s_add_i32 s2, s2, s3
	s_delay_alu instid0(SALU_CYCLE_1) | instskip(NEXT) | instid1(SALU_CYCLE_1)
	s_mul_hi_u32 s2, s6, s2
	s_mul_i32 s3, s2, s22
	s_add_i32 s4, s2, 1
	s_sub_i32 s3, s6, s3
	s_delay_alu instid0(SALU_CYCLE_1)
	s_sub_i32 s5, s3, s22
	s_cmp_ge_u32 s3, s22
	s_cselect_b32 s2, s4, s2
	s_cselect_b32 s3, s5, s3
	s_add_i32 s4, s2, 1
	s_cmp_ge_u32 s3, s22
	s_cselect_b32 s28, s4, s2
.LBB77_43:
	s_lshl_b64 s[2:3], s[16:17], 3
	v_sub_co_u32 v1, s7, v0, s24
	s_add_u32 s26, s8, s2
	s_addc_u32 s27, s9, s3
	s_load_b64 s[4:5], s[26:27], 0x0
	s_load_b128 s[0:3], s[0:1], 0x8
	v_sub_co_ci_u32_e64 v2, null, 0, 0, s7
	s_waitcnt lgkmcnt(0)
	v_add_co_u32 v4, vcc_lo, s4, v1
	s_delay_alu instid0(VALU_DEP_2) | instskip(SKIP_1) | instid1(VALU_DEP_3)
	v_add_co_ci_u32_e32 v5, vcc_lo, s5, v2, vcc_lo
	v_mov_b32_e32 v1, 0
	v_add_co_u32 v2, vcc_lo, 0x300, v4
	s_delay_alu instid0(VALU_DEP_3) | instskip(NEXT) | instid1(VALU_DEP_1)
	v_add_co_ci_u32_e32 v3, vcc_lo, 0, v5, vcc_lo
	v_cmp_le_i64_e32 vcc_lo, s[0:1], v[2:3]
	s_and_saveexec_b32 s0, vcc_lo
	s_delay_alu instid0(SALU_CYCLE_1)
	s_xor_b32 s7, exec_lo, s0
	s_cbranch_execnz .LBB77_46
; %bb.44:
	s_and_not1_saveexec_b32 s1, s7
	s_cbranch_execnz .LBB77_50
.LBB77_45:
	s_or_b32 exec_lo, exec_lo, s1
	s_delay_alu instid0(SALU_CYCLE_1)
	s_mov_b32 s1, exec_lo
	v_cmpx_gt_i64_e64 s[2:3], v[0:1]
	s_cbranch_execnz .LBB77_51
	s_branch .LBB77_53
.LBB77_46:
	s_lshl_b64 s[0:1], s[18:19], 3
	s_mov_b32 s25, exec_lo
	s_add_u32 s0, s8, s0
	s_addc_u32 s1, s9, s1
	s_load_b64 s[0:1], s[0:1], 0x0
	s_waitcnt lgkmcnt(0)
	s_sub_u32 s34, s0, s4
	s_subb_u32 s35, s1, s5
	s_delay_alu instid0(SALU_CYCLE_1)
	v_cmpx_gt_i64_e64 s[34:35], v[0:1]
	s_cbranch_execz .LBB77_49
; %bb.47:
	v_lshlrev_b64 v[6:7], 1, v[4:5]
	v_dual_mov_b32 v10, v16 :: v_dual_mov_b32 v9, v1
	v_mov_b32_e32 v8, v0
	s_mov_b32 s29, 0
	s_delay_alu instid0(VALU_DEP_3) | instskip(NEXT) | instid1(VALU_DEP_1)
	v_add_co_u32 v6, s0, s12, v6
	v_add_co_ci_u32_e64 v7, s0, s13, v7, s0
	.p2align	6
.LBB77_48:                              ; =>This Inner Loop Header: Depth=1
	global_load_u16 v11, v[6:7], off
	v_add_co_u32 v8, s0, 0x100, v8
	s_delay_alu instid0(VALU_DEP_1) | instskip(SKIP_1) | instid1(VALU_DEP_1)
	v_add_co_ci_u32_e64 v9, s0, 0, v9, s0
	v_add_co_u32 v6, s0, 0x200, v6
	v_add_co_ci_u32_e64 v7, s0, 0, v7, s0
	s_delay_alu instid0(VALU_DEP_3) | instskip(NEXT) | instid1(VALU_DEP_1)
	v_cmp_le_i64_e64 s1, s[34:35], v[8:9]
	s_or_b32 s29, s1, s29
	s_waitcnt vmcnt(0)
	v_lshlrev_b32_e32 v11, 16, v11
	s_delay_alu instid0(VALU_DEP_1)
	v_mul_f32_e32 v11, s30, v11
	ds_store_b32 v10, v11
	v_add_nc_u32_e32 v10, 0x400, v10
	s_and_not1_b32 exec_lo, exec_lo, s29
	s_cbranch_execnz .LBB77_48
.LBB77_49:
	s_or_b32 exec_lo, exec_lo, s25
	s_and_not1_saveexec_b32 s1, s7
	s_cbranch_execz .LBB77_45
.LBB77_50:
	v_lshlrev_b64 v[6:7], 1, v[4:5]
	s_delay_alu instid0(VALU_DEP_1) | instskip(NEXT) | instid1(VALU_DEP_1)
	v_add_co_u32 v6, s0, s12, v6
	v_add_co_ci_u32_e64 v7, s0, s13, v7, s0
	s_clause 0x3
	global_load_u16 v8, v[6:7], off
	global_load_u16 v9, v[6:7], off offset:512
	global_load_u16 v10, v[6:7], off offset:1024
	;; [unrolled: 1-line block ×3, first 2 shown]
	s_waitcnt vmcnt(0)
	v_lshlrev_b32_e32 v6, 16, v6
	s_delay_alu instid0(VALU_DEP_1) | instskip(NEXT) | instid1(VALU_DEP_1)
	v_dual_mul_f32 v6, s30, v6 :: v_dual_lshlrev_b32 v7, 16, v8
	v_dual_mul_f32 v7, s30, v7 :: v_dual_lshlrev_b32 v8, 16, v9
	s_delay_alu instid0(VALU_DEP_1) | instskip(NEXT) | instid1(VALU_DEP_1)
	v_dual_mul_f32 v8, s30, v8 :: v_dual_lshlrev_b32 v9, 16, v10
	v_mul_f32_e32 v9, s30, v9
	ds_store_2addr_stride64_b32 v16, v7, v8 offset1:4
	ds_store_2addr_stride64_b32 v16, v9, v6 offset0:8 offset1:12
	s_or_b32 exec_lo, exec_lo, s1
	s_delay_alu instid0(SALU_CYCLE_1)
	s_mov_b32 s1, exec_lo
	v_cmpx_gt_i64_e64 s[2:3], v[0:1]
	s_cbranch_execz .LBB77_53
.LBB77_51:
	v_mov_b32_e32 v7, v1
	v_lshl_add_u32 v8, v0, 2, 0x1000
	v_dual_mov_b32 v9, 0 :: v_dual_mov_b32 v6, v0
	s_mov_b32 s7, 0
.LBB77_52:                              ; =>This Inner Loop Header: Depth=1
	s_delay_alu instid0(VALU_DEP_1) | instskip(NEXT) | instid1(VALU_DEP_1)
	v_add_co_u32 v6, s0, 0x100, v6
	v_add_co_ci_u32_e64 v7, s0, 0, v7, s0
	ds_store_b32 v8, v9
	v_add_nc_u32_e32 v8, 0x400, v8
	v_cmp_le_i64_e64 s0, s[2:3], v[6:7]
	s_delay_alu instid0(VALU_DEP_1) | instskip(NEXT) | instid1(SALU_CYCLE_1)
	s_or_b32 s7, s0, s7
	s_and_not1_b32 exec_lo, exec_lo, s7
	s_cbranch_execnz .LBB77_52
.LBB77_53:
	s_or_b32 exec_lo, exec_lo, s1
	v_cmp_ge_i64_e64 s0, s[18:19], s[2:3]
	s_sub_u32 s1, s18, s2
	s_subb_u32 s7, s19, s3
	s_waitcnt lgkmcnt(0)
	s_barrier
	buffer_gl0_inv
	s_and_b32 s0, s0, exec_lo
	s_cselect_b32 s13, s7, 0
	s_cselect_b32 s12, s1, 0
	s_and_saveexec_b32 s0, vcc_lo
	s_delay_alu instid0(SALU_CYCLE_1)
	s_xor_b32 s7, exec_lo, s0
	s_cbranch_execz .LBB77_69
; %bb.54:
	s_lshl_b64 s[0:1], s[18:19], 3
	s_mov_b32 s25, exec_lo
	s_add_u32 s0, s8, s0
	s_addc_u32 s1, s9, s1
	s_load_b64 s[0:1], s[0:1], 0x0
	s_waitcnt lgkmcnt(0)
	s_sub_u32 s30, s0, s4
	s_subb_u32 s31, s1, s5
	s_delay_alu instid0(SALU_CYCLE_1)
	v_cmpx_gt_i64_e64 s[30:31], v[0:1]
	s_cbranch_execz .LBB77_68
; %bb.55:
	s_add_u32 s34, s18, -1
	s_addc_u32 s35, s19, -1
	s_add_u32 s36, s18, -2
	v_cmp_gt_i64_e64 s29, s[34:35], s[16:17]
	s_addc_u32 s37, s19, -1
	s_mov_b64 s[38:39], 0
	s_cmp_lg_u64 s[36:37], s[16:17]
	s_cselect_b32 s33, -1, 0
	s_delay_alu instid0(VALU_DEP_1) | instid1(SALU_CYCLE_1)
	s_and_b32 s29, s29, s33
	s_sub_u32 s36, s0, s24
	s_subb_u32 s37, s1, 0
	s_mov_b32 s1, 0
	s_branch .LBB77_57
.LBB77_56:                              ;   in Loop: Header=BB77_57 Depth=1
	s_or_b32 exec_lo, exec_lo, s33
	s_add_u32 s38, s38, 0x100
	s_addc_u32 s39, s39, 0
	v_add_co_u32 v2, s0, s38, v0
	s_delay_alu instid0(VALU_DEP_1) | instskip(NEXT) | instid1(VALU_DEP_1)
	v_add_co_ci_u32_e64 v3, null, s39, 0, s0
	v_cmp_le_i64_e32 vcc_lo, s[30:31], v[2:3]
	s_or_b32 s1, vcc_lo, s1
	s_delay_alu instid0(SALU_CYCLE_1)
	s_and_not1_b32 exec_lo, exec_lo, s1
	s_cbranch_execz .LBB77_68
.LBB77_57:                              ; =>This Loop Header: Depth=1
                                        ;     Child Loop BB77_59 Depth 2
                                        ;     Child Loop BB77_64 Depth 2
	v_add_co_u32 v2, vcc_lo, s38, v4
	v_add_co_ci_u32_e32 v3, vcc_lo, s39, v5, vcc_lo
	v_dual_mov_b32 v6, s16 :: v_dual_mov_b32 v7, s17
	v_dual_mov_b32 v8, s34 :: v_dual_mov_b32 v9, s35
	s_and_not1_b32 vcc_lo, exec_lo, s29
	s_cbranch_vccnz .LBB77_61
; %bb.58:                               ;   in Loop: Header=BB77_57 Depth=1
	v_dual_mov_b32 v6, s16 :: v_dual_mov_b32 v7, s17
	v_dual_mov_b32 v8, s34 :: v_dual_mov_b32 v9, s35
	s_mov_b32 s33, 0
	s_set_inst_prefetch_distance 0x1
	.p2align	6
.LBB77_59:                              ;   Parent Loop BB77_57 Depth=1
                                        ; =>  This Inner Loop Header: Depth=2
	s_delay_alu instid0(VALU_DEP_1) | instskip(NEXT) | instid1(VALU_DEP_2)
	v_add_co_u32 v10, vcc_lo, v8, v6
	v_add_co_ci_u32_e32 v11, vcc_lo, v9, v7, vcc_lo
	s_delay_alu instid0(VALU_DEP_1) | instskip(NEXT) | instid1(VALU_DEP_1)
	v_lshrrev_b32_e32 v12, 31, v11
	v_add_co_u32 v10, vcc_lo, v10, v12
	v_add_co_ci_u32_e32 v11, vcc_lo, 0, v11, vcc_lo
	s_delay_alu instid0(VALU_DEP_1) | instskip(NEXT) | instid1(VALU_DEP_1)
	v_ashrrev_i64 v[10:11], 1, v[10:11]
	v_lshlrev_b64 v[12:13], 3, v[10:11]
	s_delay_alu instid0(VALU_DEP_1) | instskip(NEXT) | instid1(VALU_DEP_2)
	v_add_co_u32 v12, vcc_lo, s8, v12
	v_add_co_ci_u32_e32 v13, vcc_lo, s9, v13, vcc_lo
	global_load_b64 v[12:13], v[12:13], off
	s_waitcnt vmcnt(0)
	v_sub_co_u32 v12, vcc_lo, v12, s24
	v_subrev_co_ci_u32_e32 v13, vcc_lo, 0, v13, vcc_lo
	s_delay_alu instid0(VALU_DEP_1) | instskip(SKIP_2) | instid1(VALU_DEP_2)
	v_cmp_gt_i64_e32 vcc_lo, v[12:13], v[2:3]
	v_dual_cndmask_b32 v9, v9, v11 :: v_dual_cndmask_b32 v8, v8, v10
	v_dual_cndmask_b32 v7, v11, v7 :: v_dual_cndmask_b32 v6, v10, v6
	v_add_co_u32 v10, vcc_lo, v8, -1
	s_delay_alu instid0(VALU_DEP_3) | instskip(NEXT) | instid1(VALU_DEP_3)
	v_add_co_ci_u32_e32 v11, vcc_lo, -1, v9, vcc_lo
	v_cmp_ge_i64_e32 vcc_lo, v[6:7], v[8:9]
	s_delay_alu instid0(VALU_DEP_2) | instskip(NEXT) | instid1(VALU_DEP_1)
	v_cmp_eq_u64_e64 s0, v[6:7], v[10:11]
	s_or_b32 s0, vcc_lo, s0
	s_delay_alu instid0(SALU_CYCLE_1) | instskip(NEXT) | instid1(SALU_CYCLE_1)
	s_and_b32 s0, exec_lo, s0
	s_or_b32 s33, s0, s33
	s_delay_alu instid0(SALU_CYCLE_1)
	s_and_not1_b32 exec_lo, exec_lo, s33
	s_cbranch_execnz .LBB77_59
; %bb.60:                               ;   in Loop: Header=BB77_57 Depth=1
	s_set_inst_prefetch_distance 0x2
	s_or_b32 exec_lo, exec_lo, s33
.LBB77_61:                              ;   in Loop: Header=BB77_57 Depth=1
	s_delay_alu instid0(VALU_DEP_1) | instskip(SKIP_2) | instid1(VALU_DEP_3)
	v_lshlrev_b64 v[10:11], 3, v[8:9]
	v_lshlrev_b64 v[12:13], 2, v[2:3]
	v_cmp_gt_i64_e64 s0, s[36:37], v[2:3]
	v_add_co_u32 v10, vcc_lo, s8, v10
	s_delay_alu instid0(VALU_DEP_4) | instskip(NEXT) | instid1(VALU_DEP_4)
	v_add_co_ci_u32_e32 v11, vcc_lo, s9, v11, vcc_lo
	v_add_co_u32 v12, vcc_lo, s10, v12
	v_add_co_ci_u32_e32 v13, vcc_lo, s11, v13, vcc_lo
	global_load_b64 v[10:11], v[10:11], off
	global_load_b32 v14, v[12:13], off
	s_waitcnt vmcnt(1)
	v_sub_co_u32 v12, vcc_lo, v10, s24
	v_subrev_co_ci_u32_e32 v13, vcc_lo, 0, v11, vcc_lo
	s_waitcnt vmcnt(0)
	v_subrev_nc_u32_e32 v10, s24, v14
	s_delay_alu instid0(VALU_DEP_2) | instskip(NEXT) | instid1(VALU_DEP_2)
	v_cmp_gt_i64_e32 vcc_lo, v[12:13], v[2:3]
	v_ashrrev_i32_e32 v11, 31, v10
	v_dual_cndmask_b32 v7, v9, v7 :: v_dual_cndmask_b32 v6, v8, v6
	s_delay_alu instid0(VALU_DEP_1) | instskip(SKIP_1) | instid1(SALU_CYCLE_1)
	v_cmp_ne_u64_e32 vcc_lo, v[6:7], v[10:11]
	s_and_b32 s0, vcc_lo, s0
	s_and_saveexec_b32 s33, s0
	s_cbranch_execz .LBB77_56
; %bb.62:                               ;   in Loop: Header=BB77_57 Depth=1
	v_add_co_u32 v8, null, s38, v0
	v_cmp_gt_i64_e32 vcc_lo, s[12:13], v[10:11]
	v_cmp_le_i64_e64 s0, s[18:19], v[10:11]
	v_lshlrev_b64 v[2:3], 1, v[6:7]
	s_delay_alu instid0(VALU_DEP_4) | instskip(NEXT) | instid1(VALU_DEP_3)
	v_lshlrev_b32_e32 v6, 2, v8
	s_or_b32 s0, vcc_lo, s0
	s_delay_alu instid0(SALU_CYCLE_1) | instskip(NEXT) | instid1(SALU_CYCLE_1)
	s_and_saveexec_b32 s40, s0
	s_xor_b32 s0, exec_lo, s40
	s_cbranch_execz .LBB77_66
; %bb.63:                               ;   in Loop: Header=BB77_57 Depth=1
	v_add_co_u32 v2, vcc_lo, s14, v2
	v_add_co_ci_u32_e32 v3, vcc_lo, s15, v3, vcc_lo
	v_lshlrev_b64 v[7:8], 2, v[10:11]
	ds_load_b32 v6, v6
	s_mov_b32 s40, 0
	global_load_u16 v9, v[2:3], off
	v_add_co_u32 v2, vcc_lo, s20, v7
	v_add_co_ci_u32_e32 v3, vcc_lo, s21, v8, vcc_lo
	global_load_b32 v7, v[2:3], off
	s_waitcnt vmcnt(1)
	v_lshlrev_b32_e32 v8, 16, v9
	s_waitcnt lgkmcnt(0)
	s_delay_alu instid0(VALU_DEP_1)
	v_mul_f32_e32 v8, v6, v8
.LBB77_64:                              ;   Parent Loop BB77_57 Depth=1
                                        ; =>  This Inner Loop Header: Depth=2
	s_waitcnt vmcnt(0)
	s_delay_alu instid0(VALU_DEP_1)
	v_add_f32_e32 v6, v7, v8
	global_atomic_cmpswap_b32 v6, v[2:3], v[6:7], off glc
	s_waitcnt vmcnt(0)
	v_cmp_eq_u32_e32 vcc_lo, v6, v7
	v_mov_b32_e32 v7, v6
	s_or_b32 s40, vcc_lo, s40
	s_delay_alu instid0(SALU_CYCLE_1)
	s_and_not1_b32 exec_lo, exec_lo, s40
	s_cbranch_execnz .LBB77_64
; %bb.65:                               ;   in Loop: Header=BB77_57 Depth=1
	s_or_b32 exec_lo, exec_lo, s40
                                        ; implicit-def: $vgpr10_vgpr11
                                        ; implicit-def: $vgpr6
                                        ; implicit-def: $vgpr2_vgpr3
.LBB77_66:                              ;   in Loop: Header=BB77_57 Depth=1
	s_and_not1_saveexec_b32 s0, s0
	s_cbranch_execz .LBB77_56
; %bb.67:                               ;   in Loop: Header=BB77_57 Depth=1
	v_add_co_u32 v2, vcc_lo, s14, v2
	v_add_co_ci_u32_e32 v3, vcc_lo, s15, v3, vcc_lo
	global_load_u16 v2, v[2:3], off
	ds_load_b32 v3, v6
	v_subrev_nc_u32_e32 v6, s12, v10
	s_delay_alu instid0(VALU_DEP_1) | instskip(SKIP_3) | instid1(VALU_DEP_1)
	v_lshl_add_u32 v6, v6, 2, 0x1000
	s_waitcnt vmcnt(0)
	v_lshlrev_b32_e32 v2, 16, v2
	s_waitcnt lgkmcnt(0)
	v_mul_f32_e32 v2, v3, v2
	ds_add_f32 v6, v2
	s_branch .LBB77_56
.LBB77_68:
	s_or_b32 exec_lo, exec_lo, s25
                                        ; implicit-def: $vgpr2_vgpr3
                                        ; implicit-def: $vgpr4
.LBB77_69:
	s_and_not1_saveexec_b32 s1, s7
	s_cbranch_execz .LBB77_119
; %bb.70:
	s_add_u32 s30, s18, -1
	s_addc_u32 s31, s19, -1
	s_add_u32 s34, s18, -2
	v_cmp_le_i64_e64 s0, s[30:31], s[16:17]
	s_addc_u32 s35, s19, -1
	v_dual_mov_b32 v8, s16 :: v_dual_mov_b32 v9, s17
	s_cmp_eq_u64 s[34:35], s[16:17]
	v_dual_mov_b32 v10, s30 :: v_dual_mov_b32 v11, s31
	s_cselect_b32 s7, -1, 0
	s_delay_alu instid0(SALU_CYCLE_1) | instskip(NEXT) | instid1(SALU_CYCLE_1)
	s_or_b32 s7, s0, s7
	s_and_b32 vcc_lo, exec_lo, s7
	s_cbranch_vccnz .LBB77_74
; %bb.71:
	v_dual_mov_b32 v8, s16 :: v_dual_mov_b32 v9, s17
	v_dual_mov_b32 v10, s30 :: v_dual_mov_b32 v11, s31
	s_mov_b32 s25, 0
	s_set_inst_prefetch_distance 0x1
	.p2align	6
.LBB77_72:                              ; =>This Inner Loop Header: Depth=1
	s_delay_alu instid0(VALU_DEP_1) | instskip(NEXT) | instid1(VALU_DEP_2)
	v_add_co_u32 v6, vcc_lo, v10, v8
	v_add_co_ci_u32_e32 v7, vcc_lo, v11, v9, vcc_lo
	s_delay_alu instid0(VALU_DEP_1) | instskip(NEXT) | instid1(VALU_DEP_1)
	v_lshrrev_b32_e32 v12, 31, v7
	v_add_co_u32 v6, vcc_lo, v6, v12
	v_add_co_ci_u32_e32 v7, vcc_lo, 0, v7, vcc_lo
	s_delay_alu instid0(VALU_DEP_1) | instskip(NEXT) | instid1(VALU_DEP_1)
	v_ashrrev_i64 v[6:7], 1, v[6:7]
	v_lshlrev_b64 v[12:13], 3, v[6:7]
	s_delay_alu instid0(VALU_DEP_1) | instskip(NEXT) | instid1(VALU_DEP_2)
	v_add_co_u32 v12, vcc_lo, s8, v12
	v_add_co_ci_u32_e32 v13, vcc_lo, s9, v13, vcc_lo
	global_load_b64 v[12:13], v[12:13], off
	s_waitcnt vmcnt(0)
	v_sub_co_u32 v12, vcc_lo, v12, s24
	v_subrev_co_ci_u32_e32 v13, vcc_lo, 0, v13, vcc_lo
	s_delay_alu instid0(VALU_DEP_1) | instskip(SKIP_2) | instid1(VALU_DEP_2)
	v_cmp_gt_i64_e32 vcc_lo, v[12:13], v[4:5]
	v_dual_cndmask_b32 v11, v11, v7 :: v_dual_cndmask_b32 v10, v10, v6
	v_dual_cndmask_b32 v9, v7, v9 :: v_dual_cndmask_b32 v8, v6, v8
	v_add_co_u32 v6, vcc_lo, v10, -1
	s_delay_alu instid0(VALU_DEP_3) | instskip(NEXT) | instid1(VALU_DEP_3)
	v_add_co_ci_u32_e32 v7, vcc_lo, -1, v11, vcc_lo
	v_cmp_ge_i64_e32 vcc_lo, v[8:9], v[10:11]
	s_delay_alu instid0(VALU_DEP_2) | instskip(NEXT) | instid1(VALU_DEP_1)
	v_cmp_eq_u64_e64 s0, v[8:9], v[6:7]
	s_or_b32 s0, vcc_lo, s0
	s_delay_alu instid0(SALU_CYCLE_1) | instskip(NEXT) | instid1(SALU_CYCLE_1)
	s_and_b32 s0, exec_lo, s0
	s_or_b32 s25, s0, s25
	s_delay_alu instid0(SALU_CYCLE_1)
	s_and_not1_b32 exec_lo, exec_lo, s25
	s_cbranch_execnz .LBB77_72
; %bb.73:
	s_set_inst_prefetch_distance 0x2
	s_or_b32 exec_lo, exec_lo, s25
.LBB77_74:
	v_lshlrev_b64 v[6:7], 3, v[10:11]
	v_lshlrev_b64 v[12:13], 2, v[4:5]
	s_xor_b32 s7, s7, -1
	s_mov_b32 s25, exec_lo
	s_delay_alu instid0(VALU_DEP_2) | instskip(NEXT) | instid1(VALU_DEP_3)
	v_add_co_u32 v6, vcc_lo, s8, v6
	v_add_co_ci_u32_e32 v7, vcc_lo, s9, v7, vcc_lo
	global_load_b64 v[14:15], v[6:7], off
	v_add_co_u32 v6, vcc_lo, s10, v12
	v_add_co_ci_u32_e32 v7, vcc_lo, s11, v13, vcc_lo
	s_lshl_b64 s[10:11], s[18:19], 3
	s_delay_alu instid0(SALU_CYCLE_1)
	s_add_u32 s10, s8, s10
	global_load_b32 v17, v[6:7], off
	s_addc_u32 s11, s9, s11
	s_waitcnt vmcnt(1)
	v_sub_co_u32 v12, vcc_lo, v14, s24
	v_subrev_co_ci_u32_e32 v13, vcc_lo, 0, v15, vcc_lo
	s_delay_alu instid0(VALU_DEP_1) | instskip(SKIP_2) | instid1(VALU_DEP_1)
	v_cmp_gt_i64_e32 vcc_lo, v[12:13], v[4:5]
	s_waitcnt vmcnt(0)
	v_subrev_nc_u32_e32 v12, s24, v17
	v_ashrrev_i32_e32 v13, 31, v12
	v_dual_cndmask_b32 v9, v11, v9 :: v_dual_cndmask_b32 v8, v10, v8
	s_delay_alu instid0(VALU_DEP_1)
	v_cmpx_ne_u64_e64 v[8:9], v[12:13]
	s_cbranch_execz .LBB77_82
; %bb.75:
	s_load_b64 s[34:35], s[10:11], 0x0
	s_waitcnt lgkmcnt(0)
	s_sub_u32 s34, s34, s24
	s_subb_u32 s35, s35, 0
	s_delay_alu instid0(SALU_CYCLE_1)
	v_cmp_gt_i64_e32 vcc_lo, s[34:35], v[4:5]
	s_and_b32 exec_lo, exec_lo, vcc_lo
	s_cbranch_execz .LBB77_82
; %bb.76:
	v_cmp_gt_i64_e32 vcc_lo, s[12:13], v[12:13]
	v_cmp_le_i64_e64 s0, s[18:19], v[12:13]
	v_lshlrev_b64 v[8:9], 1, v[8:9]
	s_delay_alu instid0(VALU_DEP_2) | instskip(NEXT) | instid1(SALU_CYCLE_1)
	s_or_b32 s0, vcc_lo, s0
	s_and_saveexec_b32 s29, s0
	s_delay_alu instid0(SALU_CYCLE_1)
	s_xor_b32 s0, exec_lo, s29
	s_cbranch_execz .LBB77_80
; %bb.77:
	s_delay_alu instid0(VALU_DEP_1)
	v_add_co_u32 v8, vcc_lo, s14, v8
	v_add_co_ci_u32_e32 v9, vcc_lo, s15, v9, vcc_lo
	v_lshlrev_b64 v[10:11], 2, v[12:13]
	s_mov_b32 s29, 0
	global_load_u16 v12, v[8:9], off
	v_add_co_u32 v8, vcc_lo, s20, v10
	v_add_co_ci_u32_e32 v9, vcc_lo, s21, v11, vcc_lo
	ds_load_b32 v10, v16
	global_load_b32 v11, v[8:9], off
	s_waitcnt vmcnt(1)
	v_lshlrev_b32_e32 v12, 16, v12
	s_waitcnt lgkmcnt(0)
	s_delay_alu instid0(VALU_DEP_1)
	v_mul_f32_e32 v12, v10, v12
.LBB77_78:                              ; =>This Inner Loop Header: Depth=1
	s_waitcnt vmcnt(0)
	s_delay_alu instid0(VALU_DEP_1)
	v_add_f32_e32 v10, v11, v12
	global_atomic_cmpswap_b32 v10, v[8:9], v[10:11], off glc
	s_waitcnt vmcnt(0)
	v_cmp_eq_u32_e32 vcc_lo, v10, v11
	v_mov_b32_e32 v11, v10
	s_or_b32 s29, vcc_lo, s29
	s_delay_alu instid0(SALU_CYCLE_1)
	s_and_not1_b32 exec_lo, exec_lo, s29
	s_cbranch_execnz .LBB77_78
; %bb.79:
	s_or_b32 exec_lo, exec_lo, s29
                                        ; implicit-def: $vgpr12_vgpr13
                                        ; implicit-def: $vgpr8_vgpr9
.LBB77_80:
	s_and_not1_saveexec_b32 s0, s0
	s_cbranch_execz .LBB77_82
; %bb.81:
	v_add_co_u32 v8, vcc_lo, s14, v8
	v_add_co_ci_u32_e32 v9, vcc_lo, s15, v9, vcc_lo
	v_subrev_nc_u32_e32 v10, s12, v12
	global_load_u16 v8, v[8:9], off
	ds_load_b32 v9, v16
	v_lshl_add_u32 v10, v10, 2, 0x1000
	s_waitcnt vmcnt(0)
	v_lshlrev_b32_e32 v8, 16, v8
	s_waitcnt lgkmcnt(0)
	s_delay_alu instid0(VALU_DEP_1)
	v_mul_f32_e32 v8, v9, v8
	ds_add_f32 v10, v8
.LBB77_82:
	s_or_b32 exec_lo, exec_lo, s25
	v_add_co_u32 v8, vcc_lo, 0x100, v4
	v_cndmask_b32_e64 v17, 0, 1, s7
	v_add_co_ci_u32_e32 v9, vcc_lo, 0, v5, vcc_lo
	v_dual_mov_b32 v10, s16 :: v_dual_mov_b32 v11, s17
	v_dual_mov_b32 v12, s30 :: v_dual_mov_b32 v13, s31
	s_and_not1_b32 vcc_lo, exec_lo, s7
	s_cbranch_vccnz .LBB77_86
; %bb.83:
	v_dual_mov_b32 v10, s16 :: v_dual_mov_b32 v11, s17
	v_dual_mov_b32 v12, s30 :: v_dual_mov_b32 v13, s31
	s_mov_b32 s7, 0
	s_set_inst_prefetch_distance 0x1
	.p2align	6
.LBB77_84:                              ; =>This Inner Loop Header: Depth=1
	s_delay_alu instid0(VALU_DEP_1) | instskip(NEXT) | instid1(VALU_DEP_2)
	v_add_co_u32 v14, vcc_lo, v12, v10
	v_add_co_ci_u32_e32 v15, vcc_lo, v13, v11, vcc_lo
	s_delay_alu instid0(VALU_DEP_1) | instskip(NEXT) | instid1(VALU_DEP_1)
	v_lshrrev_b32_e32 v18, 31, v15
	v_add_co_u32 v14, vcc_lo, v14, v18
	v_add_co_ci_u32_e32 v15, vcc_lo, 0, v15, vcc_lo
	s_delay_alu instid0(VALU_DEP_1) | instskip(NEXT) | instid1(VALU_DEP_1)
	v_ashrrev_i64 v[14:15], 1, v[14:15]
	v_lshlrev_b64 v[18:19], 3, v[14:15]
	s_delay_alu instid0(VALU_DEP_1) | instskip(NEXT) | instid1(VALU_DEP_2)
	v_add_co_u32 v18, vcc_lo, s8, v18
	v_add_co_ci_u32_e32 v19, vcc_lo, s9, v19, vcc_lo
	global_load_b64 v[18:19], v[18:19], off
	s_waitcnt vmcnt(0)
	v_sub_co_u32 v18, vcc_lo, v18, s24
	v_subrev_co_ci_u32_e32 v19, vcc_lo, 0, v19, vcc_lo
	s_delay_alu instid0(VALU_DEP_1) | instskip(SKIP_2) | instid1(VALU_DEP_2)
	v_cmp_gt_i64_e32 vcc_lo, v[18:19], v[8:9]
	v_dual_cndmask_b32 v13, v13, v15 :: v_dual_cndmask_b32 v12, v12, v14
	v_dual_cndmask_b32 v11, v15, v11 :: v_dual_cndmask_b32 v10, v14, v10
	v_add_co_u32 v14, vcc_lo, v12, -1
	s_delay_alu instid0(VALU_DEP_3) | instskip(NEXT) | instid1(VALU_DEP_3)
	v_add_co_ci_u32_e32 v15, vcc_lo, -1, v13, vcc_lo
	v_cmp_ge_i64_e32 vcc_lo, v[10:11], v[12:13]
	s_delay_alu instid0(VALU_DEP_2) | instskip(NEXT) | instid1(VALU_DEP_1)
	v_cmp_eq_u64_e64 s0, v[10:11], v[14:15]
	s_or_b32 s0, vcc_lo, s0
	s_delay_alu instid0(SALU_CYCLE_1) | instskip(NEXT) | instid1(SALU_CYCLE_1)
	s_and_b32 s0, exec_lo, s0
	s_or_b32 s7, s0, s7
	s_delay_alu instid0(SALU_CYCLE_1)
	s_and_not1_b32 exec_lo, exec_lo, s7
	s_cbranch_execnz .LBB77_84
; %bb.85:
	s_set_inst_prefetch_distance 0x2
	s_or_b32 exec_lo, exec_lo, s7
.LBB77_86:
	s_delay_alu instid0(VALU_DEP_1) | instskip(SKIP_1) | instid1(VALU_DEP_1)
	v_lshlrev_b64 v[14:15], 3, v[12:13]
	s_mov_b32 s7, exec_lo
	v_add_co_u32 v14, vcc_lo, s8, v14
	s_delay_alu instid0(VALU_DEP_2)
	v_add_co_ci_u32_e32 v15, vcc_lo, s9, v15, vcc_lo
	global_load_b64 v[14:15], v[14:15], off
	global_load_b32 v18, v[6:7], off offset:1024
	s_waitcnt vmcnt(1)
	v_sub_co_u32 v14, vcc_lo, v14, s24
	v_subrev_co_ci_u32_e32 v15, vcc_lo, 0, v15, vcc_lo
	s_delay_alu instid0(VALU_DEP_1) | instskip(SKIP_2) | instid1(VALU_DEP_1)
	v_cmp_gt_i64_e32 vcc_lo, v[14:15], v[8:9]
	s_waitcnt vmcnt(0)
	v_subrev_nc_u32_e32 v14, s24, v18
	v_ashrrev_i32_e32 v15, 31, v14
	v_dual_cndmask_b32 v11, v13, v11 :: v_dual_cndmask_b32 v10, v12, v10
	s_delay_alu instid0(VALU_DEP_1)
	v_cmpx_ne_u64_e64 v[10:11], v[14:15]
	s_cbranch_execz .LBB77_94
; %bb.87:
	s_load_b64 s[34:35], s[10:11], 0x0
	s_waitcnt lgkmcnt(0)
	s_sub_u32 s34, s34, s24
	s_subb_u32 s35, s35, 0
	s_delay_alu instid0(SALU_CYCLE_1)
	v_cmp_gt_i64_e32 vcc_lo, s[34:35], v[8:9]
	s_and_b32 exec_lo, exec_lo, vcc_lo
	s_cbranch_execz .LBB77_94
; %bb.88:
	v_cmp_gt_i64_e32 vcc_lo, s[12:13], v[14:15]
	v_cmp_le_i64_e64 s0, s[18:19], v[14:15]
	v_lshlrev_b64 v[8:9], 1, v[10:11]
	s_delay_alu instid0(VALU_DEP_2) | instskip(NEXT) | instid1(SALU_CYCLE_1)
	s_or_b32 s0, vcc_lo, s0
	s_and_saveexec_b32 s25, s0
	s_delay_alu instid0(SALU_CYCLE_1)
	s_xor_b32 s0, exec_lo, s25
	s_cbranch_execz .LBB77_92
; %bb.89:
	s_delay_alu instid0(VALU_DEP_1)
	v_add_co_u32 v8, vcc_lo, s14, v8
	v_add_co_ci_u32_e32 v9, vcc_lo, s15, v9, vcc_lo
	v_lshlrev_b64 v[10:11], 2, v[14:15]
	s_mov_b32 s25, 0
	global_load_u16 v12, v[8:9], off
	v_add_co_u32 v8, vcc_lo, s20, v10
	v_add_co_ci_u32_e32 v9, vcc_lo, s21, v11, vcc_lo
	ds_load_b32 v10, v16 offset:1024
	global_load_b32 v11, v[8:9], off
	s_waitcnt vmcnt(1)
	v_lshlrev_b32_e32 v12, 16, v12
	s_waitcnt lgkmcnt(0)
	s_delay_alu instid0(VALU_DEP_1)
	v_mul_f32_e32 v12, v10, v12
.LBB77_90:                              ; =>This Inner Loop Header: Depth=1
	s_waitcnt vmcnt(0)
	s_delay_alu instid0(VALU_DEP_1)
	v_add_f32_e32 v10, v11, v12
	global_atomic_cmpswap_b32 v10, v[8:9], v[10:11], off glc
	s_waitcnt vmcnt(0)
	v_cmp_eq_u32_e32 vcc_lo, v10, v11
	v_mov_b32_e32 v11, v10
	s_or_b32 s25, vcc_lo, s25
	s_delay_alu instid0(SALU_CYCLE_1)
	s_and_not1_b32 exec_lo, exec_lo, s25
	s_cbranch_execnz .LBB77_90
; %bb.91:
	s_or_b32 exec_lo, exec_lo, s25
                                        ; implicit-def: $vgpr14_vgpr15
                                        ; implicit-def: $vgpr8_vgpr9
.LBB77_92:
	s_and_not1_saveexec_b32 s0, s0
	s_cbranch_execz .LBB77_94
; %bb.93:
	v_add_co_u32 v8, vcc_lo, s14, v8
	v_add_co_ci_u32_e32 v9, vcc_lo, s15, v9, vcc_lo
	v_subrev_nc_u32_e32 v10, s12, v14
	global_load_u16 v8, v[8:9], off
	ds_load_b32 v9, v16 offset:1024
	v_lshl_add_u32 v10, v10, 2, 0x1000
	s_waitcnt vmcnt(0)
	v_lshlrev_b32_e32 v8, 16, v8
	s_waitcnt lgkmcnt(0)
	s_delay_alu instid0(VALU_DEP_1)
	v_mul_f32_e32 v8, v9, v8
	ds_add_f32 v10, v8
.LBB77_94:
	s_or_b32 exec_lo, exec_lo, s7
	v_cmp_ne_u32_e32 vcc_lo, 1, v17
	v_add_co_u32 v4, s0, 0x200, v4
	s_delay_alu instid0(VALU_DEP_1)
	v_add_co_ci_u32_e64 v5, s0, 0, v5, s0
	v_dual_mov_b32 v8, s16 :: v_dual_mov_b32 v9, s17
	v_dual_mov_b32 v10, s30 :: v_dual_mov_b32 v11, s31
	s_cbranch_vccnz .LBB77_98
; %bb.95:
	v_dual_mov_b32 v8, s16 :: v_dual_mov_b32 v9, s17
	v_dual_mov_b32 v10, s30 :: v_dual_mov_b32 v11, s31
	s_mov_b32 s7, 0
	s_set_inst_prefetch_distance 0x1
	.p2align	6
.LBB77_96:                              ; =>This Inner Loop Header: Depth=1
	s_delay_alu instid0(VALU_DEP_1) | instskip(NEXT) | instid1(VALU_DEP_2)
	v_add_co_u32 v12, vcc_lo, v10, v8
	v_add_co_ci_u32_e32 v13, vcc_lo, v11, v9, vcc_lo
	s_delay_alu instid0(VALU_DEP_1) | instskip(NEXT) | instid1(VALU_DEP_1)
	v_lshrrev_b32_e32 v14, 31, v13
	v_add_co_u32 v12, vcc_lo, v12, v14
	v_add_co_ci_u32_e32 v13, vcc_lo, 0, v13, vcc_lo
	s_delay_alu instid0(VALU_DEP_1) | instskip(NEXT) | instid1(VALU_DEP_1)
	v_ashrrev_i64 v[12:13], 1, v[12:13]
	v_lshlrev_b64 v[14:15], 3, v[12:13]
	s_delay_alu instid0(VALU_DEP_1) | instskip(NEXT) | instid1(VALU_DEP_2)
	v_add_co_u32 v14, vcc_lo, s8, v14
	v_add_co_ci_u32_e32 v15, vcc_lo, s9, v15, vcc_lo
	global_load_b64 v[14:15], v[14:15], off
	s_waitcnt vmcnt(0)
	v_sub_co_u32 v14, vcc_lo, v14, s24
	v_subrev_co_ci_u32_e32 v15, vcc_lo, 0, v15, vcc_lo
	s_delay_alu instid0(VALU_DEP_1) | instskip(SKIP_2) | instid1(VALU_DEP_2)
	v_cmp_gt_i64_e32 vcc_lo, v[14:15], v[4:5]
	v_dual_cndmask_b32 v11, v11, v13 :: v_dual_cndmask_b32 v10, v10, v12
	v_dual_cndmask_b32 v9, v13, v9 :: v_dual_cndmask_b32 v8, v12, v8
	v_add_co_u32 v12, vcc_lo, v10, -1
	s_delay_alu instid0(VALU_DEP_3) | instskip(NEXT) | instid1(VALU_DEP_3)
	v_add_co_ci_u32_e32 v13, vcc_lo, -1, v11, vcc_lo
	v_cmp_ge_i64_e32 vcc_lo, v[8:9], v[10:11]
	s_delay_alu instid0(VALU_DEP_2) | instskip(NEXT) | instid1(VALU_DEP_1)
	v_cmp_eq_u64_e64 s0, v[8:9], v[12:13]
	s_or_b32 s0, vcc_lo, s0
	s_delay_alu instid0(SALU_CYCLE_1) | instskip(NEXT) | instid1(SALU_CYCLE_1)
	s_and_b32 s0, exec_lo, s0
	s_or_b32 s7, s0, s7
	s_delay_alu instid0(SALU_CYCLE_1)
	s_and_not1_b32 exec_lo, exec_lo, s7
	s_cbranch_execnz .LBB77_96
; %bb.97:
	s_set_inst_prefetch_distance 0x2
	s_or_b32 exec_lo, exec_lo, s7
.LBB77_98:
	s_delay_alu instid0(VALU_DEP_1) | instskip(SKIP_1) | instid1(VALU_DEP_1)
	v_lshlrev_b64 v[12:13], 3, v[10:11]
	s_mov_b32 s7, exec_lo
	v_add_co_u32 v12, vcc_lo, s8, v12
	s_delay_alu instid0(VALU_DEP_2)
	v_add_co_ci_u32_e32 v13, vcc_lo, s9, v13, vcc_lo
	global_load_b64 v[12:13], v[12:13], off
	global_load_b32 v14, v[6:7], off offset:2048
	s_waitcnt vmcnt(1)
	v_sub_co_u32 v12, vcc_lo, v12, s24
	v_subrev_co_ci_u32_e32 v13, vcc_lo, 0, v13, vcc_lo
	s_delay_alu instid0(VALU_DEP_1) | instskip(SKIP_2) | instid1(VALU_DEP_1)
	v_cmp_gt_i64_e32 vcc_lo, v[12:13], v[4:5]
	s_waitcnt vmcnt(0)
	v_subrev_nc_u32_e32 v12, s24, v14
	v_ashrrev_i32_e32 v13, 31, v12
	v_dual_cndmask_b32 v9, v11, v9 :: v_dual_cndmask_b32 v8, v10, v8
	s_delay_alu instid0(VALU_DEP_1)
	v_cmpx_ne_u64_e64 v[8:9], v[12:13]
	s_cbranch_execz .LBB77_106
; %bb.99:
	s_load_b64 s[34:35], s[10:11], 0x0
	s_waitcnt lgkmcnt(0)
	s_sub_u32 s34, s34, s24
	s_subb_u32 s35, s35, 0
	s_delay_alu instid0(SALU_CYCLE_1)
	v_cmp_gt_i64_e32 vcc_lo, s[34:35], v[4:5]
	s_and_b32 exec_lo, exec_lo, vcc_lo
	s_cbranch_execz .LBB77_106
; %bb.100:
	v_cmp_gt_i64_e32 vcc_lo, s[12:13], v[12:13]
	v_cmp_le_i64_e64 s0, s[18:19], v[12:13]
	v_lshlrev_b64 v[4:5], 1, v[8:9]
	s_delay_alu instid0(VALU_DEP_2) | instskip(NEXT) | instid1(SALU_CYCLE_1)
	s_or_b32 s0, vcc_lo, s0
	s_and_saveexec_b32 s25, s0
	s_delay_alu instid0(SALU_CYCLE_1)
	s_xor_b32 s0, exec_lo, s25
	s_cbranch_execz .LBB77_104
; %bb.101:
	s_delay_alu instid0(VALU_DEP_1)
	v_add_co_u32 v4, vcc_lo, s14, v4
	v_add_co_ci_u32_e32 v5, vcc_lo, s15, v5, vcc_lo
	v_lshlrev_b64 v[8:9], 2, v[12:13]
	s_mov_b32 s25, 0
	global_load_u16 v10, v[4:5], off
	v_add_co_u32 v4, vcc_lo, s20, v8
	v_add_co_ci_u32_e32 v5, vcc_lo, s21, v9, vcc_lo
	ds_load_b32 v8, v16 offset:2048
	global_load_b32 v9, v[4:5], off
	s_waitcnt vmcnt(1)
	v_lshlrev_b32_e32 v10, 16, v10
	s_waitcnt lgkmcnt(0)
	s_delay_alu instid0(VALU_DEP_1)
	v_mul_f32_e32 v10, v8, v10
.LBB77_102:                             ; =>This Inner Loop Header: Depth=1
	s_waitcnt vmcnt(0)
	s_delay_alu instid0(VALU_DEP_1)
	v_add_f32_e32 v8, v9, v10
	global_atomic_cmpswap_b32 v8, v[4:5], v[8:9], off glc
	s_waitcnt vmcnt(0)
	v_cmp_eq_u32_e32 vcc_lo, v8, v9
	v_mov_b32_e32 v9, v8
	s_or_b32 s25, vcc_lo, s25
	s_delay_alu instid0(SALU_CYCLE_1)
	s_and_not1_b32 exec_lo, exec_lo, s25
	s_cbranch_execnz .LBB77_102
; %bb.103:
	s_or_b32 exec_lo, exec_lo, s25
                                        ; implicit-def: $vgpr12_vgpr13
                                        ; implicit-def: $vgpr4_vgpr5
.LBB77_104:
	s_and_not1_saveexec_b32 s0, s0
	s_cbranch_execz .LBB77_106
; %bb.105:
	v_add_co_u32 v4, vcc_lo, s14, v4
	v_add_co_ci_u32_e32 v5, vcc_lo, s15, v5, vcc_lo
	v_subrev_nc_u32_e32 v8, s12, v12
	global_load_u16 v4, v[4:5], off
	ds_load_b32 v5, v16 offset:2048
	v_lshl_add_u32 v8, v8, 2, 0x1000
	s_waitcnt vmcnt(0)
	v_lshlrev_b32_e32 v4, 16, v4
	s_waitcnt lgkmcnt(0)
	s_delay_alu instid0(VALU_DEP_1)
	v_mul_f32_e32 v4, v5, v4
	ds_add_f32 v8, v4
.LBB77_106:
	s_or_b32 exec_lo, exec_lo, s7
	v_cmp_ne_u32_e32 vcc_lo, 1, v17
	v_dual_mov_b32 v4, s16 :: v_dual_mov_b32 v5, s17
	v_dual_mov_b32 v8, s30 :: v_dual_mov_b32 v9, s31
	s_cbranch_vccnz .LBB77_110
; %bb.107:
	v_dual_mov_b32 v4, s16 :: v_dual_mov_b32 v5, s17
	v_dual_mov_b32 v8, s30 :: v_dual_mov_b32 v9, s31
	s_mov_b32 s7, 0
	s_set_inst_prefetch_distance 0x1
	.p2align	6
.LBB77_108:                             ; =>This Inner Loop Header: Depth=1
	s_delay_alu instid0(VALU_DEP_1) | instskip(NEXT) | instid1(VALU_DEP_2)
	v_add_co_u32 v10, vcc_lo, v8, v4
	v_add_co_ci_u32_e32 v11, vcc_lo, v9, v5, vcc_lo
	s_delay_alu instid0(VALU_DEP_1) | instskip(NEXT) | instid1(VALU_DEP_1)
	v_lshrrev_b32_e32 v12, 31, v11
	v_add_co_u32 v10, vcc_lo, v10, v12
	v_add_co_ci_u32_e32 v11, vcc_lo, 0, v11, vcc_lo
	s_delay_alu instid0(VALU_DEP_1) | instskip(NEXT) | instid1(VALU_DEP_1)
	v_ashrrev_i64 v[10:11], 1, v[10:11]
	v_lshlrev_b64 v[12:13], 3, v[10:11]
	s_delay_alu instid0(VALU_DEP_1) | instskip(NEXT) | instid1(VALU_DEP_2)
	v_add_co_u32 v12, vcc_lo, s8, v12
	v_add_co_ci_u32_e32 v13, vcc_lo, s9, v13, vcc_lo
	global_load_b64 v[12:13], v[12:13], off
	s_waitcnt vmcnt(0)
	v_sub_co_u32 v12, vcc_lo, v12, s24
	v_subrev_co_ci_u32_e32 v13, vcc_lo, 0, v13, vcc_lo
	s_delay_alu instid0(VALU_DEP_1) | instskip(SKIP_2) | instid1(VALU_DEP_2)
	v_cmp_gt_i64_e32 vcc_lo, v[12:13], v[2:3]
	v_dual_cndmask_b32 v9, v9, v11 :: v_dual_cndmask_b32 v8, v8, v10
	v_dual_cndmask_b32 v5, v11, v5 :: v_dual_cndmask_b32 v4, v10, v4
	v_add_co_u32 v10, vcc_lo, v8, -1
	s_delay_alu instid0(VALU_DEP_3) | instskip(NEXT) | instid1(VALU_DEP_3)
	v_add_co_ci_u32_e32 v11, vcc_lo, -1, v9, vcc_lo
	v_cmp_ge_i64_e32 vcc_lo, v[4:5], v[8:9]
	s_delay_alu instid0(VALU_DEP_2) | instskip(NEXT) | instid1(VALU_DEP_1)
	v_cmp_eq_u64_e64 s0, v[4:5], v[10:11]
	s_or_b32 s0, vcc_lo, s0
	s_delay_alu instid0(SALU_CYCLE_1) | instskip(NEXT) | instid1(SALU_CYCLE_1)
	s_and_b32 s0, exec_lo, s0
	s_or_b32 s7, s0, s7
	s_delay_alu instid0(SALU_CYCLE_1)
	s_and_not1_b32 exec_lo, exec_lo, s7
	s_cbranch_execnz .LBB77_108
; %bb.109:
	s_set_inst_prefetch_distance 0x2
	s_or_b32 exec_lo, exec_lo, s7
.LBB77_110:
	s_delay_alu instid0(VALU_DEP_1) | instskip(SKIP_1) | instid1(VALU_DEP_1)
	v_lshlrev_b64 v[10:11], 3, v[8:9]
	s_mov_b32 s7, exec_lo
	v_add_co_u32 v10, vcc_lo, s8, v10
	s_delay_alu instid0(VALU_DEP_2)
	v_add_co_ci_u32_e32 v11, vcc_lo, s9, v11, vcc_lo
	global_load_b64 v[10:11], v[10:11], off
	global_load_b32 v12, v[6:7], off offset:3072
	s_waitcnt vmcnt(1)
	v_sub_co_u32 v6, vcc_lo, v10, s24
	v_subrev_co_ci_u32_e32 v7, vcc_lo, 0, v11, vcc_lo
	s_delay_alu instid0(VALU_DEP_1) | instskip(SKIP_2) | instid1(VALU_DEP_1)
	v_cmp_gt_i64_e32 vcc_lo, v[6:7], v[2:3]
	s_waitcnt vmcnt(0)
	v_subrev_nc_u32_e32 v6, s24, v12
	v_ashrrev_i32_e32 v7, 31, v6
	v_dual_cndmask_b32 v5, v9, v5 :: v_dual_cndmask_b32 v4, v8, v4
	s_delay_alu instid0(VALU_DEP_1)
	v_cmpx_ne_u64_e64 v[4:5], v[6:7]
	s_cbranch_execz .LBB77_118
; %bb.111:
	s_load_b64 s[10:11], s[10:11], 0x0
	s_waitcnt lgkmcnt(0)
	s_sub_u32 s10, s10, s24
	s_subb_u32 s11, s11, 0
	s_delay_alu instid0(SALU_CYCLE_1)
	v_cmp_gt_i64_e32 vcc_lo, s[10:11], v[2:3]
	s_and_b32 exec_lo, exec_lo, vcc_lo
	s_cbranch_execz .LBB77_118
; %bb.112:
	v_cmp_gt_i64_e32 vcc_lo, s[12:13], v[6:7]
	v_cmp_le_i64_e64 s0, s[18:19], v[6:7]
	v_lshlrev_b64 v[2:3], 1, v[4:5]
	s_delay_alu instid0(VALU_DEP_2) | instskip(NEXT) | instid1(SALU_CYCLE_1)
	s_or_b32 s0, vcc_lo, s0
	s_and_saveexec_b32 s10, s0
	s_delay_alu instid0(SALU_CYCLE_1)
	s_xor_b32 s0, exec_lo, s10
	s_cbranch_execz .LBB77_116
; %bb.113:
	s_delay_alu instid0(VALU_DEP_1)
	v_add_co_u32 v2, vcc_lo, s14, v2
	v_add_co_ci_u32_e32 v3, vcc_lo, s15, v3, vcc_lo
	v_lshlrev_b64 v[4:5], 2, v[6:7]
	s_mov_b32 s10, 0
	global_load_u16 v6, v[2:3], off
	v_add_co_u32 v2, vcc_lo, s20, v4
	v_add_co_ci_u32_e32 v3, vcc_lo, s21, v5, vcc_lo
	ds_load_b32 v4, v16 offset:3072
	global_load_b32 v5, v[2:3], off
	s_waitcnt vmcnt(1)
	v_lshlrev_b32_e32 v6, 16, v6
	s_waitcnt lgkmcnt(0)
	s_delay_alu instid0(VALU_DEP_1)
	v_mul_f32_e32 v6, v4, v6
.LBB77_114:                             ; =>This Inner Loop Header: Depth=1
	s_waitcnt vmcnt(0)
	s_delay_alu instid0(VALU_DEP_1)
	v_add_f32_e32 v4, v5, v6
	global_atomic_cmpswap_b32 v4, v[2:3], v[4:5], off glc
	s_waitcnt vmcnt(0)
	v_cmp_eq_u32_e32 vcc_lo, v4, v5
	v_mov_b32_e32 v5, v4
	s_or_b32 s10, vcc_lo, s10
	s_delay_alu instid0(SALU_CYCLE_1)
	s_and_not1_b32 exec_lo, exec_lo, s10
	s_cbranch_execnz .LBB77_114
; %bb.115:
	s_or_b32 exec_lo, exec_lo, s10
                                        ; implicit-def: $vgpr6_vgpr7
                                        ; implicit-def: $vgpr2_vgpr3
.LBB77_116:
	s_and_not1_saveexec_b32 s0, s0
	s_cbranch_execz .LBB77_118
; %bb.117:
	v_add_co_u32 v2, vcc_lo, s14, v2
	v_add_co_ci_u32_e32 v3, vcc_lo, s15, v3, vcc_lo
	v_subrev_nc_u32_e32 v4, s12, v6
	global_load_u16 v2, v[2:3], off
	ds_load_b32 v3, v16 offset:3072
	v_lshl_add_u32 v4, v4, 2, 0x1000
	s_waitcnt vmcnt(0)
	v_lshlrev_b32_e32 v2, 16, v2
	s_waitcnt lgkmcnt(0)
	s_delay_alu instid0(VALU_DEP_1)
	v_mul_f32_e32 v2, v3, v2
	ds_add_f32 v4, v2
.LBB77_118:
	s_or_b32 exec_lo, exec_lo, s7
.LBB77_119:
	s_delay_alu instid0(SALU_CYCLE_1)
	s_or_b32 exec_lo, exec_lo, s1
	v_cmp_lt_i64_e64 s0, s[18:19], s[2:3]
	s_waitcnt lgkmcnt(0)
	s_barrier
	buffer_gl0_inv
	s_and_b32 s0, s0, exec_lo
	s_cselect_b32 s1, s18, s2
	s_cselect_b32 s0, s19, s3
	s_sub_u32 s2, s1, s22
	s_subb_u32 s3, s0, s23
	s_mov_b32 s0, exec_lo
	v_cmpx_gt_i64_e64 s[2:3], v[0:1]
	s_cbranch_execz .LBB77_124
; %bb.120:
	s_lshl_b64 s[10:11], s[12:13], 2
	v_dual_mov_b32 v3, v1 :: v_dual_mov_b32 v2, v0
	s_add_u32 s7, s20, s10
	s_addc_u32 s10, s21, s11
	s_mov_b32 s11, 0
	.p2align	6
.LBB77_121:                             ; =>This Loop Header: Depth=1
                                        ;     Child Loop BB77_122 Depth 2
	s_delay_alu instid0(VALU_DEP_1)
	v_lshlrev_b64 v[4:5], 2, v[2:3]
	v_lshl_add_u32 v6, v2, 2, 0x1000
	s_mov_b32 s12, 0
	ds_load_b32 v8, v6
	v_add_co_u32 v4, vcc_lo, s7, v4
	v_add_co_ci_u32_e32 v5, vcc_lo, s10, v5, vcc_lo
	global_load_b32 v7, v[4:5], off
.LBB77_122:                             ;   Parent Loop BB77_121 Depth=1
                                        ; =>  This Inner Loop Header: Depth=2
	s_waitcnt vmcnt(0) lgkmcnt(0)
	v_add_f32_e32 v6, v7, v8
	global_atomic_cmpswap_b32 v6, v[4:5], v[6:7], off glc
	s_waitcnt vmcnt(0)
	v_cmp_eq_u32_e32 vcc_lo, v6, v7
	v_mov_b32_e32 v7, v6
	s_or_b32 s12, vcc_lo, s12
	s_delay_alu instid0(SALU_CYCLE_1)
	s_and_not1_b32 exec_lo, exec_lo, s12
	s_cbranch_execnz .LBB77_122
; %bb.123:                              ;   in Loop: Header=BB77_121 Depth=1
	s_or_b32 exec_lo, exec_lo, s12
	v_add_co_u32 v2, vcc_lo, 0x100, v2
	v_add_co_ci_u32_e32 v3, vcc_lo, 0, v3, vcc_lo
	s_delay_alu instid0(VALU_DEP_1) | instskip(SKIP_1) | instid1(SALU_CYCLE_1)
	v_cmp_le_i64_e32 vcc_lo, s[2:3], v[2:3]
	s_or_b32 s11, vcc_lo, s11
	s_and_not1_b32 exec_lo, exec_lo, s11
	s_cbranch_execnz .LBB77_121
.LBB77_124:
	s_or_b32 exec_lo, exec_lo, s0
	s_add_i32 s0, s28, -1
	v_add_co_u32 v6, s10, s16, v0
	s_ashr_i32 s3, s0, 1
	v_add_co_ci_u32_e64 v7, null, s17, 0, s10
	s_or_b32 s0, s3, s0
	s_delay_alu instid0(SALU_CYCLE_1) | instskip(SKIP_4) | instid1(SALU_CYCLE_1)
	s_ashr_i32 s3, s0, 2
	s_barrier
	s_or_b32 s0, s3, s0
	buffer_gl0_inv
	s_ashr_i32 s3, s0, 4
	s_or_b32 s0, s3, s0
	s_delay_alu instid0(SALU_CYCLE_1) | instskip(NEXT) | instid1(SALU_CYCLE_1)
	s_ashr_i32 s3, s0, 8
	s_or_b32 s0, s3, s0
	s_delay_alu instid0(SALU_CYCLE_1) | instskip(NEXT) | instid1(SALU_CYCLE_1)
	s_ashr_i32 s3, s0, 16
	s_or_b32 s3, s3, s0
	s_mov_b32 s0, -1
	s_add_i32 s3, s3, 1
	s_delay_alu instid0(SALU_CYCLE_1) | instskip(NEXT) | instid1(SALU_CYCLE_1)
	s_ashr_i32 s7, s3, 1
	s_cmp_gt_i32 s7, 1
	s_cbranch_scc1 .LBB77_135
; %bb.125:
	s_mov_b32 s0, exec_lo
	v_cmpx_gt_i64_e64 s[18:19], v[6:7]
	s_cbranch_execz .LBB77_134
; %bb.126:
	s_sub_i32 s1, s1, s18
	v_dual_mov_b32 v9, v7 :: v_dual_mov_b32 v8, v6
	s_lshl_b32 s11, s4, 2
	s_lshl_b32 s1, s1, 2
	s_mov_b32 s10, 0
	s_addk_i32 s1, 0x1000
	s_sub_i32 s11, 0, s11
.LBB77_127:                             ; =>This Loop Header: Depth=1
                                        ;     Child Loop BB77_129 Depth 2
                                        ;     Child Loop BB77_132 Depth 2
	v_lshlrev_b64 v[2:3], 3, v[8:9]
	v_mov_b32_e32 v12, 0
	s_mov_b32 s12, exec_lo
	s_delay_alu instid0(VALU_DEP_2) | instskip(NEXT) | instid1(VALU_DEP_3)
	v_add_co_u32 v2, vcc_lo, s8, v2
	v_add_co_ci_u32_e32 v3, vcc_lo, s9, v3, vcc_lo
	global_load_b128 v[2:5], v[2:3], off
	s_waitcnt vmcnt(0)
	v_cmpx_lt_i64_e64 v[2:3], v[4:5]
	s_cbranch_execz .LBB77_131
; %bb.128:                              ;   in Loop: Header=BB77_127 Depth=1
	v_sub_co_u32 v4, vcc_lo, v4, s4
	v_subrev_co_ci_u32_e32 v5, vcc_lo, s5, v5, vcc_lo
	v_sub_co_u32 v10, vcc_lo, v2, s4
	v_subrev_co_ci_u32_e32 v11, vcc_lo, s5, v3, vcc_lo
	v_lshl_add_u32 v2, v2, 2, s11
	v_mov_b32_e32 v12, 0
	s_mov_b32 s13, 0
.LBB77_129:                             ;   Parent Loop BB77_127 Depth=1
                                        ; =>  This Inner Loop Header: Depth=2
	ds_load_b32 v3, v2
	v_add_co_u32 v10, vcc_lo, v10, 1
	v_add_co_ci_u32_e32 v11, vcc_lo, 0, v11, vcc_lo
	v_add_nc_u32_e32 v2, 4, v2
	s_delay_alu instid0(VALU_DEP_2)
	v_cmp_ge_i64_e32 vcc_lo, v[10:11], v[4:5]
	s_or_b32 s13, vcc_lo, s13
	s_waitcnt lgkmcnt(0)
	v_add_f32_e32 v12, v12, v3
	s_and_not1_b32 exec_lo, exec_lo, s13
	s_cbranch_execnz .LBB77_129
; %bb.130:                              ;   in Loop: Header=BB77_127 Depth=1
	s_or_b32 exec_lo, exec_lo, s13
.LBB77_131:                             ;   in Loop: Header=BB77_127 Depth=1
	s_delay_alu instid0(SALU_CYCLE_1)
	s_or_b32 exec_lo, exec_lo, s12
	v_lshlrev_b64 v[2:3], 2, v[8:9]
	v_lshl_add_u32 v4, v8, 2, s1
	s_mov_b32 s12, 0
	ds_load_b32 v4, v4
	v_add_co_u32 v2, vcc_lo, s20, v2
	v_add_co_ci_u32_e32 v3, vcc_lo, s21, v3, vcc_lo
	global_load_b32 v5, v[2:3], off
	s_waitcnt lgkmcnt(0)
	v_add_f32_e32 v10, v12, v4
.LBB77_132:                             ;   Parent Loop BB77_127 Depth=1
                                        ; =>  This Inner Loop Header: Depth=2
	s_waitcnt vmcnt(0)
	s_delay_alu instid0(VALU_DEP_1)
	v_add_f32_e32 v4, v5, v10
	global_atomic_cmpswap_b32 v4, v[2:3], v[4:5], off glc
	s_waitcnt vmcnt(0)
	v_cmp_eq_u32_e32 vcc_lo, v4, v5
	v_mov_b32_e32 v5, v4
	s_or_b32 s12, vcc_lo, s12
	s_delay_alu instid0(SALU_CYCLE_1)
	s_and_not1_b32 exec_lo, exec_lo, s12
	s_cbranch_execnz .LBB77_132
; %bb.133:                              ;   in Loop: Header=BB77_127 Depth=1
	s_or_b32 exec_lo, exec_lo, s12
	v_add_co_u32 v8, vcc_lo, v8, s6
	v_add_co_ci_u32_e32 v9, vcc_lo, 0, v9, vcc_lo
	s_delay_alu instid0(VALU_DEP_1) | instskip(SKIP_1) | instid1(SALU_CYCLE_1)
	v_cmp_le_i64_e32 vcc_lo, s[18:19], v[8:9]
	s_or_b32 s10, vcc_lo, s10
	s_and_not1_b32 exec_lo, exec_lo, s10
	s_cbranch_execnz .LBB77_127
.LBB77_134:
	s_or_b32 exec_lo, exec_lo, s0
	s_mov_b32 s0, 0
.LBB77_135:
	s_delay_alu instid0(SALU_CYCLE_1)
	s_and_not1_b32 vcc_lo, exec_lo, s0
	s_cbranch_vccnz .LBB77_164
; %bb.136:
	v_cvt_f32_u32_e32 v13, s7
	s_sub_i32 s1, 0, s7
	v_mov_b32_e32 v11, 0
	s_delay_alu instid0(VALU_DEP_2) | instskip(SKIP_2) | instid1(VALU_DEP_1)
	v_rcp_iflag_f32_e32 v2, v13
	s_waitcnt_depctr 0xfff
	v_mul_f32_e32 v2, 0x4f7ffffe, v2
	v_cvt_u32_f32_e32 v2, v2
	s_delay_alu instid0(VALU_DEP_1) | instskip(NEXT) | instid1(VALU_DEP_1)
	v_mul_lo_u32 v3, s1, v2
	v_mul_hi_u32 v3, v2, v3
	s_delay_alu instid0(VALU_DEP_1) | instskip(NEXT) | instid1(VALU_DEP_1)
	v_add_nc_u32_e32 v2, v2, v3
	v_mul_hi_u32 v2, v0, v2
	s_delay_alu instid0(VALU_DEP_1) | instskip(SKIP_1) | instid1(VALU_DEP_2)
	v_mul_lo_u32 v3, v2, s7
	v_add_nc_u32_e32 v4, 1, v2
	v_sub_nc_u32_e32 v3, v0, v3
	s_delay_alu instid0(VALU_DEP_1) | instskip(SKIP_1) | instid1(VALU_DEP_2)
	v_subrev_nc_u32_e32 v5, s7, v3
	v_cmp_le_u32_e32 vcc_lo, s7, v3
	v_dual_cndmask_b32 v2, v2, v4 :: v_dual_cndmask_b32 v3, v3, v5
	s_delay_alu instid0(VALU_DEP_1) | instskip(NEXT) | instid1(VALU_DEP_2)
	v_add_nc_u32_e32 v4, 1, v2
	v_cmp_le_u32_e32 vcc_lo, s7, v3
	s_delay_alu instid0(VALU_DEP_2) | instskip(NEXT) | instid1(VALU_DEP_1)
	v_cndmask_b32_e32 v10, v2, v4, vcc_lo
	v_lshlrev_b64 v[2:3], 3, v[10:11]
	s_delay_alu instid0(VALU_DEP_1) | instskip(NEXT) | instid1(VALU_DEP_2)
	v_add_co_u32 v2, vcc_lo, s26, v2
	v_add_co_ci_u32_e32 v3, vcc_lo, s27, v3, vcc_lo
	global_load_b128 v[2:5], v[2:3], off
	s_waitcnt vmcnt(0)
	v_sub_co_u32 v8, vcc_lo, v2, s4
	v_subrev_co_ci_u32_e32 v9, vcc_lo, s5, v3, vcc_lo
	v_sub_co_u32 v14, vcc_lo, v4, s4
	v_subrev_co_ci_u32_e32 v15, vcc_lo, s5, v5, vcc_lo
	v_mov_b32_e32 v4, v11
	s_delay_alu instid0(VALU_DEP_3) | instskip(NEXT) | instid1(VALU_DEP_3)
	v_sub_co_u32 v12, vcc_lo, v14, v8
	v_sub_co_ci_u32_e32 v5, vcc_lo, v15, v9, vcc_lo
	s_delay_alu instid0(VALU_DEP_1) | instskip(SKIP_1) | instid1(SALU_CYCLE_1)
	v_cmp_ne_u64_e32 vcc_lo, 0, v[4:5]
                                        ; implicit-def: $vgpr3_vgpr4
	s_and_saveexec_b32 s0, vcc_lo
	s_xor_b32 s5, exec_lo, s0
	s_cbranch_execz .LBB77_138
; %bb.137:
	v_cvt_f32_ubyte0_e32 v3, 0
	s_sub_u32 s0, 0, s7
	s_subb_u32 s6, 0, 0
	s_delay_alu instid0(VALU_DEP_1) | instskip(NEXT) | instid1(VALU_DEP_1)
	v_fmamk_f32 v3, v3, 0x4f800000, v13
	v_rcp_f32_e32 v3, v3
	s_waitcnt_depctr 0xfff
	v_mul_f32_e32 v3, 0x5f7ffffc, v3
	s_delay_alu instid0(VALU_DEP_1) | instskip(NEXT) | instid1(VALU_DEP_1)
	v_mul_f32_e32 v4, 0x2f800000, v3
	v_trunc_f32_e32 v4, v4
	s_delay_alu instid0(VALU_DEP_1) | instskip(SKIP_1) | instid1(VALU_DEP_2)
	v_fmamk_f32 v3, v4, 0xcf800000, v3
	v_cvt_u32_f32_e32 v4, v4
	v_cvt_u32_f32_e32 v3, v3
	s_delay_alu instid0(VALU_DEP_2) | instskip(NEXT) | instid1(VALU_DEP_2)
	v_mul_lo_u32 v13, s0, v4
	v_mul_hi_u32 v17, s0, v3
	v_mul_lo_u32 v18, s6, v3
	s_delay_alu instid0(VALU_DEP_2) | instskip(SKIP_1) | instid1(VALU_DEP_2)
	v_add_nc_u32_e32 v13, v17, v13
	v_mul_lo_u32 v17, s0, v3
	v_add_nc_u32_e32 v13, v13, v18
	s_delay_alu instid0(VALU_DEP_2) | instskip(NEXT) | instid1(VALU_DEP_2)
	v_mul_hi_u32 v18, v3, v17
	v_mul_lo_u32 v19, v3, v13
	v_mul_hi_u32 v20, v3, v13
	v_mul_hi_u32 v21, v4, v17
	v_mul_lo_u32 v17, v4, v17
	v_mul_hi_u32 v22, v4, v13
	v_mul_lo_u32 v13, v4, v13
	v_add_co_u32 v18, vcc_lo, v18, v19
	v_add_co_ci_u32_e32 v19, vcc_lo, 0, v20, vcc_lo
	s_delay_alu instid0(VALU_DEP_2) | instskip(NEXT) | instid1(VALU_DEP_2)
	v_add_co_u32 v17, vcc_lo, v18, v17
	v_add_co_ci_u32_e32 v17, vcc_lo, v19, v21, vcc_lo
	v_add_co_ci_u32_e32 v18, vcc_lo, 0, v22, vcc_lo
	v_ashrrev_i32_e32 v21, 31, v5
	s_delay_alu instid0(VALU_DEP_3) | instskip(NEXT) | instid1(VALU_DEP_3)
	v_add_co_u32 v13, vcc_lo, v17, v13
	v_add_co_ci_u32_e32 v17, vcc_lo, 0, v18, vcc_lo
	s_delay_alu instid0(VALU_DEP_2) | instskip(NEXT) | instid1(VALU_DEP_2)
	v_add_co_u32 v3, vcc_lo, v3, v13
	v_add_co_ci_u32_e32 v4, vcc_lo, v4, v17, vcc_lo
	s_delay_alu instid0(VALU_DEP_2) | instskip(SKIP_1) | instid1(VALU_DEP_3)
	v_mul_hi_u32 v13, s0, v3
	v_mul_lo_u32 v18, s6, v3
	v_mul_lo_u32 v17, s0, v4
	s_delay_alu instid0(VALU_DEP_1) | instskip(SKIP_1) | instid1(VALU_DEP_2)
	v_add_nc_u32_e32 v13, v13, v17
	v_mul_lo_u32 v17, s0, v3
	v_add_nc_u32_e32 v13, v13, v18
	s_delay_alu instid0(VALU_DEP_2) | instskip(NEXT) | instid1(VALU_DEP_2)
	v_mul_hi_u32 v18, v3, v17
	v_mul_lo_u32 v19, v3, v13
	v_mul_hi_u32 v20, v3, v13
	v_mul_hi_u32 v22, v4, v17
	v_mul_lo_u32 v17, v4, v17
	v_mul_hi_u32 v23, v4, v13
	v_mul_lo_u32 v13, v4, v13
	v_add_co_u32 v18, vcc_lo, v18, v19
	v_add_co_ci_u32_e32 v19, vcc_lo, 0, v20, vcc_lo
	s_delay_alu instid0(VALU_DEP_2) | instskip(NEXT) | instid1(VALU_DEP_2)
	v_add_co_u32 v17, vcc_lo, v18, v17
	v_add_co_ci_u32_e32 v17, vcc_lo, v19, v22, vcc_lo
	v_add_co_ci_u32_e32 v18, vcc_lo, 0, v23, vcc_lo
	v_add_co_u32 v12, vcc_lo, v12, v21
	v_add_co_ci_u32_e32 v5, vcc_lo, v5, v21, vcc_lo
	s_delay_alu instid0(VALU_DEP_4) | instskip(NEXT) | instid1(VALU_DEP_4)
	v_add_co_u32 v13, vcc_lo, v17, v13
	v_add_co_ci_u32_e32 v17, vcc_lo, 0, v18, vcc_lo
	s_delay_alu instid0(VALU_DEP_4) | instskip(NEXT) | instid1(VALU_DEP_3)
	v_xor_b32_e32 v19, v12, v21
	v_add_co_u32 v18, vcc_lo, v3, v13
	s_delay_alu instid0(VALU_DEP_3) | instskip(SKIP_1) | instid1(VALU_DEP_3)
	v_add_co_ci_u32_e32 v20, vcc_lo, v4, v17, vcc_lo
	v_xor_b32_e32 v5, v5, v21
	v_mul_hi_u32 v22, v19, v18
	s_delay_alu instid0(VALU_DEP_3) | instskip(NEXT) | instid1(VALU_DEP_3)
	v_mad_u64_u32 v[3:4], null, v19, v20, 0
	v_mad_u64_u32 v[12:13], null, v5, v18, 0
	;; [unrolled: 1-line block ×3, first 2 shown]
	s_delay_alu instid0(VALU_DEP_3) | instskip(NEXT) | instid1(VALU_DEP_4)
	v_add_co_u32 v3, vcc_lo, v22, v3
	v_add_co_ci_u32_e32 v4, vcc_lo, 0, v4, vcc_lo
	s_delay_alu instid0(VALU_DEP_2) | instskip(NEXT) | instid1(VALU_DEP_2)
	v_add_co_u32 v3, vcc_lo, v3, v12
	v_add_co_ci_u32_e32 v3, vcc_lo, v4, v13, vcc_lo
	v_add_co_ci_u32_e32 v4, vcc_lo, 0, v18, vcc_lo
	s_delay_alu instid0(VALU_DEP_2) | instskip(NEXT) | instid1(VALU_DEP_2)
	v_add_co_u32 v17, vcc_lo, v3, v17
	v_add_co_ci_u32_e32 v18, vcc_lo, 0, v4, vcc_lo
	s_delay_alu instid0(VALU_DEP_2) | instskip(NEXT) | instid1(VALU_DEP_1)
	v_mad_u64_u32 v[3:4], null, s7, v17, 0
	v_mad_u64_u32 v[12:13], null, s7, v18, v[4:5]
	s_delay_alu instid0(VALU_DEP_2) | instskip(NEXT) | instid1(VALU_DEP_2)
	v_sub_co_u32 v3, vcc_lo, v19, v3
	v_sub_co_ci_u32_e32 v4, vcc_lo, v5, v12, vcc_lo
	s_delay_alu instid0(VALU_DEP_2) | instskip(NEXT) | instid1(VALU_DEP_2)
	v_sub_co_u32 v5, vcc_lo, v3, s7
	v_subrev_co_ci_u32_e32 v12, vcc_lo, 0, v4, vcc_lo
	s_delay_alu instid0(VALU_DEP_2)
	v_cmp_le_u32_e32 vcc_lo, s7, v5
	v_cmp_eq_u32_e64 s0, 0, v4
	v_cndmask_b32_e64 v5, 0, -1, vcc_lo
	v_add_co_u32 v13, vcc_lo, v17, 2
	v_add_co_ci_u32_e32 v19, vcc_lo, 0, v18, vcc_lo
	v_cmp_le_u32_e32 vcc_lo, s7, v3
	v_cndmask_b32_e64 v3, 0, -1, vcc_lo
	v_cmp_eq_u32_e32 vcc_lo, 0, v12
	s_delay_alu instid0(VALU_DEP_2) | instskip(SKIP_3) | instid1(VALU_DEP_3)
	v_cndmask_b32_e64 v3, -1, v3, s0
	v_cndmask_b32_e32 v5, -1, v5, vcc_lo
	v_add_co_u32 v12, vcc_lo, v17, 1
	v_add_co_ci_u32_e32 v20, vcc_lo, 0, v18, vcc_lo
	v_cmp_ne_u32_e32 vcc_lo, 0, v5
	s_delay_alu instid0(VALU_DEP_2) | instskip(NEXT) | instid1(VALU_DEP_4)
	v_cndmask_b32_e32 v4, v20, v19, vcc_lo
	v_cndmask_b32_e32 v5, v12, v13, vcc_lo
	v_cmp_ne_u32_e32 vcc_lo, 0, v3
                                        ; implicit-def: $vgpr12
	s_delay_alu instid0(VALU_DEP_2) | instskip(NEXT) | instid1(VALU_DEP_1)
	v_dual_cndmask_b32 v3, v18, v4 :: v_dual_cndmask_b32 v4, v17, v5
	v_xor_b32_e32 v5, v3, v21
	s_delay_alu instid0(VALU_DEP_2) | instskip(NEXT) | instid1(VALU_DEP_1)
	v_xor_b32_e32 v4, v4, v21
	v_sub_co_u32 v3, vcc_lo, v4, v21
	s_delay_alu instid0(VALU_DEP_3)
	v_sub_co_ci_u32_e32 v4, vcc_lo, v5, v21, vcc_lo
.LBB77_138:
	s_and_not1_saveexec_b32 s0, s5
	s_cbranch_execz .LBB77_140
; %bb.139:
	v_cvt_f32_u32_e32 v3, s7
	s_delay_alu instid0(VALU_DEP_1) | instskip(SKIP_2) | instid1(VALU_DEP_1)
	v_rcp_iflag_f32_e32 v3, v3
	s_waitcnt_depctr 0xfff
	v_mul_f32_e32 v3, 0x4f7ffffe, v3
	v_cvt_u32_f32_e32 v3, v3
	s_delay_alu instid0(VALU_DEP_1) | instskip(NEXT) | instid1(VALU_DEP_1)
	v_mul_lo_u32 v4, s1, v3
	v_mul_hi_u32 v4, v3, v4
	s_delay_alu instid0(VALU_DEP_1) | instskip(NEXT) | instid1(VALU_DEP_1)
	v_add_nc_u32_e32 v3, v3, v4
	v_mul_hi_u32 v3, v12, v3
	s_delay_alu instid0(VALU_DEP_1) | instskip(SKIP_1) | instid1(VALU_DEP_2)
	v_mul_lo_u32 v4, v3, s7
	v_add_nc_u32_e32 v5, 1, v3
	v_sub_nc_u32_e32 v4, v12, v4
	s_delay_alu instid0(VALU_DEP_1) | instskip(SKIP_1) | instid1(VALU_DEP_2)
	v_subrev_nc_u32_e32 v12, s7, v4
	v_cmp_le_u32_e32 vcc_lo, s7, v4
	v_dual_cndmask_b32 v4, v4, v12 :: v_dual_cndmask_b32 v3, v3, v5
	s_delay_alu instid0(VALU_DEP_1) | instskip(NEXT) | instid1(VALU_DEP_2)
	v_cmp_le_u32_e32 vcc_lo, s7, v4
	v_dual_mov_b32 v4, 0 :: v_dual_add_nc_u32 v5, 1, v3
	s_delay_alu instid0(VALU_DEP_1)
	v_cndmask_b32_e32 v3, v3, v5, vcc_lo
.LBB77_140:
	s_or_b32 exec_lo, exec_lo, s0
	v_mov_b32_e32 v5, 0
	s_mov_b32 s5, exec_lo
	v_cmpx_gt_i64_e64 s[22:23], v[10:11]
	s_cbranch_execz .LBB77_154
; %bb.141:
	s_add_i32 s0, s7, -1
	s_mov_b32 s6, exec_lo
	v_dual_mov_b32 v5, 0 :: v_dual_and_b32 v10, s0, v0
	v_cmpx_lt_i64_e32 0, v[3:4]
	s_cbranch_execz .LBB77_151
; %bb.142:
	v_mov_b32_e32 v11, 0
	v_dual_mov_b32 v12, 0 :: v_dual_mov_b32 v5, 0
	s_mov_b32 s8, exec_lo
	v_cmpx_lt_u64_e32 3, v[3:4]
	s_cbranch_execz .LBB77_146
; %bb.143:
	v_lshlrev_b32_e32 v5, 2, v2
	s_lshl_b32 s0, s7, 2
	s_lshl_b32 s1, s4, 2
	v_and_b32_e32 v12, 0x7fffffff, v4
	v_and_b32_e32 v11, -4, v3
	v_lshl_add_u32 v13, v10, 2, v5
	v_mov_b32_e32 v5, 0
	s_sub_i32 s9, s0, s1
	s_lshl_b32 s0, s7, 3
	s_mul_i32 s12, s7, 12
	s_lshl_b32 s10, s7, 4
	s_sub_i32 s11, s0, s1
	s_sub_i32 s12, s12, s1
	s_mov_b32 s13, 0
	s_sub_i32 s14, 0, s1
	s_mov_b64 s[0:1], 0
	.p2align	6
.LBB77_144:                             ; =>This Inner Loop Header: Depth=1
	v_add_nc_u32_e32 v17, s14, v13
	v_add_nc_u32_e32 v18, s9, v13
	;; [unrolled: 1-line block ×3, first 2 shown]
	s_add_u32 s0, s0, 4
	s_addc_u32 s1, s1, 0
	ds_load_b32 v17, v17
	ds_load_b32 v18, v18
	v_cmp_eq_u64_e32 vcc_lo, s[0:1], v[11:12]
	s_or_b32 s13, vcc_lo, s13
	s_waitcnt lgkmcnt(1)
	v_add_f32_e32 v5, v5, v17
	v_add_nc_u32_e32 v20, s12, v13
	v_add_nc_u32_e32 v13, s10, v13
	s_waitcnt lgkmcnt(0)
	s_delay_alu instid0(VALU_DEP_3)
	v_add_f32_e32 v5, v5, v18
	ds_load_b32 v19, v19
	ds_load_b32 v20, v20
	s_waitcnt lgkmcnt(1)
	v_add_f32_e32 v5, v5, v19
	s_waitcnt lgkmcnt(0)
	s_delay_alu instid0(VALU_DEP_1)
	v_add_f32_e32 v5, v5, v20
	s_and_not1_b32 exec_lo, exec_lo, s13
	s_cbranch_execnz .LBB77_144
; %bb.145:
	s_or_b32 exec_lo, exec_lo, s13
.LBB77_146:
	s_delay_alu instid0(SALU_CYCLE_1) | instskip(SKIP_2) | instid1(VALU_DEP_1)
	s_or_b32 exec_lo, exec_lo, s8
	v_dual_mov_b32 v13, 0 :: v_dual_and_b32 v12, 3, v3
	s_mov_b32 s0, exec_lo
	v_cmpx_ne_u64_e32 0, v[12:13]
	s_cbranch_execz .LBB77_150
; %bb.147:
	v_mul_lo_u32 v11, s7, v11
	s_mov_b32 s1, 0
	s_delay_alu instid0(VALU_DEP_1) | instskip(NEXT) | instid1(VALU_DEP_1)
	v_add3_u32 v2, v10, v11, v2
	v_subrev_nc_u32_e32 v2, s4, v2
	s_lshl_b32 s4, s7, 2
	s_delay_alu instid0(VALU_DEP_1)
	v_lshlrev_b32_e32 v2, 2, v2
.LBB77_148:                             ; =>This Inner Loop Header: Depth=1
	ds_load_b32 v11, v2
	v_add_co_u32 v12, vcc_lo, v12, -1
	v_add_co_ci_u32_e32 v13, vcc_lo, -1, v13, vcc_lo
	v_add_nc_u32_e32 v2, s4, v2
	s_delay_alu instid0(VALU_DEP_2)
	v_cmp_eq_u64_e32 vcc_lo, 0, v[12:13]
	s_or_b32 s1, vcc_lo, s1
	s_waitcnt lgkmcnt(0)
	v_add_f32_e32 v5, v5, v11
	s_and_not1_b32 exec_lo, exec_lo, s1
	s_cbranch_execnz .LBB77_148
; %bb.149:
	s_or_b32 exec_lo, exec_lo, s1
.LBB77_150:
	s_delay_alu instid0(SALU_CYCLE_1)
	s_or_b32 exec_lo, exec_lo, s0
.LBB77_151:
	s_delay_alu instid0(SALU_CYCLE_1) | instskip(SKIP_3) | instid1(VALU_DEP_2)
	s_or_b32 exec_lo, exec_lo, s6
	v_mad_u64_u32 v[12:13], null, v3, s7, v[8:9]
	v_mov_b32_e32 v11, 0
	s_mov_b32 s0, exec_lo
	v_mov_b32_e32 v2, v13
	s_delay_alu instid0(VALU_DEP_1) | instskip(NEXT) | instid1(VALU_DEP_4)
	v_mad_u64_u32 v[8:9], null, v4, s7, v[2:3]
	v_sub_co_u32 v2, vcc_lo, v14, v12
	s_delay_alu instid0(VALU_DEP_2) | instskip(NEXT) | instid1(VALU_DEP_1)
	v_mov_b32_e32 v3, v8
	v_sub_co_ci_u32_e32 v3, vcc_lo, v15, v3, vcc_lo
	s_delay_alu instid0(VALU_DEP_1)
	v_cmpx_gt_i64_e64 v[2:3], v[10:11]
	s_cbranch_execz .LBB77_153
; %bb.152:
	v_add_lshl_u32 v2, v10, v12, 2
	ds_load_b32 v2, v2
	s_waitcnt lgkmcnt(0)
	v_add_f32_e32 v5, v5, v2
.LBB77_153:
	s_or_b32 exec_lo, exec_lo, s0
.LBB77_154:
	s_delay_alu instid0(SALU_CYCLE_1)
	s_or_b32 exec_lo, exec_lo, s5
	s_barrier
	buffer_gl0_inv
	ds_store_b32 v16, v5
	s_waitcnt lgkmcnt(0)
	s_barrier
	buffer_gl0_inv
	s_mov_b32 s0, exec_lo
	v_cmpx_gt_i64_e64 s[22:23], v[0:1]
	s_cbranch_execz .LBB77_164
; %bb.155:
	v_mul_lo_u32 v1, s7, v0
	s_cmp_lt_u32 s7, 8
	s_cbranch_scc1 .LBB77_158
; %bb.156:
	s_delay_alu instid0(VALU_DEP_1)
	v_dual_mov_b32 v3, 0 :: v_dual_lshlrev_b32 v2, 2, v1
	s_and_b32 s0, s7, 0x7ffffff8
	s_mov_b32 s1, 0
	.p2align	6
.LBB77_157:                             ; =>This Inner Loop Header: Depth=1
	ds_load_2addr_b32 v[4:5], v2 offset1:1
	ds_load_2addr_b32 v[8:9], v2 offset0:2 offset1:3
	ds_load_2addr_b32 v[10:11], v2 offset0:4 offset1:5
	;; [unrolled: 1-line block ×3, first 2 shown]
	s_add_i32 s1, s1, 8
	v_add_nc_u32_e32 v2, 32, v2
	s_cmp_eq_u32 s0, s1
	s_waitcnt lgkmcnt(3)
	v_add_f32_e32 v3, v3, v4
	s_delay_alu instid0(VALU_DEP_1) | instskip(SKIP_1) | instid1(VALU_DEP_1)
	v_add_f32_e32 v3, v3, v5
	s_waitcnt lgkmcnt(2)
	v_add_f32_e32 v3, v3, v8
	s_delay_alu instid0(VALU_DEP_1) | instskip(SKIP_1) | instid1(VALU_DEP_1)
	v_add_f32_e32 v3, v3, v9
	;; [unrolled: 4-line block ×3, first 2 shown]
	s_waitcnt lgkmcnt(0)
	v_add_f32_e32 v3, v3, v12
	s_delay_alu instid0(VALU_DEP_1)
	v_add_f32_e32 v3, v3, v13
	s_cbranch_scc0 .LBB77_157
	s_branch .LBB77_159
.LBB77_158:
	v_mov_b32_e32 v3, 0
	s_mov_b32 s0, 0
.LBB77_159:
	s_bfe_u32 s1, s3, 0x30001
	s_delay_alu instid0(SALU_CYCLE_1)
	s_cmp_eq_u32 s1, 0
	s_cbranch_scc1 .LBB77_162
; %bb.160:
	v_add_lshl_u32 v1, s0, v1, 2
.LBB77_161:                             ; =>This Inner Loop Header: Depth=1
	ds_load_b32 v2, v1
	v_add_nc_u32_e32 v1, 4, v1
	s_add_i32 s1, s1, -1
	s_delay_alu instid0(SALU_CYCLE_1)
	s_cmp_lg_u32 s1, 0
	s_waitcnt lgkmcnt(0)
	v_add_f32_e32 v3, v3, v2
	s_cbranch_scc1 .LBB77_161
.LBB77_162:
	v_lshlrev_b64 v[1:2], 2, v[6:7]
	v_lshlrev_b32_e32 v0, 2, v0
	s_lshl_b32 s0, s2, 2
	s_delay_alu instid0(VALU_DEP_1) | instid1(SALU_CYCLE_1)
	v_add3_u32 v0, 0x1000, s0, v0
	s_delay_alu instid0(VALU_DEP_3) | instskip(NEXT) | instid1(VALU_DEP_4)
	v_add_co_u32 v1, vcc_lo, s20, v1
	v_add_co_ci_u32_e32 v2, vcc_lo, s21, v2, vcc_lo
	ds_load_b32 v0, v0
	s_mov_b32 s0, 0
	global_load_b32 v4, v[1:2], off
	s_waitcnt lgkmcnt(0)
	v_add_f32_e32 v0, v3, v0
.LBB77_163:                             ; =>This Inner Loop Header: Depth=1
	s_waitcnt vmcnt(0)
	s_delay_alu instid0(VALU_DEP_1)
	v_add_f32_e32 v3, v4, v0
	global_atomic_cmpswap_b32 v3, v[1:2], v[3:4], off glc
	s_waitcnt vmcnt(0)
	v_cmp_eq_u32_e32 vcc_lo, v3, v4
	v_mov_b32_e32 v4, v3
	s_or_b32 s0, vcc_lo, s0
	s_delay_alu instid0(SALU_CYCLE_1)
	s_and_not1_b32 exec_lo, exec_lo, s0
	s_cbranch_execnz .LBB77_163
.LBB77_164:
	s_endpgm
	.section	.rodata,"a",@progbits
	.p2align	6, 0x0
	.amdhsa_kernel _ZN9rocsparseL27csrmvn_symm_adaptive_kernelIli18rocsparse_bfloat16S1_ffEEvbT_S2_PKS2_NS_24const_host_device_scalarIT4_EES4_PKT0_PKT1_PKT2_S7_PT3_21rocsparse_index_base_b
		.amdhsa_group_segment_fixed_size 4096
		.amdhsa_private_segment_fixed_size 0
		.amdhsa_kernarg_size 352
		.amdhsa_user_sgpr_count 15
		.amdhsa_user_sgpr_dispatch_ptr 0
		.amdhsa_user_sgpr_queue_ptr 0
		.amdhsa_user_sgpr_kernarg_segment_ptr 1
		.amdhsa_user_sgpr_dispatch_id 0
		.amdhsa_user_sgpr_private_segment_size 0
		.amdhsa_wavefront_size32 1
		.amdhsa_uses_dynamic_stack 0
		.amdhsa_enable_private_segment 0
		.amdhsa_system_sgpr_workgroup_id_x 1
		.amdhsa_system_sgpr_workgroup_id_y 0
		.amdhsa_system_sgpr_workgroup_id_z 0
		.amdhsa_system_sgpr_workgroup_info 0
		.amdhsa_system_vgpr_workitem_id 0
		.amdhsa_next_free_vgpr 24
		.amdhsa_next_free_sgpr 41
		.amdhsa_reserve_vcc 1
		.amdhsa_float_round_mode_32 0
		.amdhsa_float_round_mode_16_64 0
		.amdhsa_float_denorm_mode_32 3
		.amdhsa_float_denorm_mode_16_64 3
		.amdhsa_dx10_clamp 1
		.amdhsa_ieee_mode 1
		.amdhsa_fp16_overflow 0
		.amdhsa_workgroup_processor_mode 1
		.amdhsa_memory_ordered 1
		.amdhsa_forward_progress 0
		.amdhsa_shared_vgpr_count 0
		.amdhsa_exception_fp_ieee_invalid_op 0
		.amdhsa_exception_fp_denorm_src 0
		.amdhsa_exception_fp_ieee_div_zero 0
		.amdhsa_exception_fp_ieee_overflow 0
		.amdhsa_exception_fp_ieee_underflow 0
		.amdhsa_exception_fp_ieee_inexact 0
		.amdhsa_exception_int_div_zero 0
	.end_amdhsa_kernel
	.section	.text._ZN9rocsparseL27csrmvn_symm_adaptive_kernelIli18rocsparse_bfloat16S1_ffEEvbT_S2_PKS2_NS_24const_host_device_scalarIT4_EES4_PKT0_PKT1_PKT2_S7_PT3_21rocsparse_index_base_b,"axG",@progbits,_ZN9rocsparseL27csrmvn_symm_adaptive_kernelIli18rocsparse_bfloat16S1_ffEEvbT_S2_PKS2_NS_24const_host_device_scalarIT4_EES4_PKT0_PKT1_PKT2_S7_PT3_21rocsparse_index_base_b,comdat
.Lfunc_end77:
	.size	_ZN9rocsparseL27csrmvn_symm_adaptive_kernelIli18rocsparse_bfloat16S1_ffEEvbT_S2_PKS2_NS_24const_host_device_scalarIT4_EES4_PKT0_PKT1_PKT2_S7_PT3_21rocsparse_index_base_b, .Lfunc_end77-_ZN9rocsparseL27csrmvn_symm_adaptive_kernelIli18rocsparse_bfloat16S1_ffEEvbT_S2_PKS2_NS_24const_host_device_scalarIT4_EES4_PKT0_PKT1_PKT2_S7_PT3_21rocsparse_index_base_b
                                        ; -- End function
	.section	.AMDGPU.csdata,"",@progbits
; Kernel info:
; codeLenInByte = 9112
; NumSgprs: 43
; NumVgprs: 24
; ScratchSize: 0
; MemoryBound: 0
; FloatMode: 240
; IeeeMode: 1
; LDSByteSize: 4096 bytes/workgroup (compile time only)
; SGPRBlocks: 5
; VGPRBlocks: 2
; NumSGPRsForWavesPerEU: 43
; NumVGPRsForWavesPerEU: 24
; Occupancy: 16
; WaveLimiterHint : 1
; COMPUTE_PGM_RSRC2:SCRATCH_EN: 0
; COMPUTE_PGM_RSRC2:USER_SGPR: 15
; COMPUTE_PGM_RSRC2:TRAP_HANDLER: 0
; COMPUTE_PGM_RSRC2:TGID_X_EN: 1
; COMPUTE_PGM_RSRC2:TGID_Y_EN: 0
; COMPUTE_PGM_RSRC2:TGID_Z_EN: 0
; COMPUTE_PGM_RSRC2:TIDIG_COMP_CNT: 0
	.section	.text._ZL33csrmvn_symm_large_adaptive_kernelIli18rocsparse_bfloat16S0_ffEvbT_PKS1_N9rocsparse24const_host_device_scalarIT4_EES3_PKT0_PKT1_PKT2_S7_PT3_21rocsparse_index_base_b,"axG",@progbits,_ZL33csrmvn_symm_large_adaptive_kernelIli18rocsparse_bfloat16S0_ffEvbT_PKS1_N9rocsparse24const_host_device_scalarIT4_EES3_PKT0_PKT1_PKT2_S7_PT3_21rocsparse_index_base_b,comdat
	.globl	_ZL33csrmvn_symm_large_adaptive_kernelIli18rocsparse_bfloat16S0_ffEvbT_PKS1_N9rocsparse24const_host_device_scalarIT4_EES3_PKT0_PKT1_PKT2_S7_PT3_21rocsparse_index_base_b ; -- Begin function _ZL33csrmvn_symm_large_adaptive_kernelIli18rocsparse_bfloat16S0_ffEvbT_PKS1_N9rocsparse24const_host_device_scalarIT4_EES3_PKT0_PKT1_PKT2_S7_PT3_21rocsparse_index_base_b
	.p2align	8
	.type	_ZL33csrmvn_symm_large_adaptive_kernelIli18rocsparse_bfloat16S0_ffEvbT_PKS1_N9rocsparse24const_host_device_scalarIT4_EES3_PKT0_PKT1_PKT2_S7_PT3_21rocsparse_index_base_b,@function
_ZL33csrmvn_symm_large_adaptive_kernelIli18rocsparse_bfloat16S0_ffEvbT_PKS1_N9rocsparse24const_host_device_scalarIT4_EES3_PKT0_PKT1_PKT2_S7_PT3_21rocsparse_index_base_b: ; @_ZL33csrmvn_symm_large_adaptive_kernelIli18rocsparse_bfloat16S0_ffEvbT_PKS1_N9rocsparse24const_host_device_scalarIT4_EES3_PKT0_PKT1_PKT2_S7_PT3_21rocsparse_index_base_b
; %bb.0:
	s_clause 0x2
	s_load_b64 s[6:7], s[0:1], 0x50
	s_load_b64 s[20:21], s[0:1], 0x18
	;; [unrolled: 1-line block ×3, first 2 shown]
	s_mov_b32 s2, s15
	s_waitcnt lgkmcnt(0)
	s_bitcmp1_b32 s7, 0
	s_cselect_b32 s3, -1, 0
	s_delay_alu instid0(SALU_CYCLE_1)
	s_and_b32 vcc_lo, exec_lo, s3
	s_xor_b32 s3, s3, -1
	s_cbranch_vccnz .LBB78_2
; %bb.1:
	s_load_b32 s20, s[20:21], 0x0
.LBB78_2:
	s_and_not1_b32 vcc_lo, exec_lo, s3
	s_cbranch_vccnz .LBB78_4
; %bb.3:
	s_load_b32 s4, s[4:5], 0x0
.LBB78_4:
	s_waitcnt lgkmcnt(0)
	v_cmp_neq_f32_e64 s3, s20, 0
	v_cmp_neq_f32_e64 s4, s4, 1.0
	s_delay_alu instid0(VALU_DEP_1) | instskip(NEXT) | instid1(SALU_CYCLE_1)
	s_or_b32 s3, s3, s4
	s_and_not1_b32 vcc_lo, exec_lo, s3
	s_cbranch_vccnz .LBB78_38
; %bb.5:
	s_load_b64 s[4:5], s[0:1], 0x10
	s_ashr_i32 s3, s2, 31
	v_dual_mov_b32 v1, 0 :: v_dual_lshlrev_b32 v6, 2, v0
	s_lshl_b64 s[2:3], s[2:3], 3
	ds_store_2addr_stride64_b32 v6, v1, v1 offset1:4
	ds_store_2addr_stride64_b32 v6, v1, v1 offset0:8 offset1:12
	s_waitcnt lgkmcnt(0)
	s_barrier
	buffer_gl0_inv
	s_add_u32 s2, s4, s2
	s_addc_u32 s3, s5, s3
	s_load_b128 s[16:19], s[2:3], 0x0
	s_clause 0x1
	s_load_b256 s[8:15], s[0:1], 0x20
	s_load_b64 s[22:23], s[0:1], 0x48
	v_sub_co_u32 v7, s1, v0, s6
	s_delay_alu instid0(VALU_DEP_1) | instskip(SKIP_2) | instid1(VALU_DEP_1)
	v_sub_co_ci_u32_e64 v8, null, 0, 0, s1
	s_waitcnt lgkmcnt(0)
	v_cmp_lt_i64_e64 s0, s[16:17], s[18:19]
	s_and_b32 vcc_lo, exec_lo, s0
	s_cbranch_vccnz .LBB78_7
; %bb.6:
	s_lshl_b64 s[0:1], s[16:17], 3
	s_delay_alu instid0(SALU_CYCLE_1)
	s_add_u32 s0, s8, s0
	s_addc_u32 s1, s9, s1
	s_load_b64 s[24:25], s[0:1], 0x0
	s_cbranch_execz .LBB78_8
	s_branch .LBB78_28
.LBB78_7:
                                        ; implicit-def: $sgpr24_sgpr25
.LBB78_8:
	s_lshl_b64 s[0:1], s[16:17], 3
	v_cmp_gt_u32_e64 s2, 16, v0
	s_add_u32 s0, s8, s0
	s_addc_u32 s1, s9, s1
	v_cmp_gt_u32_e64 s3, 4, v0
	s_waitcnt lgkmcnt(0)
	s_load_b64 s[24:25], s[0:1], 0x0
	v_cmp_gt_u32_e64 s0, 0x100, v0
	v_cmp_gt_u32_e64 s1, 64, v0
	v_cmp_eq_u32_e64 s4, 0, v0
	v_mov_b32_e32 v9, 0
	s_add_u32 s7, s8, 8
	s_addc_u32 s21, s9, 0
	s_mov_b64 s[26:27], s[16:17]
	s_waitcnt lgkmcnt(0)
	s_mov_b64 s[28:29], s[24:25]
	s_branch .LBB78_10
.LBB78_9:                               ;   in Loop: Header=BB78_10 Depth=1
	s_or_b32 exec_lo, exec_lo, s5
	s_add_u32 s26, s26, 1
	s_addc_u32 s27, s27, 0
	s_delay_alu instid0(SALU_CYCLE_1) | instskip(NEXT) | instid1(VALU_DEP_1)
	v_cmp_ge_i64_e64 s5, s[26:27], s[18:19]
	s_and_b32 vcc_lo, exec_lo, s5
	s_cbranch_vccnz .LBB78_28
.LBB78_10:                              ; =>This Loop Header: Depth=1
                                        ;     Child Loop BB78_12 Depth 2
                                        ;     Child Loop BB78_27 Depth 2
	s_lshl_b64 s[30:31], s[26:27], 3
	s_mov_b64 s[34:35], s[28:29]
	s_add_u32 s30, s7, s30
	s_addc_u32 s31, s21, s31
	v_add_co_u32 v0, vcc_lo, s34, v7
	s_load_b64 s[28:29], s[30:31], 0x0
	v_add_co_ci_u32_e32 v1, vcc_lo, s35, v8, vcc_lo
	v_mov_b32_e32 v10, 0
	s_mov_b32 s33, exec_lo
	s_waitcnt lgkmcnt(0)
	s_sub_u32 s30, s28, s6
	s_subb_u32 s31, s29, 0
	s_delay_alu instid0(SALU_CYCLE_1)
	v_cmpx_gt_i64_e64 s[30:31], v[0:1]
	s_cbranch_execz .LBB78_14
; %bb.11:                               ;   in Loop: Header=BB78_10 Depth=1
	v_lshlrev_b64 v[2:3], 2, v[0:1]
	v_lshlrev_b64 v[4:5], 1, v[0:1]
	v_mov_b32_e32 v10, 0
	s_mov_b32 s34, 0
	s_delay_alu instid0(VALU_DEP_3) | instskip(NEXT) | instid1(VALU_DEP_4)
	v_add_co_u32 v2, vcc_lo, s10, v2
	v_add_co_ci_u32_e32 v3, vcc_lo, s11, v3, vcc_lo
	s_delay_alu instid0(VALU_DEP_4)
	v_add_co_u32 v4, vcc_lo, s12, v4
	v_add_co_ci_u32_e32 v5, vcc_lo, s13, v5, vcc_lo
	s_set_inst_prefetch_distance 0x1
	.p2align	6
.LBB78_12:                              ;   Parent Loop BB78_10 Depth=1
                                        ; =>  This Inner Loop Header: Depth=2
	global_load_b32 v11, v[2:3], off
	s_waitcnt vmcnt(0)
	v_subrev_nc_u32_e32 v11, s6, v11
	s_delay_alu instid0(VALU_DEP_1) | instskip(NEXT) | instid1(VALU_DEP_1)
	v_ashrrev_i32_e32 v12, 31, v11
	v_lshlrev_b64 v[11:12], 1, v[11:12]
	s_delay_alu instid0(VALU_DEP_1) | instskip(NEXT) | instid1(VALU_DEP_2)
	v_add_co_u32 v11, vcc_lo, s14, v11
	v_add_co_ci_u32_e32 v12, vcc_lo, s15, v12, vcc_lo
	v_add_co_u32 v0, vcc_lo, 0x100, v0
	global_load_u16 v13, v[4:5], off
	global_load_u16 v11, v[11:12], off
	v_add_co_ci_u32_e32 v1, vcc_lo, 0, v1, vcc_lo
	v_add_co_u32 v2, vcc_lo, 0x400, v2
	v_add_co_ci_u32_e32 v3, vcc_lo, 0, v3, vcc_lo
	s_delay_alu instid0(VALU_DEP_3) | instskip(SKIP_1) | instid1(VALU_DEP_1)
	v_cmp_le_i64_e32 vcc_lo, s[30:31], v[0:1]
	v_add_co_u32 v4, s5, 0x200, v4
	v_add_co_ci_u32_e64 v5, s5, 0, v5, s5
	s_or_b32 s34, vcc_lo, s34
	s_waitcnt vmcnt(1)
	v_lshlrev_b32_e32 v12, 16, v13
	s_waitcnt vmcnt(0)
	v_lshlrev_b32_e32 v11, 16, v11
	s_delay_alu instid0(VALU_DEP_1)
	v_fmac_f32_e32 v10, v12, v11
	s_and_not1_b32 exec_lo, exec_lo, s34
	s_cbranch_execnz .LBB78_12
; %bb.13:                               ;   in Loop: Header=BB78_10 Depth=1
	s_set_inst_prefetch_distance 0x2
	s_or_b32 exec_lo, exec_lo, s34
.LBB78_14:                              ;   in Loop: Header=BB78_10 Depth=1
	s_delay_alu instid0(SALU_CYCLE_1)
	s_or_b32 exec_lo, exec_lo, s33
	ds_store_b32 v6, v10
	s_waitcnt lgkmcnt(0)
	s_barrier
	buffer_gl0_inv
	s_and_saveexec_b32 s5, s0
	s_cbranch_execz .LBB78_16
; %bb.15:                               ;   in Loop: Header=BB78_10 Depth=1
	ds_load_2addr_stride64_b32 v[0:1], v6 offset1:4
	ds_load_2addr_stride64_b32 v[2:3], v6 offset0:8 offset1:12
	s_waitcnt lgkmcnt(0)
	v_add_f32_e32 v1, v1, v2
	s_delay_alu instid0(VALU_DEP_1) | instskip(NEXT) | instid1(VALU_DEP_1)
	v_add_f32_e32 v1, v1, v3
	v_add_f32_e32 v0, v0, v1
	ds_store_b32 v6, v0
.LBB78_16:                              ;   in Loop: Header=BB78_10 Depth=1
	s_or_b32 exec_lo, exec_lo, s5
	s_waitcnt lgkmcnt(0)
	s_barrier
	buffer_gl0_inv
	s_and_saveexec_b32 s5, s1
	s_cbranch_execz .LBB78_18
; %bb.17:                               ;   in Loop: Header=BB78_10 Depth=1
	ds_load_2addr_stride64_b32 v[0:1], v6 offset1:1
	ds_load_2addr_stride64_b32 v[2:3], v6 offset0:2 offset1:3
	s_waitcnt lgkmcnt(0)
	v_add_f32_e32 v1, v1, v2
	s_delay_alu instid0(VALU_DEP_1) | instskip(NEXT) | instid1(VALU_DEP_1)
	v_add_f32_e32 v1, v1, v3
	v_add_f32_e32 v0, v0, v1
	ds_store_b32 v6, v0
.LBB78_18:                              ;   in Loop: Header=BB78_10 Depth=1
	s_or_b32 exec_lo, exec_lo, s5
	s_waitcnt lgkmcnt(0)
	s_barrier
	buffer_gl0_inv
	s_and_saveexec_b32 s5, s2
	s_cbranch_execz .LBB78_20
; %bb.19:                               ;   in Loop: Header=BB78_10 Depth=1
	ds_load_2addr_b32 v[0:1], v6 offset1:16
	ds_load_2addr_b32 v[2:3], v6 offset0:32 offset1:48
	s_waitcnt lgkmcnt(0)
	v_add_f32_e32 v1, v1, v2
	s_delay_alu instid0(VALU_DEP_1) | instskip(NEXT) | instid1(VALU_DEP_1)
	v_add_f32_e32 v1, v1, v3
	v_add_f32_e32 v0, v0, v1
	ds_store_b32 v6, v0
.LBB78_20:                              ;   in Loop: Header=BB78_10 Depth=1
	s_or_b32 exec_lo, exec_lo, s5
	s_waitcnt lgkmcnt(0)
	s_barrier
	buffer_gl0_inv
	s_and_saveexec_b32 s5, s3
	s_cbranch_execz .LBB78_22
; %bb.21:                               ;   in Loop: Header=BB78_10 Depth=1
	ds_load_2addr_b32 v[0:1], v6 offset1:4
	ds_load_2addr_b32 v[2:3], v6 offset0:8 offset1:12
	s_waitcnt lgkmcnt(0)
	v_add_f32_e32 v1, v1, v2
	s_delay_alu instid0(VALU_DEP_1) | instskip(NEXT) | instid1(VALU_DEP_1)
	v_add_f32_e32 v1, v1, v3
	v_add_f32_e32 v0, v0, v1
	ds_store_b32 v6, v0
.LBB78_22:                              ;   in Loop: Header=BB78_10 Depth=1
	s_or_b32 exec_lo, exec_lo, s5
	s_waitcnt lgkmcnt(0)
	s_barrier
	buffer_gl0_inv
	s_and_saveexec_b32 s5, s4
	s_cbranch_execz .LBB78_24
; %bb.23:                               ;   in Loop: Header=BB78_10 Depth=1
	ds_load_2addr_b32 v[0:1], v9 offset0:1 offset1:2
	ds_load_b32 v2, v9 offset:12
	ds_load_b32 v3, v6
	s_waitcnt lgkmcnt(2)
	v_add_f32_e32 v0, v0, v1
	s_waitcnt lgkmcnt(1)
	s_delay_alu instid0(VALU_DEP_1) | instskip(SKIP_1) | instid1(VALU_DEP_1)
	v_add_f32_e32 v0, v0, v2
	s_waitcnt lgkmcnt(0)
	v_add_f32_e32 v0, v3, v0
	ds_store_b32 v6, v0
.LBB78_24:                              ;   in Loop: Header=BB78_10 Depth=1
	s_or_b32 exec_lo, exec_lo, s5
	s_waitcnt lgkmcnt(0)
	s_barrier
	buffer_gl0_inv
	s_and_saveexec_b32 s5, s4
	s_cbranch_execz .LBB78_9
; %bb.25:                               ;   in Loop: Header=BB78_10 Depth=1
	s_mov_b32 s33, exec_lo
	s_delay_alu instid0(SALU_CYCLE_1) | instskip(NEXT) | instid1(VALU_DEP_1)
	v_mbcnt_lo_u32_b32 v0, s33, 0
	v_cmp_eq_u32_e32 vcc_lo, 0, v0
	s_and_b32 s30, exec_lo, vcc_lo
	s_delay_alu instid0(SALU_CYCLE_1)
	s_mov_b32 exec_lo, s30
	s_cbranch_execz .LBB78_9
; %bb.26:                               ;   in Loop: Header=BB78_10 Depth=1
	s_lshl_b64 s[30:31], s[26:27], 2
	ds_load_b32 v0, v9
	s_add_u32 s30, s22, s30
	s_addc_u32 s31, s23, s31
	s_bcnt1_i32_b32 s33, s33
	global_load_b32 v1, v9, s[30:31]
	v_cvt_f32_ubyte0_e32 v2, s33
	s_mov_b32 s33, 0
	s_waitcnt lgkmcnt(0)
	v_mul_f32_e32 v0, s20, v0
	s_delay_alu instid0(VALU_DEP_1)
	v_mul_f32_e32 v2, v0, v2
.LBB78_27:                              ;   Parent Loop BB78_10 Depth=1
                                        ; =>  This Inner Loop Header: Depth=2
	s_waitcnt vmcnt(0)
	s_delay_alu instid0(VALU_DEP_1)
	v_add_f32_e32 v0, v1, v2
	global_atomic_cmpswap_b32 v0, v9, v[0:1], s[30:31] glc
	s_waitcnt vmcnt(0)
	v_cmp_eq_u32_e32 vcc_lo, v0, v1
	v_mov_b32_e32 v1, v0
	s_or_b32 s33, vcc_lo, s33
	s_delay_alu instid0(SALU_CYCLE_1)
	s_and_not1_b32 exec_lo, exec_lo, s33
	s_cbranch_execnz .LBB78_27
	s_branch .LBB78_9
.LBB78_28:
	s_lshl_b64 s[0:1], s[18:19], 3
	s_waitcnt lgkmcnt(0)
	v_add_co_u32 v0, vcc_lo, s24, v7
	s_add_u32 s0, s8, s0
	s_addc_u32 s1, s9, s1
	v_add_co_ci_u32_e32 v1, vcc_lo, s25, v8, vcc_lo
	s_load_b64 s[0:1], s[0:1], 0x0
	s_waitcnt lgkmcnt(0)
	s_sub_u32 s2, s0, s6
	s_subb_u32 s3, s1, 0
	s_mov_b32 s0, exec_lo
	v_cmpx_gt_i64_e64 s[2:3], v[0:1]
	s_cbranch_execz .LBB78_38
; %bb.29:
	s_add_u32 s4, s18, -1
	s_addc_u32 s5, s19, -1
	s_add_u32 s0, s18, -2
	v_cmp_gt_i64_e64 s7, s[4:5], s[16:17]
	s_addc_u32 s1, s19, -1
	s_delay_alu instid0(SALU_CYCLE_1)
	s_cmp_lg_u64 s[0:1], s[16:17]
	s_cselect_b32 s0, -1, 0
	s_delay_alu instid0(VALU_DEP_1) | instid1(SALU_CYCLE_1)
	s_and_b32 s1, s7, s0
	s_mov_b32 s7, 0
	s_branch .LBB78_31
.LBB78_30:                              ;   in Loop: Header=BB78_31 Depth=1
	s_or_b32 exec_lo, exec_lo, s0
	v_add_co_u32 v0, vcc_lo, 0x100, v0
	v_add_co_ci_u32_e32 v1, vcc_lo, 0, v1, vcc_lo
	s_delay_alu instid0(VALU_DEP_1) | instskip(SKIP_1) | instid1(SALU_CYCLE_1)
	v_cmp_le_i64_e32 vcc_lo, s[2:3], v[0:1]
	s_or_b32 s7, vcc_lo, s7
	s_and_not1_b32 exec_lo, exec_lo, s7
	s_cbranch_execz .LBB78_38
.LBB78_31:                              ; =>This Loop Header: Depth=1
                                        ;     Child Loop BB78_33 Depth 2
                                        ;     Child Loop BB78_37 Depth 2
	v_dual_mov_b32 v2, s16 :: v_dual_mov_b32 v3, s17
	v_dual_mov_b32 v4, s4 :: v_dual_mov_b32 v5, s5
	s_and_not1_b32 vcc_lo, exec_lo, s1
	s_cbranch_vccnz .LBB78_35
; %bb.32:                               ;   in Loop: Header=BB78_31 Depth=1
	v_dual_mov_b32 v2, s16 :: v_dual_mov_b32 v3, s17
	v_dual_mov_b32 v4, s4 :: v_dual_mov_b32 v5, s5
	s_mov_b32 s18, 0
	s_set_inst_prefetch_distance 0x1
	.p2align	6
.LBB78_33:                              ;   Parent Loop BB78_31 Depth=1
                                        ; =>  This Inner Loop Header: Depth=2
	s_delay_alu instid0(VALU_DEP_1) | instskip(NEXT) | instid1(VALU_DEP_2)
	v_add_co_u32 v6, vcc_lo, v4, v2
	v_add_co_ci_u32_e32 v7, vcc_lo, v5, v3, vcc_lo
	s_delay_alu instid0(VALU_DEP_1) | instskip(NEXT) | instid1(VALU_DEP_1)
	v_lshrrev_b32_e32 v8, 31, v7
	v_add_co_u32 v6, vcc_lo, v6, v8
	v_add_co_ci_u32_e32 v7, vcc_lo, 0, v7, vcc_lo
	s_delay_alu instid0(VALU_DEP_1) | instskip(NEXT) | instid1(VALU_DEP_1)
	v_ashrrev_i64 v[6:7], 1, v[6:7]
	v_lshlrev_b64 v[8:9], 3, v[6:7]
	s_delay_alu instid0(VALU_DEP_1) | instskip(NEXT) | instid1(VALU_DEP_2)
	v_add_co_u32 v8, vcc_lo, s8, v8
	v_add_co_ci_u32_e32 v9, vcc_lo, s9, v9, vcc_lo
	global_load_b64 v[8:9], v[8:9], off
	s_waitcnt vmcnt(0)
	v_sub_co_u32 v8, vcc_lo, v8, s6
	v_subrev_co_ci_u32_e32 v9, vcc_lo, 0, v9, vcc_lo
	s_delay_alu instid0(VALU_DEP_1) | instskip(SKIP_2) | instid1(VALU_DEP_2)
	v_cmp_gt_i64_e32 vcc_lo, v[8:9], v[0:1]
	v_dual_cndmask_b32 v5, v5, v7 :: v_dual_cndmask_b32 v4, v4, v6
	v_dual_cndmask_b32 v3, v7, v3 :: v_dual_cndmask_b32 v2, v6, v2
	v_add_co_u32 v6, vcc_lo, v4, -1
	s_delay_alu instid0(VALU_DEP_3) | instskip(NEXT) | instid1(VALU_DEP_3)
	v_add_co_ci_u32_e32 v7, vcc_lo, -1, v5, vcc_lo
	v_cmp_ge_i64_e32 vcc_lo, v[2:3], v[4:5]
	s_delay_alu instid0(VALU_DEP_2) | instskip(NEXT) | instid1(VALU_DEP_1)
	v_cmp_eq_u64_e64 s0, v[2:3], v[6:7]
	s_or_b32 s0, vcc_lo, s0
	s_delay_alu instid0(SALU_CYCLE_1) | instskip(NEXT) | instid1(SALU_CYCLE_1)
	s_and_b32 s0, exec_lo, s0
	s_or_b32 s18, s0, s18
	s_delay_alu instid0(SALU_CYCLE_1)
	s_and_not1_b32 exec_lo, exec_lo, s18
	s_cbranch_execnz .LBB78_33
; %bb.34:                               ;   in Loop: Header=BB78_31 Depth=1
	s_set_inst_prefetch_distance 0x2
	s_or_b32 exec_lo, exec_lo, s18
.LBB78_35:                              ;   in Loop: Header=BB78_31 Depth=1
	s_delay_alu instid0(VALU_DEP_1) | instskip(SKIP_2) | instid1(VALU_DEP_2)
	v_lshlrev_b64 v[6:7], 3, v[4:5]
	v_lshlrev_b64 v[8:9], 2, v[0:1]
	s_mov_b32 s0, exec_lo
	v_add_co_u32 v6, vcc_lo, s8, v6
	s_delay_alu instid0(VALU_DEP_3) | instskip(NEXT) | instid1(VALU_DEP_3)
	v_add_co_ci_u32_e32 v7, vcc_lo, s9, v7, vcc_lo
	v_add_co_u32 v8, vcc_lo, s10, v8
	s_delay_alu instid0(VALU_DEP_4)
	v_add_co_ci_u32_e32 v9, vcc_lo, s11, v9, vcc_lo
	global_load_b64 v[6:7], v[6:7], off
	global_load_b32 v8, v[8:9], off
	s_waitcnt vmcnt(1)
	v_sub_co_u32 v6, vcc_lo, v6, s6
	v_subrev_co_ci_u32_e32 v7, vcc_lo, 0, v7, vcc_lo
	s_delay_alu instid0(VALU_DEP_1) | instskip(SKIP_2) | instid1(VALU_DEP_1)
	v_cmp_gt_i64_e32 vcc_lo, v[6:7], v[0:1]
	s_waitcnt vmcnt(0)
	v_subrev_nc_u32_e32 v6, s6, v8
	v_ashrrev_i32_e32 v7, 31, v6
	v_dual_cndmask_b32 v3, v5, v3 :: v_dual_cndmask_b32 v2, v4, v2
	s_delay_alu instid0(VALU_DEP_1)
	v_cmpx_ne_u64_e64 v[2:3], v[6:7]
	s_cbranch_execz .LBB78_30
; %bb.36:                               ;   in Loop: Header=BB78_31 Depth=1
	v_lshlrev_b64 v[4:5], 1, v[0:1]
	v_lshlrev_b64 v[2:3], 1, v[2:3]
	s_mov_b32 s18, 0
	s_delay_alu instid0(VALU_DEP_2) | instskip(NEXT) | instid1(VALU_DEP_3)
	v_add_co_u32 v4, vcc_lo, s12, v4
	v_add_co_ci_u32_e32 v5, vcc_lo, s13, v5, vcc_lo
	s_delay_alu instid0(VALU_DEP_3) | instskip(NEXT) | instid1(VALU_DEP_4)
	v_add_co_u32 v2, vcc_lo, s14, v2
	v_add_co_ci_u32_e32 v3, vcc_lo, s15, v3, vcc_lo
	global_load_u16 v8, v[4:5], off
	v_lshlrev_b64 v[4:5], 2, v[6:7]
	global_load_u16 v6, v[2:3], off
	v_add_co_u32 v2, vcc_lo, s22, v4
	v_add_co_ci_u32_e32 v3, vcc_lo, s23, v5, vcc_lo
	global_load_b32 v5, v[2:3], off
	s_waitcnt vmcnt(2)
	v_lshlrev_b32_e32 v4, 16, v8
	s_waitcnt vmcnt(1)
	v_lshlrev_b32_e32 v6, 16, v6
	s_delay_alu instid0(VALU_DEP_2) | instskip(NEXT) | instid1(VALU_DEP_1)
	v_mul_f32_e32 v4, s20, v4
	v_mul_f32_e32 v6, v4, v6
.LBB78_37:                              ;   Parent Loop BB78_31 Depth=1
                                        ; =>  This Inner Loop Header: Depth=2
	s_waitcnt vmcnt(0)
	s_delay_alu instid0(VALU_DEP_1)
	v_add_f32_e32 v4, v5, v6
	global_atomic_cmpswap_b32 v4, v[2:3], v[4:5], off glc
	s_waitcnt vmcnt(0)
	v_cmp_eq_u32_e32 vcc_lo, v4, v5
	v_mov_b32_e32 v5, v4
	s_or_b32 s18, vcc_lo, s18
	s_delay_alu instid0(SALU_CYCLE_1)
	s_and_not1_b32 exec_lo, exec_lo, s18
	s_cbranch_execnz .LBB78_37
	s_branch .LBB78_30
.LBB78_38:
	s_endpgm
	.section	.rodata,"a",@progbits
	.p2align	6, 0x0
	.amdhsa_kernel _ZL33csrmvn_symm_large_adaptive_kernelIli18rocsparse_bfloat16S0_ffEvbT_PKS1_N9rocsparse24const_host_device_scalarIT4_EES3_PKT0_PKT1_PKT2_S7_PT3_21rocsparse_index_base_b
		.amdhsa_group_segment_fixed_size 4096
		.amdhsa_private_segment_fixed_size 0
		.amdhsa_kernarg_size 88
		.amdhsa_user_sgpr_count 15
		.amdhsa_user_sgpr_dispatch_ptr 0
		.amdhsa_user_sgpr_queue_ptr 0
		.amdhsa_user_sgpr_kernarg_segment_ptr 1
		.amdhsa_user_sgpr_dispatch_id 0
		.amdhsa_user_sgpr_private_segment_size 0
		.amdhsa_wavefront_size32 1
		.amdhsa_uses_dynamic_stack 0
		.amdhsa_enable_private_segment 0
		.amdhsa_system_sgpr_workgroup_id_x 1
		.amdhsa_system_sgpr_workgroup_id_y 0
		.amdhsa_system_sgpr_workgroup_id_z 0
		.amdhsa_system_sgpr_workgroup_info 0
		.amdhsa_system_vgpr_workitem_id 0
		.amdhsa_next_free_vgpr 14
		.amdhsa_next_free_sgpr 36
		.amdhsa_reserve_vcc 1
		.amdhsa_float_round_mode_32 0
		.amdhsa_float_round_mode_16_64 0
		.amdhsa_float_denorm_mode_32 3
		.amdhsa_float_denorm_mode_16_64 3
		.amdhsa_dx10_clamp 1
		.amdhsa_ieee_mode 1
		.amdhsa_fp16_overflow 0
		.amdhsa_workgroup_processor_mode 1
		.amdhsa_memory_ordered 1
		.amdhsa_forward_progress 0
		.amdhsa_shared_vgpr_count 0
		.amdhsa_exception_fp_ieee_invalid_op 0
		.amdhsa_exception_fp_denorm_src 0
		.amdhsa_exception_fp_ieee_div_zero 0
		.amdhsa_exception_fp_ieee_overflow 0
		.amdhsa_exception_fp_ieee_underflow 0
		.amdhsa_exception_fp_ieee_inexact 0
		.amdhsa_exception_int_div_zero 0
	.end_amdhsa_kernel
	.section	.text._ZL33csrmvn_symm_large_adaptive_kernelIli18rocsparse_bfloat16S0_ffEvbT_PKS1_N9rocsparse24const_host_device_scalarIT4_EES3_PKT0_PKT1_PKT2_S7_PT3_21rocsparse_index_base_b,"axG",@progbits,_ZL33csrmvn_symm_large_adaptive_kernelIli18rocsparse_bfloat16S0_ffEvbT_PKS1_N9rocsparse24const_host_device_scalarIT4_EES3_PKT0_PKT1_PKT2_S7_PT3_21rocsparse_index_base_b,comdat
.Lfunc_end78:
	.size	_ZL33csrmvn_symm_large_adaptive_kernelIli18rocsparse_bfloat16S0_ffEvbT_PKS1_N9rocsparse24const_host_device_scalarIT4_EES3_PKT0_PKT1_PKT2_S7_PT3_21rocsparse_index_base_b, .Lfunc_end78-_ZL33csrmvn_symm_large_adaptive_kernelIli18rocsparse_bfloat16S0_ffEvbT_PKS1_N9rocsparse24const_host_device_scalarIT4_EES3_PKT0_PKT1_PKT2_S7_PT3_21rocsparse_index_base_b
                                        ; -- End function
	.section	.AMDGPU.csdata,"",@progbits
; Kernel info:
; codeLenInByte = 1976
; NumSgprs: 38
; NumVgprs: 14
; ScratchSize: 0
; MemoryBound: 0
; FloatMode: 240
; IeeeMode: 1
; LDSByteSize: 4096 bytes/workgroup (compile time only)
; SGPRBlocks: 4
; VGPRBlocks: 1
; NumSGPRsForWavesPerEU: 38
; NumVGPRsForWavesPerEU: 14
; Occupancy: 16
; WaveLimiterHint : 1
; COMPUTE_PGM_RSRC2:SCRATCH_EN: 0
; COMPUTE_PGM_RSRC2:USER_SGPR: 15
; COMPUTE_PGM_RSRC2:TRAP_HANDLER: 0
; COMPUTE_PGM_RSRC2:TGID_X_EN: 1
; COMPUTE_PGM_RSRC2:TGID_Y_EN: 0
; COMPUTE_PGM_RSRC2:TGID_Z_EN: 0
; COMPUTE_PGM_RSRC2:TIDIG_COMP_CNT: 0
	.section	.text._ZN9rocsparseL22csrmvn_adaptive_kernelIll18rocsparse_bfloat16S1_ffEEvbT_PKS2_PjPKT0_NS_24const_host_device_scalarIT4_EES4_S8_PKT1_PKT2_SB_PT3_21rocsparse_index_base_b,"axG",@progbits,_ZN9rocsparseL22csrmvn_adaptive_kernelIll18rocsparse_bfloat16S1_ffEEvbT_PKS2_PjPKT0_NS_24const_host_device_scalarIT4_EES4_S8_PKT1_PKT2_SB_PT3_21rocsparse_index_base_b,comdat
	.globl	_ZN9rocsparseL22csrmvn_adaptive_kernelIll18rocsparse_bfloat16S1_ffEEvbT_PKS2_PjPKT0_NS_24const_host_device_scalarIT4_EES4_S8_PKT1_PKT2_SB_PT3_21rocsparse_index_base_b ; -- Begin function _ZN9rocsparseL22csrmvn_adaptive_kernelIll18rocsparse_bfloat16S1_ffEEvbT_PKS2_PjPKT0_NS_24const_host_device_scalarIT4_EES4_S8_PKT1_PKT2_SB_PT3_21rocsparse_index_base_b
	.p2align	8
	.type	_ZN9rocsparseL22csrmvn_adaptive_kernelIll18rocsparse_bfloat16S1_ffEEvbT_PKS2_PjPKT0_NS_24const_host_device_scalarIT4_EES4_S8_PKT1_PKT2_SB_PT3_21rocsparse_index_base_b,@function
_ZN9rocsparseL22csrmvn_adaptive_kernelIll18rocsparse_bfloat16S1_ffEEvbT_PKS2_PjPKT0_NS_24const_host_device_scalarIT4_EES4_S8_PKT1_PKT2_SB_PT3_21rocsparse_index_base_b: ; @_ZN9rocsparseL22csrmvn_adaptive_kernelIll18rocsparse_bfloat16S1_ffEEvbT_PKS2_PjPKT0_NS_24const_host_device_scalarIT4_EES4_S8_PKT1_PKT2_SB_PT3_21rocsparse_index_base_b
; %bb.0:
	s_clause 0x2
	s_load_b64 s[38:39], s[0:1], 0x60
	s_load_b64 s[36:37], s[0:1], 0x28
	;; [unrolled: 1-line block ×3, first 2 shown]
	s_mov_b32 s40, s15
	s_waitcnt lgkmcnt(0)
	s_bitcmp1_b32 s39, 0
	s_cselect_b32 s2, -1, 0
	s_delay_alu instid0(SALU_CYCLE_1)
	s_and_b32 vcc_lo, exec_lo, s2
	s_xor_b32 s2, s2, -1
	s_cbranch_vccnz .LBB79_2
; %bb.1:
	s_load_b32 s36, s[36:37], 0x0
.LBB79_2:
	s_and_not1_b32 vcc_lo, exec_lo, s2
	s_cbranch_vccnz .LBB79_4
; %bb.3:
	s_load_b32 s24, s[24:25], 0x0
.LBB79_4:
	s_waitcnt lgkmcnt(0)
	v_cmp_neq_f32_e64 s2, s36, 0
	v_cmp_neq_f32_e64 s3, s24, 1.0
	s_delay_alu instid0(VALU_DEP_1) | instskip(NEXT) | instid1(SALU_CYCLE_1)
	s_or_b32 s2, s2, s3
	s_and_not1_b32 vcc_lo, exec_lo, s2
	s_cbranch_vccnz .LBB79_116
; %bb.5:
	s_clause 0x2
	s_load_b64 s[2:3], s[0:1], 0x10
	s_load_b64 s[6:7], s[0:1], 0x20
	;; [unrolled: 1-line block ×3, first 2 shown]
	s_ashr_i32 s41, s40, 31
	s_delay_alu instid0(SALU_CYCLE_1)
	s_lshl_b64 s[4:5], s[40:41], 3
	s_waitcnt lgkmcnt(0)
	s_add_u32 s2, s2, s4
	s_addc_u32 s3, s3, s5
	s_load_b128 s[20:23], s[2:3], 0x0
	s_load_b256 s[12:19], s[0:1], 0x30
	s_waitcnt lgkmcnt(0)
	s_sub_u32 s2, s22, s20
	s_subb_u32 s3, s23, s21
	s_add_u32 s4, s6, s4
	s_addc_u32 s5, s7, s5
	s_lshl_b64 s[6:7], s[20:21], 3
	s_delay_alu instid0(SALU_CYCLE_1) | instskip(SKIP_4) | instid1(VALU_DEP_1)
	s_add_u32 s34, s12, s6
	s_addc_u32 s35, s13, s7
	s_load_b64 s[28:29], s[4:5], 0x0
	s_load_b64 s[30:31], s[34:35], 0x0
	v_cmp_lt_i64_e64 s4, s[2:3], 2
	s_and_b32 vcc_lo, exec_lo, s4
	s_mov_b32 s4, -1
	s_cbranch_vccz .LBB79_72
; %bb.6:
	s_cmp_lg_u64 s[2:3], 1
	s_cselect_b32 s2, -1, 0
	s_waitcnt lgkmcnt(0)
	s_cmp_lg_u64 s[28:29], 0
	s_cselect_b32 s3, -1, 0
	s_delay_alu instid0(SALU_CYCLE_1) | instskip(NEXT) | instid1(SALU_CYCLE_1)
	s_or_b32 s2, s2, s3
	s_and_b32 vcc_lo, exec_lo, s2
	s_mov_b32 s2, -1
	s_cbranch_vccnz .LBB79_35
; %bb.7:
	v_cmp_le_i64_e64 s2, s[22:23], s[20:21]
	s_delay_alu instid0(VALU_DEP_1)
	s_and_b32 vcc_lo, exec_lo, s2
	s_cbranch_vccnz .LBB79_34
; %bb.8:
	v_sub_co_u32 v7, s2, v0, s38
	s_delay_alu instid0(VALU_DEP_1)
	v_sub_co_ci_u32_e64 v8, null, 0, 0, s2
	v_dual_mov_b32 v10, 0 :: v_dual_lshlrev_b32 v9, 2, v0
	v_cmp_gt_u32_e64 s2, 0x80, v0
	v_cmp_gt_u32_e64 s3, 64, v0
	;; [unrolled: 1-line block ×7, first 2 shown]
	v_cmp_eq_u32_e64 s9, 0, v0
	v_cmp_neq_f32_e64 s25, s24, 0
	s_add_u32 s11, s12, 8
	s_addc_u32 s33, s13, 0
	s_mov_b64 s[44:45], s[30:31]
	s_mov_b64 s[42:43], s[20:21]
	s_branch .LBB79_11
.LBB79_9:                               ;   in Loop: Header=BB79_11 Depth=1
	s_lshl_b64 s[46:47], s[42:43], 2
	s_delay_alu instid0(SALU_CYCLE_1)
	s_add_u32 s46, s26, s46
	s_addc_u32 s47, s27, s47
	s_waitcnt lgkmcnt(0)
	global_store_b32 v10, v1, s[46:47]
.LBB79_10:                              ;   in Loop: Header=BB79_11 Depth=1
	s_or_b32 exec_lo, exec_lo, s10
	s_add_u32 s42, s42, 1
	s_addc_u32 s43, s43, 0
	s_delay_alu instid0(SALU_CYCLE_1) | instskip(NEXT) | instid1(VALU_DEP_1)
	v_cmp_ge_i64_e64 s10, s[42:43], s[22:23]
	s_and_b32 vcc_lo, exec_lo, s10
	s_cbranch_vccnz .LBB79_34
.LBB79_11:                              ; =>This Loop Header: Depth=1
                                        ;     Child Loop BB79_13 Depth 2
	s_lshl_b64 s[46:47], s[42:43], 3
	s_mov_b64 s[48:49], s[44:45]
	s_add_u32 s46, s11, s46
	s_addc_u32 s47, s33, s47
	v_add_co_u32 v1, vcc_lo, s48, v7
	s_load_b64 s[44:45], s[46:47], 0x0
	v_add_co_ci_u32_e32 v2, vcc_lo, s49, v8, vcc_lo
	v_mov_b32_e32 v11, 0
	s_mov_b32 s37, exec_lo
	s_waitcnt lgkmcnt(0)
	s_sub_u32 s46, s44, s38
	s_subb_u32 s47, s45, 0
	s_delay_alu instid0(SALU_CYCLE_1)
	v_cmpx_gt_i64_e64 s[46:47], v[1:2]
	s_cbranch_execz .LBB79_15
; %bb.12:                               ;   in Loop: Header=BB79_11 Depth=1
	v_lshlrev_b64 v[3:4], 1, v[1:2]
	v_lshlrev_b64 v[5:6], 3, v[1:2]
	v_mov_b32_e32 v11, 0
	s_mov_b32 s39, 0
	s_delay_alu instid0(VALU_DEP_3) | instskip(NEXT) | instid1(VALU_DEP_4)
	v_add_co_u32 v3, vcc_lo, s16, v3
	v_add_co_ci_u32_e32 v4, vcc_lo, s17, v4, vcc_lo
	s_delay_alu instid0(VALU_DEP_4)
	v_add_co_u32 v5, vcc_lo, s14, v5
	v_add_co_ci_u32_e32 v6, vcc_lo, s15, v6, vcc_lo
	s_set_inst_prefetch_distance 0x1
	.p2align	6
.LBB79_13:                              ;   Parent Loop BB79_11 Depth=1
                                        ; =>  This Inner Loop Header: Depth=2
	global_load_b64 v[12:13], v[5:6], off
	global_load_u16 v14, v[3:4], off
	v_add_co_u32 v5, s10, 0x800, v5
	s_delay_alu instid0(VALU_DEP_1) | instskip(SKIP_3) | instid1(VALU_DEP_1)
	v_add_co_ci_u32_e64 v6, s10, 0, v6, s10
	s_waitcnt vmcnt(1)
	v_sub_co_u32 v12, vcc_lo, v12, s38
	v_subrev_co_ci_u32_e32 v13, vcc_lo, 0, v13, vcc_lo
	v_lshlrev_b64 v[12:13], 1, v[12:13]
	s_delay_alu instid0(VALU_DEP_1) | instskip(NEXT) | instid1(VALU_DEP_2)
	v_add_co_u32 v12, vcc_lo, s18, v12
	v_add_co_ci_u32_e32 v13, vcc_lo, s19, v13, vcc_lo
	v_add_co_u32 v1, vcc_lo, 0x100, v1
	v_add_co_ci_u32_e32 v2, vcc_lo, 0, v2, vcc_lo
	global_load_u16 v12, v[12:13], off
	s_waitcnt vmcnt(1)
	v_lshlrev_b32_e32 v13, 16, v14
	v_add_co_u32 v3, vcc_lo, 0x200, v3
	v_add_co_ci_u32_e32 v4, vcc_lo, 0, v4, vcc_lo
	s_delay_alu instid0(VALU_DEP_3) | instskip(SKIP_4) | instid1(VALU_DEP_1)
	v_mul_f32_e32 v13, s36, v13
	v_cmp_le_i64_e32 vcc_lo, s[46:47], v[1:2]
	s_or_b32 s39, vcc_lo, s39
	s_waitcnt vmcnt(0)
	v_lshlrev_b32_e32 v12, 16, v12
	v_fmac_f32_e32 v11, v13, v12
	s_and_not1_b32 exec_lo, exec_lo, s39
	s_cbranch_execnz .LBB79_13
; %bb.14:                               ;   in Loop: Header=BB79_11 Depth=1
	s_set_inst_prefetch_distance 0x2
	s_or_b32 exec_lo, exec_lo, s39
.LBB79_15:                              ;   in Loop: Header=BB79_11 Depth=1
	s_delay_alu instid0(SALU_CYCLE_1)
	s_or_b32 exec_lo, exec_lo, s37
	ds_store_b32 v9, v11
	s_waitcnt lgkmcnt(0)
	s_waitcnt_vscnt null, 0x0
	s_barrier
	buffer_gl0_inv
	s_and_saveexec_b32 s10, s2
	s_cbranch_execz .LBB79_17
; %bb.16:                               ;   in Loop: Header=BB79_11 Depth=1
	ds_load_2addr_stride64_b32 v[1:2], v9 offset1:2
	s_waitcnt lgkmcnt(0)
	v_add_f32_e32 v1, v1, v2
	ds_store_b32 v9, v1
.LBB79_17:                              ;   in Loop: Header=BB79_11 Depth=1
	s_or_b32 exec_lo, exec_lo, s10
	s_waitcnt lgkmcnt(0)
	s_barrier
	buffer_gl0_inv
	s_and_saveexec_b32 s10, s3
	s_cbranch_execz .LBB79_19
; %bb.18:                               ;   in Loop: Header=BB79_11 Depth=1
	ds_load_2addr_stride64_b32 v[1:2], v9 offset1:1
	s_waitcnt lgkmcnt(0)
	v_add_f32_e32 v1, v1, v2
	ds_store_b32 v9, v1
.LBB79_19:                              ;   in Loop: Header=BB79_11 Depth=1
	s_or_b32 exec_lo, exec_lo, s10
	s_waitcnt lgkmcnt(0)
	s_barrier
	buffer_gl0_inv
	s_and_saveexec_b32 s10, s4
	s_cbranch_execz .LBB79_21
; %bb.20:                               ;   in Loop: Header=BB79_11 Depth=1
	ds_load_2addr_b32 v[1:2], v9 offset1:32
	s_waitcnt lgkmcnt(0)
	v_add_f32_e32 v1, v1, v2
	ds_store_b32 v9, v1
.LBB79_21:                              ;   in Loop: Header=BB79_11 Depth=1
	s_or_b32 exec_lo, exec_lo, s10
	s_waitcnt lgkmcnt(0)
	s_barrier
	buffer_gl0_inv
	s_and_saveexec_b32 s10, s5
	s_cbranch_execz .LBB79_23
; %bb.22:                               ;   in Loop: Header=BB79_11 Depth=1
	ds_load_2addr_b32 v[1:2], v9 offset1:16
	s_waitcnt lgkmcnt(0)
	v_add_f32_e32 v1, v1, v2
	ds_store_b32 v9, v1
.LBB79_23:                              ;   in Loop: Header=BB79_11 Depth=1
	;; [unrolled: 12-line block ×5, first 2 shown]
	s_or_b32 exec_lo, exec_lo, s10
	s_waitcnt lgkmcnt(0)
	s_barrier
	buffer_gl0_inv
	s_and_saveexec_b32 s10, s9
	s_cbranch_execz .LBB79_31
; %bb.30:                               ;   in Loop: Header=BB79_11 Depth=1
	ds_load_b64 v[1:2], v10
	s_waitcnt lgkmcnt(0)
	v_add_f32_e32 v1, v1, v2
	ds_store_b32 v10, v1
.LBB79_31:                              ;   in Loop: Header=BB79_11 Depth=1
	s_or_b32 exec_lo, exec_lo, s10
	s_waitcnt lgkmcnt(0)
	s_barrier
	buffer_gl0_inv
	s_and_saveexec_b32 s10, s9
	s_cbranch_execz .LBB79_10
; %bb.32:                               ;   in Loop: Header=BB79_11 Depth=1
	ds_load_b32 v1, v10
	s_and_not1_b32 vcc_lo, exec_lo, s25
	s_cbranch_vccnz .LBB79_9
; %bb.33:                               ;   in Loop: Header=BB79_11 Depth=1
	s_lshl_b64 s[46:47], s[42:43], 2
	s_delay_alu instid0(SALU_CYCLE_1)
	s_add_u32 s46, s26, s46
	s_addc_u32 s47, s27, s47
	global_load_b32 v2, v10, s[46:47]
	s_waitcnt vmcnt(0) lgkmcnt(0)
	v_fmac_f32_e32 v1, s24, v2
	s_branch .LBB79_9
.LBB79_34:
	s_mov_b32 s2, 0
.LBB79_35:
	s_delay_alu instid0(SALU_CYCLE_1)
	s_and_not1_b32 vcc_lo, exec_lo, s2
	s_cbranch_vccnz .LBB79_71
; %bb.36:
	s_load_b64 s[6:7], s[0:1], 0x18
	s_sub_u32 s8, s40, s28
	s_subb_u32 s9, s41, s29
	s_lshl_b64 s[2:3], s[40:41], 2
	v_cmp_eq_u32_e32 vcc_lo, 0, v0
	v_mov_b32_e32 v7, 0
	s_waitcnt lgkmcnt(0)
	s_add_u32 s4, s6, s2
	s_addc_u32 s5, s7, s3
	s_cmp_eq_u64 s[28:29], 0
	s_load_b32 s25, s[4:5], 0x0
	s_cselect_b32 s2, -1, 0
	s_cmp_lg_u64 s[28:29], 0
	s_cselect_b32 s33, -1, 0
	s_and_b32 s2, vcc_lo, s2
	s_delay_alu instid0(SALU_CYCLE_1)
	s_and_saveexec_b32 s3, s2
	s_cbranch_execz .LBB79_40
; %bb.37:
	s_lshl_b64 s[40:41], s[20:21], 2
	s_mov_b32 s11, exec_lo
	s_add_u32 s40, s26, s40
	s_addc_u32 s41, s27, s41
	v_mbcnt_lo_u32_b32 v2, s11, 0
	s_load_b32 s10, s[40:41], 0x0
	v_add_f32_e64 v1, s24, -1.0
	s_mov_b32 s37, exec_lo
	s_waitcnt vmcnt(0) expcnt(0) lgkmcnt(0)
	s_waitcnt_vscnt null, 0x0
	v_cmpx_eq_u32_e32 0, v2
	s_cbranch_execz .LBB79_39
; %bb.38:
	s_lshl_b64 s[40:41], s[8:9], 2
	s_delay_alu instid0(SALU_CYCLE_1) | instskip(SKIP_2) | instid1(SALU_CYCLE_1)
	s_add_u32 s40, s6, s40
	s_addc_u32 s41, s7, s41
	s_bcnt1_i32_b32 s2, s11
	s_and_b32 s2, s2, 1
	s_delay_alu instid0(SALU_CYCLE_1)
	v_dual_mov_b32 v2, 0 :: v_dual_mov_b32 v3, s2
	global_atomic_xor_b32 v2, v3, s[40:41]
.LBB79_39:
	s_or_b32 exec_lo, exec_lo, s37
	v_mul_f32_e32 v7, s10, v1
.LBB79_40:
	s_or_b32 exec_lo, exec_lo, s3
	s_load_b64 s[10:11], s[34:35], 0x8
	s_mul_i32 s2, s29, 0xc00
	s_mul_hi_u32 s3, s28, 0xc00
	s_delay_alu instid0(SALU_CYCLE_1)
	s_add_i32 s3, s3, s2
	s_mul_i32 s2, s28, 0xc00
	s_sub_u32 s37, s30, s38
	s_subb_u32 s40, s31, 0
	s_add_u32 s39, s37, s2
	s_addc_u32 s3, s40, s3
	v_add_co_u32 v1, s2, s39, v0
	s_delay_alu instid0(VALU_DEP_1) | instskip(SKIP_4) | instid1(SALU_CYCLE_1)
	v_add_co_ci_u32_e64 v2, null, s3, 0, s2
	s_mov_b32 s37, exec_lo
	s_waitcnt lgkmcnt(0)
	s_sub_u32 s10, s10, s38
	s_subb_u32 s11, s11, 0
	v_cmpx_gt_i64_e64 s[10:11], v[1:2]
	s_cbranch_execz .LBB79_44
; %bb.41:
	s_add_u32 s40, s39, 0xc00
	v_lshlrev_b64 v[3:4], 1, v[1:2]
	s_addc_u32 s41, s3, 0
	v_lshlrev_b64 v[5:6], 3, v[1:2]
	v_cmp_lt_i64_e64 s3, s[40:41], s[10:11]
	s_mov_b32 s39, 0
	s_delay_alu instid0(VALU_DEP_3) | instskip(NEXT) | instid1(VALU_DEP_1)
	v_add_co_u32 v3, s2, s16, v3
	v_add_co_ci_u32_e64 v4, s2, s17, v4, s2
	s_delay_alu instid0(VALU_DEP_3) | instskip(SKIP_1) | instid1(VALU_DEP_1)
	s_and_b32 s2, s3, exec_lo
	v_add_co_u32 v5, s2, s14, v5
	v_add_co_ci_u32_e64 v6, s2, s15, v6, s2
	s_cselect_b32 s11, s41, s11
	s_cselect_b32 s10, s40, s10
	s_set_inst_prefetch_distance 0x1
	.p2align	6
.LBB79_42:                              ; =>This Inner Loop Header: Depth=1
	global_load_b64 v[8:9], v[5:6], off
	global_load_u16 v10, v[3:4], off
	v_add_co_u32 v5, s3, 0x800, v5
	s_delay_alu instid0(VALU_DEP_1) | instskip(SKIP_2) | instid1(VALU_DEP_1)
	v_add_co_ci_u32_e64 v6, s3, 0, v6, s3
	s_waitcnt vmcnt(1)
	v_sub_co_u32 v8, s2, v8, s38
	v_subrev_co_ci_u32_e64 v9, s2, 0, v9, s2
	s_delay_alu instid0(VALU_DEP_1) | instskip(NEXT) | instid1(VALU_DEP_1)
	v_lshlrev_b64 v[8:9], 1, v[8:9]
	v_add_co_u32 v8, s2, s18, v8
	s_delay_alu instid0(VALU_DEP_1) | instskip(SKIP_1) | instid1(VALU_DEP_1)
	v_add_co_ci_u32_e64 v9, s2, s19, v9, s2
	v_add_co_u32 v1, s2, 0x100, v1
	v_add_co_ci_u32_e64 v2, s2, 0, v2, s2
	global_load_u16 v8, v[8:9], off
	s_waitcnt vmcnt(1)
	v_lshlrev_b32_e32 v9, 16, v10
	v_add_co_u32 v3, s2, 0x200, v3
	s_delay_alu instid0(VALU_DEP_1) | instskip(NEXT) | instid1(VALU_DEP_3)
	v_add_co_ci_u32_e64 v4, s2, 0, v4, s2
	v_mul_f32_e32 v9, s36, v9
	v_cmp_le_i64_e64 s2, s[10:11], v[1:2]
	s_delay_alu instid0(VALU_DEP_1) | instskip(SKIP_2) | instid1(VALU_DEP_1)
	s_or_b32 s39, s2, s39
	s_waitcnt vmcnt(0)
	v_lshlrev_b32_e32 v8, 16, v8
	v_fmac_f32_e32 v7, v9, v8
	s_and_not1_b32 exec_lo, exec_lo, s39
	s_cbranch_execnz .LBB79_42
; %bb.43:
	s_set_inst_prefetch_distance 0x2
	s_or_b32 exec_lo, exec_lo, s39
.LBB79_44:
	s_delay_alu instid0(SALU_CYCLE_1)
	s_or_b32 exec_lo, exec_lo, s37
	v_lshlrev_b32_e32 v1, 2, v0
	s_mov_b32 s3, exec_lo
	ds_store_b32 v1, v7
	s_waitcnt lgkmcnt(0)
	s_waitcnt_vscnt null, 0x0
	s_barrier
	buffer_gl0_inv
	v_cmpx_gt_u32_e32 0x80, v0
	s_cbranch_execz .LBB79_46
; %bb.45:
	ds_load_2addr_stride64_b32 v[2:3], v1 offset1:2
	s_waitcnt lgkmcnt(0)
	v_add_f32_e32 v2, v2, v3
	ds_store_b32 v1, v2
.LBB79_46:
	s_or_b32 exec_lo, exec_lo, s3
	s_delay_alu instid0(SALU_CYCLE_1)
	s_mov_b32 s3, exec_lo
	s_waitcnt lgkmcnt(0)
	s_barrier
	buffer_gl0_inv
	v_cmpx_gt_u32_e32 64, v0
	s_cbranch_execz .LBB79_48
; %bb.47:
	ds_load_2addr_stride64_b32 v[2:3], v1 offset1:1
	s_waitcnt lgkmcnt(0)
	v_add_f32_e32 v2, v2, v3
	ds_store_b32 v1, v2
.LBB79_48:
	s_or_b32 exec_lo, exec_lo, s3
	s_delay_alu instid0(SALU_CYCLE_1)
	s_mov_b32 s3, exec_lo
	s_waitcnt lgkmcnt(0)
	s_barrier
	buffer_gl0_inv
	v_cmpx_gt_u32_e32 32, v0
	s_cbranch_execz .LBB79_50
; %bb.49:
	ds_load_2addr_b32 v[2:3], v1 offset1:32
	s_waitcnt lgkmcnt(0)
	v_add_f32_e32 v2, v2, v3
	ds_store_b32 v1, v2
.LBB79_50:
	s_or_b32 exec_lo, exec_lo, s3
	s_delay_alu instid0(SALU_CYCLE_1)
	s_mov_b32 s3, exec_lo
	s_waitcnt lgkmcnt(0)
	s_barrier
	buffer_gl0_inv
	v_cmpx_gt_u32_e32 16, v0
	s_cbranch_execz .LBB79_52
; %bb.51:
	ds_load_2addr_b32 v[2:3], v1 offset1:16
	s_waitcnt lgkmcnt(0)
	v_add_f32_e32 v2, v2, v3
	ds_store_b32 v1, v2
.LBB79_52:
	;; [unrolled: 14-line block ×5, first 2 shown]
	s_or_b32 exec_lo, exec_lo, s3
	s_waitcnt lgkmcnt(0)
	s_barrier
	buffer_gl0_inv
	s_and_saveexec_b32 s2, vcc_lo
	s_cbranch_execz .LBB79_60
; %bb.59:
	v_mov_b32_e32 v3, 0
	ds_load_b64 v[1:2], v3
	s_waitcnt lgkmcnt(0)
	v_add_f32_e32 v1, v1, v2
	ds_store_b32 v3, v1
.LBB79_60:
	s_or_b32 exec_lo, exec_lo, s2
	s_waitcnt lgkmcnt(0)
	s_barrier
	buffer_gl0_inv
	s_and_saveexec_b32 s10, vcc_lo
	s_cbranch_execz .LBB79_70
; %bb.61:
	s_and_not1_b32 vcc_lo, exec_lo, s33
	s_cbranch_vccnz .LBB79_67
; %bb.62:
	s_lshl_b64 s[2:3], s[8:9], 2
	v_mov_b32_e32 v1, 0
	s_add_u32 s2, s6, s2
	s_addc_u32 s3, s7, s3
	s_branch .LBB79_64
.LBB79_63:                              ;   in Loop: Header=BB79_64 Depth=1
	s_or_b32 exec_lo, exec_lo, s6
	s_waitcnt vmcnt(0)
	v_readfirstlane_b32 s6, v2
	s_delay_alu instid0(VALU_DEP_1)
	s_cmp_eq_u32 s6, s25
	s_cbranch_scc0 .LBB79_66
.LBB79_64:                              ; =>This Inner Loop Header: Depth=1
	v_mbcnt_lo_u32_b32 v2, exec_lo, 0
	s_delay_alu instid0(VALU_DEP_1)
	v_cmp_eq_u32_e32 vcc_lo, 0, v2
                                        ; implicit-def: $vgpr2
	s_and_saveexec_b32 s6, vcc_lo
	s_cbranch_execz .LBB79_63
; %bb.65:                               ;   in Loop: Header=BB79_64 Depth=1
	global_load_b32 v2, v1, s[2:3] glc
	s_branch .LBB79_63
.LBB79_66:
	v_mov_b32_e32 v1, 0
	global_load_b32 v2, v1, s[4:5]
	s_waitcnt vmcnt(0)
	v_xor_b32_e32 v2, 1, v2
	global_store_b32 v1, v2, s[4:5]
.LBB79_67:
	s_mov_b32 s5, exec_lo
	s_mov_b32 s4, 0
	v_mbcnt_lo_u32_b32 v1, s5, 0
	s_delay_alu instid0(VALU_DEP_1) | instskip(SKIP_1) | instid1(SALU_CYCLE_1)
	v_cmp_eq_u32_e32 vcc_lo, 0, v1
	s_and_b32 s2, exec_lo, vcc_lo
	s_mov_b32 exec_lo, s2
	s_cbranch_execz .LBB79_70
; %bb.68:
	s_lshl_b64 s[2:3], s[20:21], 2
	s_delay_alu instid0(SALU_CYCLE_1) | instskip(SKIP_2) | instid1(SALU_CYCLE_1)
	s_add_u32 s2, s26, s2
	s_addc_u32 s3, s27, s3
	s_bcnt1_i32_b32 s5, s5
	v_cvt_f32_ubyte0_e32 v4, s5
	v_mov_b32_e32 v3, 0
	global_load_b32 v2, v3, s[2:3]
	ds_load_b32 v1, v3
	s_waitcnt lgkmcnt(0)
	v_mul_f32_e32 v4, v1, v4
.LBB79_69:                              ; =>This Inner Loop Header: Depth=1
	s_waitcnt vmcnt(0)
	s_delay_alu instid0(VALU_DEP_1)
	v_add_f32_e32 v1, v2, v4
	global_atomic_cmpswap_b32 v1, v3, v[1:2], s[2:3] glc
	s_waitcnt vmcnt(0)
	v_cmp_eq_u32_e32 vcc_lo, v1, v2
	v_mov_b32_e32 v2, v1
	s_or_b32 s4, vcc_lo, s4
	s_delay_alu instid0(SALU_CYCLE_1)
	s_and_not1_b32 exec_lo, exec_lo, s4
	s_cbranch_execnz .LBB79_69
.LBB79_70:
	s_or_b32 exec_lo, exec_lo, s10
.LBB79_71:
	s_mov_b32 s4, 0
.LBB79_72:
	s_delay_alu instid0(SALU_CYCLE_1)
	s_and_not1_b32 vcc_lo, exec_lo, s4
	s_cbranch_vccnz .LBB79_116
; %bb.73:
	s_load_b64 s[0:1], s[0:1], 0x8
	v_sub_co_u32 v1, s2, v0, s38
	s_delay_alu instid0(VALU_DEP_1) | instskip(SKIP_1) | instid1(VALU_DEP_2)
	v_sub_co_ci_u32_e64 v2, null, 0, 0, s2
	s_waitcnt lgkmcnt(0)
	v_add_co_u32 v1, vcc_lo, s30, v1
	s_delay_alu instid0(VALU_DEP_2) | instskip(NEXT) | instid1(VALU_DEP_2)
	v_add_co_ci_u32_e32 v2, vcc_lo, s31, v2, vcc_lo
	v_add_co_u32 v3, vcc_lo, 0x300, v1
	s_delay_alu instid0(VALU_DEP_2) | instskip(NEXT) | instid1(VALU_DEP_1)
	v_add_co_ci_u32_e32 v4, vcc_lo, 0, v2, vcc_lo
	v_cmp_le_i64_e32 vcc_lo, s[0:1], v[3:4]
	s_and_saveexec_b32 s0, vcc_lo
	s_delay_alu instid0(SALU_CYCLE_1)
	s_xor_b32 s1, exec_lo, s0
	s_cbranch_execz .LBB79_78
; %bb.74:
	s_lshl_b64 s[2:3], s[22:23], 3
	s_mov_b32 s4, exec_lo
	s_add_u32 s2, s12, s2
	s_addc_u32 s3, s13, s3
	s_load_b64 s[2:3], s[2:3], 0x0
	s_waitcnt lgkmcnt(0)
	s_sub_u32 s2, s2, s38
	s_subb_u32 s3, s3, 0
	s_delay_alu instid0(SALU_CYCLE_1)
	v_cmpx_gt_i64_e64 s[2:3], v[1:2]
	s_cbranch_execz .LBB79_77
; %bb.75:
	v_lshlrev_b64 v[3:4], 1, v[1:2]
	v_lshlrev_b64 v[5:6], 3, v[1:2]
	v_lshlrev_b32_e32 v7, 2, v0
	s_mov_b32 s5, 0
	s_delay_alu instid0(VALU_DEP_3) | instskip(NEXT) | instid1(VALU_DEP_4)
	v_add_co_u32 v3, vcc_lo, s16, v3
	v_add_co_ci_u32_e32 v4, vcc_lo, s17, v4, vcc_lo
	s_delay_alu instid0(VALU_DEP_4)
	v_add_co_u32 v5, vcc_lo, s14, v5
	v_add_co_ci_u32_e32 v6, vcc_lo, s15, v6, vcc_lo
	s_set_inst_prefetch_distance 0x1
	.p2align	6
.LBB79_76:                              ; =>This Inner Loop Header: Depth=1
	global_load_b64 v[8:9], v[5:6], off
	global_load_u16 v10, v[3:4], off
	s_waitcnt vmcnt(1)
	v_sub_co_u32 v8, vcc_lo, v8, s38
	v_subrev_co_ci_u32_e32 v9, vcc_lo, 0, v9, vcc_lo
	s_delay_alu instid0(VALU_DEP_1) | instskip(NEXT) | instid1(VALU_DEP_1)
	v_lshlrev_b64 v[8:9], 1, v[8:9]
	v_add_co_u32 v8, vcc_lo, s18, v8
	s_delay_alu instid0(VALU_DEP_2)
	v_add_co_ci_u32_e32 v9, vcc_lo, s19, v9, vcc_lo
	v_add_co_u32 v1, vcc_lo, 0x100, v1
	v_add_co_ci_u32_e32 v2, vcc_lo, 0, v2, vcc_lo
	global_load_u16 v8, v[8:9], off
	s_waitcnt vmcnt(1)
	v_lshlrev_b32_e32 v9, 16, v10
	v_add_co_u32 v3, vcc_lo, 0x200, v3
	v_add_co_ci_u32_e32 v4, vcc_lo, 0, v4, vcc_lo
	s_delay_alu instid0(VALU_DEP_3) | instskip(SKIP_3) | instid1(VALU_DEP_3)
	v_mul_f32_e32 v9, s36, v9
	v_cmp_le_i64_e64 s0, s[2:3], v[1:2]
	v_add_co_u32 v5, vcc_lo, 0x800, v5
	v_add_co_ci_u32_e32 v6, vcc_lo, 0, v6, vcc_lo
	s_or_b32 s5, s0, s5
	s_waitcnt vmcnt(0)
	v_lshlrev_b32_e32 v8, 16, v8
	s_delay_alu instid0(VALU_DEP_1)
	v_mul_f32_e32 v8, v9, v8
	ds_store_b32 v7, v8
	v_add_nc_u32_e32 v7, 0x400, v7
	s_and_not1_b32 exec_lo, exec_lo, s5
	s_cbranch_execnz .LBB79_76
.LBB79_77:
	s_set_inst_prefetch_distance 0x2
	s_or_b32 exec_lo, exec_lo, s4
                                        ; implicit-def: $vgpr1_vgpr2
.LBB79_78:
	s_or_saveexec_b32 s0, s1
	v_lshlrev_b32_e32 v9, 2, v0
	s_xor_b32 exec_lo, exec_lo, s0
	s_cbranch_execz .LBB79_80
; %bb.79:
	v_lshlrev_b64 v[3:4], 3, v[1:2]
	v_lshlrev_b64 v[1:2], 1, v[1:2]
	s_delay_alu instid0(VALU_DEP_2) | instskip(NEXT) | instid1(VALU_DEP_3)
	v_add_co_u32 v3, vcc_lo, s14, v3
	v_add_co_ci_u32_e32 v4, vcc_lo, s15, v4, vcc_lo
	s_delay_alu instid0(VALU_DEP_2)
	v_add_co_u32 v7, vcc_lo, 0x1000, v3
	global_load_b64 v[5:6], v[3:4], off
	v_add_co_ci_u32_e32 v8, vcc_lo, 0, v4, vcc_lo
	v_add_co_u32 v1, vcc_lo, s16, v1
	s_clause 0x2
	global_load_b64 v[3:4], v[3:4], off offset:2048
	global_load_b64 v[10:11], v[7:8], off
	global_load_b64 v[7:8], v[7:8], off offset:2048
	v_add_co_ci_u32_e32 v2, vcc_lo, s17, v2, vcc_lo
	s_clause 0x3
	global_load_u16 v12, v[1:2], off
	global_load_u16 v13, v[1:2], off offset:512
	global_load_u16 v14, v[1:2], off offset:1024
	;; [unrolled: 1-line block ×3, first 2 shown]
	s_waitcnt vmcnt(7)
	v_sub_co_u32 v5, vcc_lo, v5, s38
	v_subrev_co_ci_u32_e32 v6, vcc_lo, 0, v6, vcc_lo
	s_waitcnt vmcnt(6)
	v_sub_co_u32 v3, vcc_lo, v3, s38
	v_subrev_co_ci_u32_e32 v4, vcc_lo, 0, v4, vcc_lo
	s_waitcnt vmcnt(5)
	v_sub_co_u32 v10, vcc_lo, v10, s38
	v_lshlrev_b64 v[5:6], 1, v[5:6]
	v_subrev_co_ci_u32_e32 v11, vcc_lo, 0, v11, vcc_lo
	s_waitcnt vmcnt(4)
	v_sub_co_u32 v7, vcc_lo, v7, s38
	v_lshlrev_b64 v[1:2], 1, v[3:4]
	v_subrev_co_ci_u32_e32 v8, vcc_lo, 0, v8, vcc_lo
	v_lshlrev_b64 v[3:4], 1, v[10:11]
	v_add_co_u32 v5, vcc_lo, s18, v5
	v_add_co_ci_u32_e32 v6, vcc_lo, s19, v6, vcc_lo
	s_delay_alu instid0(VALU_DEP_4)
	v_lshlrev_b64 v[7:8], 1, v[7:8]
	v_add_co_u32 v1, vcc_lo, s18, v1
	v_add_co_ci_u32_e32 v2, vcc_lo, s19, v2, vcc_lo
	v_add_co_u32 v3, vcc_lo, s18, v3
	v_add_co_ci_u32_e32 v4, vcc_lo, s19, v4, vcc_lo
	;; [unrolled: 2-line block ×3, first 2 shown]
	s_clause 0x3
	global_load_u16 v5, v[5:6], off
	global_load_u16 v1, v[1:2], off
	;; [unrolled: 1-line block ×4, first 2 shown]
	s_waitcnt vmcnt(5)
	v_lshlrev_b32_e32 v7, 16, v14
	s_delay_alu instid0(VALU_DEP_1) | instskip(SKIP_1) | instid1(VALU_DEP_1)
	v_dual_mul_f32 v7, s36, v7 :: v_dual_lshlrev_b32 v4, 16, v12
	s_waitcnt vmcnt(3)
	v_dual_mul_f32 v4, s36, v4 :: v_dual_lshlrev_b32 v5, 16, v5
	s_waitcnt vmcnt(1)
	v_lshlrev_b32_e32 v2, 16, v2
	v_lshlrev_b32_e32 v1, 16, v1
	s_waitcnt vmcnt(0)
	v_dual_mul_f32 v4, v4, v5 :: v_dual_lshlrev_b32 v3, 16, v3
	s_delay_alu instid0(VALU_DEP_3) | instskip(SKIP_1) | instid1(VALU_DEP_1)
	v_mul_f32_e32 v2, v7, v2
	v_lshlrev_b32_e32 v8, 16, v15
	v_mul_f32_e32 v8, s36, v8
	s_delay_alu instid0(VALU_DEP_1) | instskip(NEXT) | instid1(VALU_DEP_1)
	v_dual_mul_f32 v3, v8, v3 :: v_dual_lshlrev_b32 v6, 16, v13
	v_mul_f32_e32 v6, s36, v6
	s_delay_alu instid0(VALU_DEP_1)
	v_mul_f32_e32 v1, v6, v1
	ds_store_2addr_stride64_b32 v9, v4, v1 offset1:4
	ds_store_2addr_stride64_b32 v9, v2, v3 offset0:8 offset1:12
.LBB79_80:
	s_or_b32 exec_lo, exec_lo, s0
	v_cmp_lt_i64_e64 s0, s[28:29], 2
	s_waitcnt lgkmcnt(0)
	s_waitcnt_vscnt null, 0x0
	s_barrier
	buffer_gl0_inv
	s_and_b32 vcc_lo, exec_lo, s0
	s_mov_b32 s0, -1
	s_cbranch_vccz .LBB79_91
; %bb.81:
	v_add_co_u32 v5, s0, s20, v0
	s_delay_alu instid0(VALU_DEP_1) | instskip(SKIP_1) | instid1(VALU_DEP_1)
	v_add_co_ci_u32_e64 v6, null, s21, 0, s0
	s_mov_b32 s1, exec_lo
	v_cmpx_gt_i64_e64 s[22:23], v[5:6]
	s_cbranch_execz .LBB79_90
; %bb.82:
	v_cmp_neq_f32_e64 s2, s24, 0
	s_lshl_b32 s0, s30, 2
	s_mov_b32 s3, 0
	s_sub_i32 s4, 0, s0
	s_branch .LBB79_84
.LBB79_83:                              ;   in Loop: Header=BB79_84 Depth=1
	v_add_co_u32 v5, vcc_lo, 0x100, v5
	v_add_co_ci_u32_e32 v6, vcc_lo, 0, v6, vcc_lo
	s_delay_alu instid0(VALU_DEP_3) | instskip(NEXT) | instid1(VALU_DEP_1)
	v_add_co_u32 v1, s0, s26, v1
	v_add_co_ci_u32_e64 v2, s0, s27, v2, s0
	s_delay_alu instid0(VALU_DEP_3) | instskip(SKIP_2) | instid1(SALU_CYCLE_1)
	v_cmp_le_i64_e32 vcc_lo, s[22:23], v[5:6]
	global_store_b32 v[1:2], v10, off
	s_or_b32 s3, vcc_lo, s3
	s_and_not1_b32 exec_lo, exec_lo, s3
	s_cbranch_execz .LBB79_90
.LBB79_84:                              ; =>This Loop Header: Depth=1
                                        ;     Child Loop BB79_86 Depth 2
	v_lshlrev_b64 v[1:2], 3, v[5:6]
	v_mov_b32_e32 v10, 0
	s_mov_b32 s0, exec_lo
	s_delay_alu instid0(VALU_DEP_2) | instskip(NEXT) | instid1(VALU_DEP_3)
	v_add_co_u32 v1, vcc_lo, s12, v1
	v_add_co_ci_u32_e32 v2, vcc_lo, s13, v2, vcc_lo
	global_load_b128 v[1:4], v[1:2], off
	s_waitcnt vmcnt(0)
	v_cmpx_lt_i64_e64 v[1:2], v[3:4]
	s_cbranch_execz .LBB79_88
; %bb.85:                               ;   in Loop: Header=BB79_84 Depth=1
	v_sub_co_u32 v3, vcc_lo, v3, s30
	v_subrev_co_ci_u32_e32 v4, vcc_lo, s31, v4, vcc_lo
	v_sub_co_u32 v7, vcc_lo, v1, s30
	v_subrev_co_ci_u32_e32 v8, vcc_lo, s31, v2, vcc_lo
	v_lshl_add_u32 v1, v1, 2, s4
	v_mov_b32_e32 v10, 0
	s_mov_b32 s5, 0
.LBB79_86:                              ;   Parent Loop BB79_84 Depth=1
                                        ; =>  This Inner Loop Header: Depth=2
	ds_load_b32 v2, v1
	v_add_co_u32 v7, vcc_lo, v7, 1
	v_add_co_ci_u32_e32 v8, vcc_lo, 0, v8, vcc_lo
	v_add_nc_u32_e32 v1, 4, v1
	s_delay_alu instid0(VALU_DEP_2)
	v_cmp_ge_i64_e32 vcc_lo, v[7:8], v[3:4]
	s_or_b32 s5, vcc_lo, s5
	s_waitcnt lgkmcnt(0)
	v_add_f32_e32 v10, v10, v2
	s_and_not1_b32 exec_lo, exec_lo, s5
	s_cbranch_execnz .LBB79_86
; %bb.87:                               ;   in Loop: Header=BB79_84 Depth=1
	s_or_b32 exec_lo, exec_lo, s5
.LBB79_88:                              ;   in Loop: Header=BB79_84 Depth=1
	s_delay_alu instid0(SALU_CYCLE_1)
	s_or_b32 exec_lo, exec_lo, s0
	v_lshlrev_b64 v[1:2], 2, v[5:6]
	s_and_b32 vcc_lo, exec_lo, s2
	s_cbranch_vccz .LBB79_83
; %bb.89:                               ;   in Loop: Header=BB79_84 Depth=1
	s_delay_alu instid0(VALU_DEP_1) | instskip(NEXT) | instid1(VALU_DEP_2)
	v_add_co_u32 v3, vcc_lo, s26, v1
	v_add_co_ci_u32_e32 v4, vcc_lo, s27, v2, vcc_lo
	global_load_b32 v3, v[3:4], off
	s_waitcnt vmcnt(0)
	v_fmac_f32_e32 v10, s24, v3
	s_branch .LBB79_83
.LBB79_90:
	s_or_b32 exec_lo, exec_lo, s1
	s_mov_b32 s0, 0
.LBB79_91:
	s_delay_alu instid0(SALU_CYCLE_1)
	s_and_not1_b32 vcc_lo, exec_lo, s0
	s_cbranch_vccnz .LBB79_116
; %bb.92:
	s_clz_i32_u32 s0, s28
	s_add_i32 s1, s28, -1
	s_min_u32 s0, s0, 32
	v_dual_mov_b32 v10, 0 :: v_dual_and_b32 v3, s1, v0
	s_sub_i32 s0, 31, s0
	s_mov_b32 s1, exec_lo
	v_lshrrev_b32_e32 v5, s0, v0
	s_delay_alu instid0(VALU_DEP_1) | instskip(NEXT) | instid1(VALU_DEP_1)
	v_add_co_u32 v1, s0, s20, v5
	v_add_co_ci_u32_e64 v2, null, s21, 0, s0
	v_and_b32_e64 v4, s0, 0
	s_delay_alu instid0(VALU_DEP_2)
	v_cmp_le_i64_e64 s0, s[22:23], v[1:2]
	v_cmpx_gt_i64_e64 s[22:23], v[1:2]
	s_cbranch_execz .LBB79_98
; %bb.93:
	v_lshlrev_b32_e32 v0, 3, v5
	s_mov_b32 s2, exec_lo
	global_load_b128 v[10:13], v0, s[34:35]
	v_sub_co_u32 v0, vcc_lo, v3, s30
	v_subrev_co_ci_u32_e32 v8, vcc_lo, s31, v4, vcc_lo
	s_waitcnt vmcnt(0)
	v_sub_co_u32 v5, vcc_lo, v12, s30
	v_subrev_co_ci_u32_e32 v6, vcc_lo, s31, v13, vcc_lo
	v_add_co_u32 v7, vcc_lo, v10, v0
	v_add_co_ci_u32_e32 v8, vcc_lo, v11, v8, vcc_lo
	v_mov_b32_e32 v10, 0
	s_delay_alu instid0(VALU_DEP_2)
	v_cmpx_lt_i64_e64 v[7:8], v[5:6]
	s_cbranch_execz .LBB79_97
; %bb.94:
	v_lshlrev_b32_e32 v0, 2, v7
	v_mov_b32_e32 v10, 0
	s_lshl_b32 s4, s28, 2
	s_mov_b32 s3, 0
.LBB79_95:                              ; =>This Inner Loop Header: Depth=1
	ds_load_b32 v11, v0
	v_add_co_u32 v7, vcc_lo, v7, s28
	v_add_co_ci_u32_e32 v8, vcc_lo, s29, v8, vcc_lo
	v_add_nc_u32_e32 v0, s4, v0
	s_delay_alu instid0(VALU_DEP_2)
	v_cmp_ge_i64_e32 vcc_lo, v[7:8], v[5:6]
	s_or_b32 s3, vcc_lo, s3
	s_waitcnt lgkmcnt(0)
	v_add_f32_e32 v10, v10, v11
	s_and_not1_b32 exec_lo, exec_lo, s3
	s_cbranch_execnz .LBB79_95
; %bb.96:
	s_or_b32 exec_lo, exec_lo, s3
.LBB79_97:
	s_delay_alu instid0(SALU_CYCLE_1)
	s_or_b32 exec_lo, exec_lo, s2
.LBB79_98:
	s_delay_alu instid0(SALU_CYCLE_1)
	s_or_b32 exec_lo, exec_lo, s1
	v_cmp_gt_i64_e64 s1, 0x81, s[28:29]
	s_waitcnt_vscnt null, 0x0
	s_barrier
	buffer_gl0_inv
	ds_store_b32 v9, v10
	s_waitcnt lgkmcnt(0)
	s_and_b32 vcc_lo, exec_lo, s1
	s_barrier
	buffer_gl0_inv
	s_cbranch_vccnz .LBB79_100
; %bb.99:
	ds_load_b32 v0, v9 offset:512
	s_waitcnt lgkmcnt(0)
	s_barrier
	buffer_gl0_inv
	v_add_f32_e32 v10, v10, v0
	ds_store_b32 v9, v10
.LBB79_100:
	v_cmp_gt_i64_e64 s1, 0x41, s[28:29]
	s_waitcnt lgkmcnt(0)
	s_barrier
	buffer_gl0_inv
	s_and_b32 vcc_lo, exec_lo, s1
	s_cbranch_vccnz .LBB79_102
; %bb.101:
	ds_load_b32 v0, v9 offset:256
	s_waitcnt lgkmcnt(0)
	s_barrier
	buffer_gl0_inv
	v_add_f32_e32 v10, v10, v0
	ds_store_b32 v9, v10
.LBB79_102:
	v_cmp_lt_i64_e64 s1, s[28:29], 33
	s_waitcnt lgkmcnt(0)
	s_barrier
	buffer_gl0_inv
	s_and_b32 vcc_lo, exec_lo, s1
	s_cbranch_vccnz .LBB79_104
; %bb.103:
	ds_load_b32 v0, v9 offset:128
	s_waitcnt lgkmcnt(0)
	s_barrier
	buffer_gl0_inv
	v_add_f32_e32 v10, v10, v0
	ds_store_b32 v9, v10
.LBB79_104:
	v_cmp_lt_i64_e64 s1, s[28:29], 17
	;; [unrolled: 14-line block ×4, first 2 shown]
	s_waitcnt lgkmcnt(0)
	s_barrier
	buffer_gl0_inv
	s_and_b32 vcc_lo, exec_lo, s1
	s_cbranch_vccnz .LBB79_110
; %bb.109:
	ds_load_b32 v0, v9 offset:16
	s_waitcnt lgkmcnt(0)
	s_barrier
	buffer_gl0_inv
	v_add_f32_e32 v10, v10, v0
	ds_store_b32 v9, v10
.LBB79_110:
	s_cmp_eq_u64 s[28:29], 2
	s_waitcnt lgkmcnt(0)
	s_barrier
	buffer_gl0_inv
	s_cbranch_scc1 .LBB79_112
; %bb.111:
	ds_load_b32 v0, v9 offset:8
	s_waitcnt lgkmcnt(0)
	s_barrier
	buffer_gl0_inv
	v_add_f32_e32 v10, v10, v0
	ds_store_b32 v9, v10
.LBB79_112:
	s_waitcnt lgkmcnt(0)
	s_barrier
	buffer_gl0_inv
	ds_load_b32 v0, v9 offset:4
	v_cmp_eq_u64_e32 vcc_lo, 0, v[3:4]
	s_xor_b32 s0, s0, -1
	s_waitcnt lgkmcnt(0)
	s_barrier
	buffer_gl0_inv
	s_and_b32 s0, vcc_lo, s0
	v_add_f32_e32 v3, v10, v0
	ds_store_b32 v9, v3
	s_and_saveexec_b32 s1, s0
	s_cbranch_execz .LBB79_116
; %bb.113:
	v_cmp_eq_f32_e64 s0, s24, 0
	v_lshlrev_b64 v[0:1], 2, v[1:2]
	s_delay_alu instid0(VALU_DEP_2)
	s_and_b32 vcc_lo, exec_lo, s0
	s_cbranch_vccnz .LBB79_115
; %bb.114:
	s_delay_alu instid0(VALU_DEP_1) | instskip(NEXT) | instid1(VALU_DEP_2)
	v_add_co_u32 v4, vcc_lo, s26, v0
	v_add_co_ci_u32_e32 v5, vcc_lo, s27, v1, vcc_lo
	global_load_b32 v2, v[4:5], off
	s_waitcnt vmcnt(0)
	v_fmac_f32_e32 v3, s24, v2
.LBB79_115:
	s_delay_alu instid0(VALU_DEP_1) | instskip(NEXT) | instid1(VALU_DEP_2)
	v_add_co_u32 v0, vcc_lo, s26, v0
	v_add_co_ci_u32_e32 v1, vcc_lo, s27, v1, vcc_lo
	global_store_b32 v[0:1], v3, off
.LBB79_116:
	s_nop 0
	s_sendmsg sendmsg(MSG_DEALLOC_VGPRS)
	s_endpgm
	.section	.rodata,"a",@progbits
	.p2align	6, 0x0
	.amdhsa_kernel _ZN9rocsparseL22csrmvn_adaptive_kernelIll18rocsparse_bfloat16S1_ffEEvbT_PKS2_PjPKT0_NS_24const_host_device_scalarIT4_EES4_S8_PKT1_PKT2_SB_PT3_21rocsparse_index_base_b
		.amdhsa_group_segment_fixed_size 4096
		.amdhsa_private_segment_fixed_size 0
		.amdhsa_kernarg_size 104
		.amdhsa_user_sgpr_count 15
		.amdhsa_user_sgpr_dispatch_ptr 0
		.amdhsa_user_sgpr_queue_ptr 0
		.amdhsa_user_sgpr_kernarg_segment_ptr 1
		.amdhsa_user_sgpr_dispatch_id 0
		.amdhsa_user_sgpr_private_segment_size 0
		.amdhsa_wavefront_size32 1
		.amdhsa_uses_dynamic_stack 0
		.amdhsa_enable_private_segment 0
		.amdhsa_system_sgpr_workgroup_id_x 1
		.amdhsa_system_sgpr_workgroup_id_y 0
		.amdhsa_system_sgpr_workgroup_id_z 0
		.amdhsa_system_sgpr_workgroup_info 0
		.amdhsa_system_vgpr_workitem_id 0
		.amdhsa_next_free_vgpr 16
		.amdhsa_next_free_sgpr 50
		.amdhsa_reserve_vcc 1
		.amdhsa_float_round_mode_32 0
		.amdhsa_float_round_mode_16_64 0
		.amdhsa_float_denorm_mode_32 3
		.amdhsa_float_denorm_mode_16_64 3
		.amdhsa_dx10_clamp 1
		.amdhsa_ieee_mode 1
		.amdhsa_fp16_overflow 0
		.amdhsa_workgroup_processor_mode 1
		.amdhsa_memory_ordered 1
		.amdhsa_forward_progress 0
		.amdhsa_shared_vgpr_count 0
		.amdhsa_exception_fp_ieee_invalid_op 0
		.amdhsa_exception_fp_denorm_src 0
		.amdhsa_exception_fp_ieee_div_zero 0
		.amdhsa_exception_fp_ieee_overflow 0
		.amdhsa_exception_fp_ieee_underflow 0
		.amdhsa_exception_fp_ieee_inexact 0
		.amdhsa_exception_int_div_zero 0
	.end_amdhsa_kernel
	.section	.text._ZN9rocsparseL22csrmvn_adaptive_kernelIll18rocsparse_bfloat16S1_ffEEvbT_PKS2_PjPKT0_NS_24const_host_device_scalarIT4_EES4_S8_PKT1_PKT2_SB_PT3_21rocsparse_index_base_b,"axG",@progbits,_ZN9rocsparseL22csrmvn_adaptive_kernelIll18rocsparse_bfloat16S1_ffEEvbT_PKS2_PjPKT0_NS_24const_host_device_scalarIT4_EES4_S8_PKT1_PKT2_SB_PT3_21rocsparse_index_base_b,comdat
.Lfunc_end79:
	.size	_ZN9rocsparseL22csrmvn_adaptive_kernelIll18rocsparse_bfloat16S1_ffEEvbT_PKS2_PjPKT0_NS_24const_host_device_scalarIT4_EES4_S8_PKT1_PKT2_SB_PT3_21rocsparse_index_base_b, .Lfunc_end79-_ZN9rocsparseL22csrmvn_adaptive_kernelIll18rocsparse_bfloat16S1_ffEEvbT_PKS2_PjPKT0_NS_24const_host_device_scalarIT4_EES4_S8_PKT1_PKT2_SB_PT3_21rocsparse_index_base_b
                                        ; -- End function
	.section	.AMDGPU.csdata,"",@progbits
; Kernel info:
; codeLenInByte = 4884
; NumSgprs: 52
; NumVgprs: 16
; ScratchSize: 0
; MemoryBound: 0
; FloatMode: 240
; IeeeMode: 1
; LDSByteSize: 4096 bytes/workgroup (compile time only)
; SGPRBlocks: 6
; VGPRBlocks: 1
; NumSGPRsForWavesPerEU: 52
; NumVGPRsForWavesPerEU: 16
; Occupancy: 16
; WaveLimiterHint : 1
; COMPUTE_PGM_RSRC2:SCRATCH_EN: 0
; COMPUTE_PGM_RSRC2:USER_SGPR: 15
; COMPUTE_PGM_RSRC2:TRAP_HANDLER: 0
; COMPUTE_PGM_RSRC2:TGID_X_EN: 1
; COMPUTE_PGM_RSRC2:TGID_Y_EN: 0
; COMPUTE_PGM_RSRC2:TGID_Z_EN: 0
; COMPUTE_PGM_RSRC2:TIDIG_COMP_CNT: 0
	.section	.text._ZN9rocsparseL27csrmvn_symm_adaptive_kernelIll18rocsparse_bfloat16S1_ffEEvbT_S2_PKS2_NS_24const_host_device_scalarIT4_EES4_PKT0_PKT1_PKT2_S7_PT3_21rocsparse_index_base_b,"axG",@progbits,_ZN9rocsparseL27csrmvn_symm_adaptive_kernelIll18rocsparse_bfloat16S1_ffEEvbT_S2_PKS2_NS_24const_host_device_scalarIT4_EES4_PKT0_PKT1_PKT2_S7_PT3_21rocsparse_index_base_b,comdat
	.globl	_ZN9rocsparseL27csrmvn_symm_adaptive_kernelIll18rocsparse_bfloat16S1_ffEEvbT_S2_PKS2_NS_24const_host_device_scalarIT4_EES4_PKT0_PKT1_PKT2_S7_PT3_21rocsparse_index_base_b ; -- Begin function _ZN9rocsparseL27csrmvn_symm_adaptive_kernelIll18rocsparse_bfloat16S1_ffEEvbT_S2_PKS2_NS_24const_host_device_scalarIT4_EES4_PKT0_PKT1_PKT2_S7_PT3_21rocsparse_index_base_b
	.p2align	8
	.type	_ZN9rocsparseL27csrmvn_symm_adaptive_kernelIll18rocsparse_bfloat16S1_ffEEvbT_S2_PKS2_NS_24const_host_device_scalarIT4_EES4_PKT0_PKT1_PKT2_S7_PT3_21rocsparse_index_base_b,@function
_ZN9rocsparseL27csrmvn_symm_adaptive_kernelIll18rocsparse_bfloat16S1_ffEEvbT_S2_PKS2_NS_24const_host_device_scalarIT4_EES4_PKT0_PKT1_PKT2_S7_PT3_21rocsparse_index_base_b: ; @_ZN9rocsparseL27csrmvn_symm_adaptive_kernelIll18rocsparse_bfloat16S1_ffEEvbT_S2_PKS2_NS_24const_host_device_scalarIT4_EES4_PKT0_PKT1_PKT2_S7_PT3_21rocsparse_index_base_b
; %bb.0:
	s_clause 0x2
	s_load_b64 s[24:25], s[0:1], 0x58
	s_load_b64 s[30:31], s[0:1], 0x20
	;; [unrolled: 1-line block ×3, first 2 shown]
	s_mov_b32 s2, s15
	s_waitcnt lgkmcnt(0)
	s_bitcmp1_b32 s25, 0
	s_cselect_b32 s3, -1, 0
	s_delay_alu instid0(SALU_CYCLE_1)
	s_and_b32 vcc_lo, exec_lo, s3
	s_xor_b32 s3, s3, -1
	s_cbranch_vccnz .LBB80_2
; %bb.1:
	s_load_b32 s30, s[30:31], 0x0
.LBB80_2:
	s_and_not1_b32 vcc_lo, exec_lo, s3
	s_cbranch_vccnz .LBB80_4
; %bb.3:
	s_load_b32 s4, s[4:5], 0x0
.LBB80_4:
	s_waitcnt lgkmcnt(0)
	v_cmp_neq_f32_e64 s3, s30, 0
	v_cmp_neq_f32_e64 s4, s4, 1.0
	s_delay_alu instid0(VALU_DEP_1) | instskip(NEXT) | instid1(SALU_CYCLE_1)
	s_or_b32 s3, s3, s4
	s_and_not1_b32 vcc_lo, exec_lo, s3
	s_cbranch_vccnz .LBB80_164
; %bb.5:
	s_load_b64 s[4:5], s[0:1], 0x18
	s_ashr_i32 s3, s2, 31
	v_dual_mov_b32 v1, 0 :: v_dual_lshlrev_b32 v14, 2, v0
	s_lshl_b64 s[2:3], s[2:3], 3
	ds_store_2addr_stride64_b32 v14, v1, v1 offset1:4
	ds_store_2addr_stride64_b32 v14, v1, v1 offset0:8 offset1:12
	s_waitcnt lgkmcnt(0)
	s_barrier
	buffer_gl0_inv
	s_add_u32 s2, s4, s2
	s_addc_u32 s3, s5, s3
	s_load_b128 s[16:19], s[2:3], 0x0
	s_clause 0x1
	s_load_b256 s[8:15], s[0:1], 0x28
	s_load_b64 s[20:21], s[0:1], 0x50
	s_waitcnt lgkmcnt(0)
	s_sub_u32 s22, s18, s16
	s_subb_u32 s23, s19, s17
	s_delay_alu instid0(SALU_CYCLE_1) | instskip(NEXT) | instid1(VALU_DEP_1)
	v_cmp_gt_i64_e64 s2, s[22:23], 2
	s_and_b32 vcc_lo, exec_lo, s2
	s_mov_b32 s2, -1
	s_cbranch_vccnz .LBB80_40
; %bb.6:
	v_cmp_gt_i64_e64 s2, s[18:19], s[16:17]
	v_sub_co_u32 v7, s3, v0, s24
	s_delay_alu instid0(VALU_DEP_1) | instskip(NEXT) | instid1(VALU_DEP_3)
	v_sub_co_ci_u32_e64 v8, null, 0, 0, s3
	s_and_b32 vcc_lo, exec_lo, s2
	s_mov_b32 s2, 0
	s_cbranch_vccnz .LBB80_8
; %bb.7:
	s_lshl_b64 s[4:5], s[16:17], 3
	s_delay_alu instid0(SALU_CYCLE_1)
	s_add_u32 s4, s8, s4
	s_addc_u32 s5, s9, s5
	s_load_b64 s[26:27], s[4:5], 0x0
	s_and_not1_b32 vcc_lo, exec_lo, s2
	s_cbranch_vccz .LBB80_9
	s_branch .LBB80_29
.LBB80_8:
                                        ; implicit-def: $sgpr26_sgpr27
.LBB80_9:
	s_lshl_b64 s[2:3], s[16:17], 3
	v_cmp_gt_u32_e64 s4, 16, v0
	s_add_u32 s2, s8, s2
	s_addc_u32 s3, s9, s3
	v_cmp_gt_u32_e64 s5, 4, v0
	s_waitcnt lgkmcnt(0)
	s_load_b64 s[26:27], s[2:3], 0x0
	v_cmp_gt_u32_e64 s2, 0x100, v0
	v_cmp_gt_u32_e64 s3, 64, v0
	v_cmp_eq_u32_e64 s6, 0, v0
	v_mov_b32_e32 v9, 0
	s_add_u32 s25, s8, 8
	s_addc_u32 s31, s9, 0
	s_mov_b64 s[28:29], s[16:17]
	s_waitcnt lgkmcnt(0)
	s_mov_b64 s[34:35], s[26:27]
	s_branch .LBB80_11
.LBB80_10:                              ;   in Loop: Header=BB80_11 Depth=1
	s_or_b32 exec_lo, exec_lo, s7
	s_add_u32 s28, s28, 1
	s_addc_u32 s29, s29, 0
	s_delay_alu instid0(SALU_CYCLE_1) | instskip(NEXT) | instid1(VALU_DEP_1)
	v_cmp_ge_i64_e64 s7, s[28:29], s[18:19]
	s_and_b32 vcc_lo, exec_lo, s7
	s_cbranch_vccnz .LBB80_29
.LBB80_11:                              ; =>This Loop Header: Depth=1
                                        ;     Child Loop BB80_13 Depth 2
                                        ;     Child Loop BB80_28 Depth 2
	s_lshl_b64 s[36:37], s[28:29], 3
	s_mov_b64 s[38:39], s[34:35]
	s_add_u32 s36, s25, s36
	s_addc_u32 s37, s31, s37
	v_add_co_u32 v1, vcc_lo, s38, v7
	s_load_b64 s[34:35], s[36:37], 0x0
	v_add_co_ci_u32_e32 v2, vcc_lo, s39, v8, vcc_lo
	v_mov_b32_e32 v10, 0
	s_mov_b32 s33, exec_lo
	s_waitcnt lgkmcnt(0)
	s_sub_u32 s36, s34, s24
	s_subb_u32 s37, s35, 0
	s_delay_alu instid0(SALU_CYCLE_1)
	v_cmpx_gt_i64_e64 s[36:37], v[1:2]
	s_cbranch_execz .LBB80_15
; %bb.12:                               ;   in Loop: Header=BB80_11 Depth=1
	v_lshlrev_b64 v[3:4], 3, v[1:2]
	v_lshlrev_b64 v[5:6], 1, v[1:2]
	v_mov_b32_e32 v10, 0
	s_mov_b32 s38, 0
	s_delay_alu instid0(VALU_DEP_3) | instskip(NEXT) | instid1(VALU_DEP_4)
	v_add_co_u32 v3, vcc_lo, s10, v3
	v_add_co_ci_u32_e32 v4, vcc_lo, s11, v4, vcc_lo
	s_delay_alu instid0(VALU_DEP_4)
	v_add_co_u32 v5, vcc_lo, s12, v5
	v_add_co_ci_u32_e32 v6, vcc_lo, s13, v6, vcc_lo
	s_set_inst_prefetch_distance 0x1
	.p2align	6
.LBB80_13:                              ;   Parent Loop BB80_11 Depth=1
                                        ; =>  This Inner Loop Header: Depth=2
	global_load_b64 v[11:12], v[3:4], off
	s_waitcnt vmcnt(0)
	v_sub_co_u32 v11, vcc_lo, v11, s24
	v_subrev_co_ci_u32_e32 v12, vcc_lo, 0, v12, vcc_lo
	s_delay_alu instid0(VALU_DEP_1) | instskip(NEXT) | instid1(VALU_DEP_1)
	v_lshlrev_b64 v[11:12], 1, v[11:12]
	v_add_co_u32 v11, vcc_lo, s14, v11
	s_delay_alu instid0(VALU_DEP_2)
	v_add_co_ci_u32_e32 v12, vcc_lo, s15, v12, vcc_lo
	v_add_co_u32 v1, vcc_lo, 0x100, v1
	global_load_u16 v13, v[5:6], off
	global_load_u16 v11, v[11:12], off
	v_add_co_ci_u32_e32 v2, vcc_lo, 0, v2, vcc_lo
	v_add_co_u32 v3, vcc_lo, 0x800, v3
	v_add_co_ci_u32_e32 v4, vcc_lo, 0, v4, vcc_lo
	s_delay_alu instid0(VALU_DEP_3) | instskip(SKIP_1) | instid1(VALU_DEP_1)
	v_cmp_le_i64_e32 vcc_lo, s[36:37], v[1:2]
	v_add_co_u32 v5, s7, 0x200, v5
	v_add_co_ci_u32_e64 v6, s7, 0, v6, s7
	s_or_b32 s38, vcc_lo, s38
	s_waitcnt vmcnt(1)
	v_lshlrev_b32_e32 v12, 16, v13
	s_waitcnt vmcnt(0)
	v_lshlrev_b32_e32 v11, 16, v11
	s_delay_alu instid0(VALU_DEP_1)
	v_fmac_f32_e32 v10, v12, v11
	s_and_not1_b32 exec_lo, exec_lo, s38
	s_cbranch_execnz .LBB80_13
; %bb.14:                               ;   in Loop: Header=BB80_11 Depth=1
	s_set_inst_prefetch_distance 0x2
	s_or_b32 exec_lo, exec_lo, s38
.LBB80_15:                              ;   in Loop: Header=BB80_11 Depth=1
	s_delay_alu instid0(SALU_CYCLE_1)
	s_or_b32 exec_lo, exec_lo, s33
	ds_store_b32 v14, v10
	s_waitcnt lgkmcnt(0)
	s_barrier
	buffer_gl0_inv
	s_and_saveexec_b32 s7, s2
	s_cbranch_execz .LBB80_17
; %bb.16:                               ;   in Loop: Header=BB80_11 Depth=1
	ds_load_2addr_stride64_b32 v[1:2], v14 offset1:4
	ds_load_2addr_stride64_b32 v[3:4], v14 offset0:8 offset1:12
	s_waitcnt lgkmcnt(0)
	v_add_f32_e32 v2, v2, v3
	s_delay_alu instid0(VALU_DEP_1) | instskip(NEXT) | instid1(VALU_DEP_1)
	v_add_f32_e32 v2, v2, v4
	v_add_f32_e32 v1, v1, v2
	ds_store_b32 v14, v1
.LBB80_17:                              ;   in Loop: Header=BB80_11 Depth=1
	s_or_b32 exec_lo, exec_lo, s7
	s_waitcnt lgkmcnt(0)
	s_barrier
	buffer_gl0_inv
	s_and_saveexec_b32 s7, s3
	s_cbranch_execz .LBB80_19
; %bb.18:                               ;   in Loop: Header=BB80_11 Depth=1
	ds_load_2addr_stride64_b32 v[1:2], v14 offset1:1
	ds_load_2addr_stride64_b32 v[3:4], v14 offset0:2 offset1:3
	s_waitcnt lgkmcnt(0)
	v_add_f32_e32 v2, v2, v3
	s_delay_alu instid0(VALU_DEP_1) | instskip(NEXT) | instid1(VALU_DEP_1)
	v_add_f32_e32 v2, v2, v4
	v_add_f32_e32 v1, v1, v2
	ds_store_b32 v14, v1
.LBB80_19:                              ;   in Loop: Header=BB80_11 Depth=1
	s_or_b32 exec_lo, exec_lo, s7
	s_waitcnt lgkmcnt(0)
	s_barrier
	buffer_gl0_inv
	s_and_saveexec_b32 s7, s4
	s_cbranch_execz .LBB80_21
; %bb.20:                               ;   in Loop: Header=BB80_11 Depth=1
	ds_load_2addr_b32 v[1:2], v14 offset1:16
	ds_load_2addr_b32 v[3:4], v14 offset0:32 offset1:48
	s_waitcnt lgkmcnt(0)
	v_add_f32_e32 v2, v2, v3
	s_delay_alu instid0(VALU_DEP_1) | instskip(NEXT) | instid1(VALU_DEP_1)
	v_add_f32_e32 v2, v2, v4
	v_add_f32_e32 v1, v1, v2
	ds_store_b32 v14, v1
.LBB80_21:                              ;   in Loop: Header=BB80_11 Depth=1
	s_or_b32 exec_lo, exec_lo, s7
	s_waitcnt lgkmcnt(0)
	s_barrier
	buffer_gl0_inv
	s_and_saveexec_b32 s7, s5
	s_cbranch_execz .LBB80_23
; %bb.22:                               ;   in Loop: Header=BB80_11 Depth=1
	ds_load_2addr_b32 v[1:2], v14 offset1:4
	ds_load_2addr_b32 v[3:4], v14 offset0:8 offset1:12
	s_waitcnt lgkmcnt(0)
	v_add_f32_e32 v2, v2, v3
	s_delay_alu instid0(VALU_DEP_1) | instskip(NEXT) | instid1(VALU_DEP_1)
	v_add_f32_e32 v2, v2, v4
	v_add_f32_e32 v1, v1, v2
	ds_store_b32 v14, v1
.LBB80_23:                              ;   in Loop: Header=BB80_11 Depth=1
	s_or_b32 exec_lo, exec_lo, s7
	s_waitcnt lgkmcnt(0)
	s_barrier
	buffer_gl0_inv
	s_and_saveexec_b32 s7, s6
	s_cbranch_execz .LBB80_25
; %bb.24:                               ;   in Loop: Header=BB80_11 Depth=1
	ds_load_2addr_b32 v[1:2], v9 offset0:1 offset1:2
	ds_load_b32 v3, v9 offset:12
	ds_load_b32 v4, v14
	s_waitcnt lgkmcnt(2)
	v_add_f32_e32 v1, v1, v2
	s_waitcnt lgkmcnt(1)
	s_delay_alu instid0(VALU_DEP_1) | instskip(SKIP_1) | instid1(VALU_DEP_1)
	v_add_f32_e32 v1, v1, v3
	s_waitcnt lgkmcnt(0)
	v_add_f32_e32 v1, v4, v1
	ds_store_b32 v14, v1
.LBB80_25:                              ;   in Loop: Header=BB80_11 Depth=1
	s_or_b32 exec_lo, exec_lo, s7
	s_waitcnt lgkmcnt(0)
	s_barrier
	buffer_gl0_inv
	s_and_saveexec_b32 s7, s6
	s_cbranch_execz .LBB80_10
; %bb.26:                               ;   in Loop: Header=BB80_11 Depth=1
	s_mov_b32 s33, exec_lo
	s_delay_alu instid0(SALU_CYCLE_1) | instskip(NEXT) | instid1(VALU_DEP_1)
	v_mbcnt_lo_u32_b32 v1, s33, 0
	v_cmp_eq_u32_e32 vcc_lo, 0, v1
	s_and_b32 s36, exec_lo, vcc_lo
	s_delay_alu instid0(SALU_CYCLE_1)
	s_mov_b32 exec_lo, s36
	s_cbranch_execz .LBB80_10
; %bb.27:                               ;   in Loop: Header=BB80_11 Depth=1
	s_lshl_b64 s[36:37], s[28:29], 2
	ds_load_b32 v1, v9
	s_add_u32 s36, s20, s36
	s_addc_u32 s37, s21, s37
	s_bcnt1_i32_b32 s33, s33
	global_load_b32 v2, v9, s[36:37]
	v_cvt_f32_ubyte0_e32 v3, s33
	s_mov_b32 s33, 0
	s_waitcnt lgkmcnt(0)
	v_mul_f32_e32 v1, s30, v1
	s_delay_alu instid0(VALU_DEP_1)
	v_mul_f32_e32 v3, v1, v3
.LBB80_28:                              ;   Parent Loop BB80_11 Depth=1
                                        ; =>  This Inner Loop Header: Depth=2
	s_waitcnt vmcnt(0)
	s_delay_alu instid0(VALU_DEP_1)
	v_add_f32_e32 v1, v2, v3
	global_atomic_cmpswap_b32 v1, v9, v[1:2], s[36:37] glc
	s_waitcnt vmcnt(0)
	v_cmp_eq_u32_e32 vcc_lo, v1, v2
	v_mov_b32_e32 v2, v1
	s_or_b32 s33, vcc_lo, s33
	s_delay_alu instid0(SALU_CYCLE_1)
	s_and_not1_b32 exec_lo, exec_lo, s33
	s_cbranch_execnz .LBB80_28
	s_branch .LBB80_10
.LBB80_29:
	s_lshl_b64 s[2:3], s[18:19], 3
	s_waitcnt lgkmcnt(0)
	v_add_co_u32 v1, vcc_lo, s26, v7
	s_add_u32 s2, s8, s2
	s_addc_u32 s3, s9, s3
	v_add_co_ci_u32_e32 v2, vcc_lo, s27, v8, vcc_lo
	s_load_b64 s[2:3], s[2:3], 0x0
	s_waitcnt lgkmcnt(0)
	s_sub_u32 s4, s2, s24
	s_subb_u32 s5, s3, 0
	s_mov_b32 s3, exec_lo
	v_cmpx_gt_i64_e64 s[4:5], v[1:2]
	s_cbranch_execz .LBB80_39
; %bb.30:
	s_add_u32 s6, s18, -1
	s_addc_u32 s7, s19, -1
	s_add_u32 s26, s18, -2
	v_cmp_gt_i64_e64 s2, s[6:7], s[16:17]
	s_addc_u32 s27, s19, -1
	s_delay_alu instid0(SALU_CYCLE_1)
	s_cmp_lg_u64 s[26:27], s[16:17]
	s_mov_b32 s26, 0
	s_cselect_b32 s25, -1, 0
	s_delay_alu instid0(VALU_DEP_1) | instid1(SALU_CYCLE_1)
	s_and_b32 s25, s2, s25
	s_branch .LBB80_32
.LBB80_31:                              ;   in Loop: Header=BB80_32 Depth=1
	s_or_b32 exec_lo, exec_lo, s2
	v_add_co_u32 v1, vcc_lo, 0x100, v1
	v_add_co_ci_u32_e32 v2, vcc_lo, 0, v2, vcc_lo
	s_delay_alu instid0(VALU_DEP_1) | instskip(SKIP_1) | instid1(SALU_CYCLE_1)
	v_cmp_le_i64_e32 vcc_lo, s[4:5], v[1:2]
	s_or_b32 s26, vcc_lo, s26
	s_and_not1_b32 exec_lo, exec_lo, s26
	s_cbranch_execz .LBB80_39
.LBB80_32:                              ; =>This Loop Header: Depth=1
                                        ;     Child Loop BB80_34 Depth 2
                                        ;     Child Loop BB80_38 Depth 2
	v_dual_mov_b32 v3, s16 :: v_dual_mov_b32 v4, s17
	v_dual_mov_b32 v5, s6 :: v_dual_mov_b32 v6, s7
	s_and_not1_b32 vcc_lo, exec_lo, s25
	s_cbranch_vccnz .LBB80_36
; %bb.33:                               ;   in Loop: Header=BB80_32 Depth=1
	v_dual_mov_b32 v3, s16 :: v_dual_mov_b32 v4, s17
	v_dual_mov_b32 v5, s6 :: v_dual_mov_b32 v6, s7
	s_mov_b32 s27, 0
	s_set_inst_prefetch_distance 0x1
	.p2align	6
.LBB80_34:                              ;   Parent Loop BB80_32 Depth=1
                                        ; =>  This Inner Loop Header: Depth=2
	s_delay_alu instid0(VALU_DEP_1) | instskip(NEXT) | instid1(VALU_DEP_2)
	v_add_co_u32 v7, vcc_lo, v5, v3
	v_add_co_ci_u32_e32 v8, vcc_lo, v6, v4, vcc_lo
	s_delay_alu instid0(VALU_DEP_1) | instskip(NEXT) | instid1(VALU_DEP_1)
	v_lshrrev_b32_e32 v9, 31, v8
	v_add_co_u32 v7, vcc_lo, v7, v9
	v_add_co_ci_u32_e32 v8, vcc_lo, 0, v8, vcc_lo
	s_delay_alu instid0(VALU_DEP_1) | instskip(NEXT) | instid1(VALU_DEP_1)
	v_ashrrev_i64 v[7:8], 1, v[7:8]
	v_lshlrev_b64 v[9:10], 3, v[7:8]
	s_delay_alu instid0(VALU_DEP_1) | instskip(NEXT) | instid1(VALU_DEP_2)
	v_add_co_u32 v9, vcc_lo, s8, v9
	v_add_co_ci_u32_e32 v10, vcc_lo, s9, v10, vcc_lo
	global_load_b64 v[9:10], v[9:10], off
	s_waitcnt vmcnt(0)
	v_sub_co_u32 v9, vcc_lo, v9, s24
	v_subrev_co_ci_u32_e32 v10, vcc_lo, 0, v10, vcc_lo
	s_delay_alu instid0(VALU_DEP_1) | instskip(SKIP_2) | instid1(VALU_DEP_2)
	v_cmp_gt_i64_e32 vcc_lo, v[9:10], v[1:2]
	v_dual_cndmask_b32 v6, v6, v8 :: v_dual_cndmask_b32 v5, v5, v7
	v_dual_cndmask_b32 v4, v8, v4 :: v_dual_cndmask_b32 v3, v7, v3
	v_add_co_u32 v7, vcc_lo, v5, -1
	s_delay_alu instid0(VALU_DEP_3) | instskip(NEXT) | instid1(VALU_DEP_3)
	v_add_co_ci_u32_e32 v8, vcc_lo, -1, v6, vcc_lo
	v_cmp_ge_i64_e32 vcc_lo, v[3:4], v[5:6]
	s_delay_alu instid0(VALU_DEP_2) | instskip(NEXT) | instid1(VALU_DEP_1)
	v_cmp_eq_u64_e64 s2, v[3:4], v[7:8]
	s_or_b32 s2, vcc_lo, s2
	s_delay_alu instid0(SALU_CYCLE_1) | instskip(NEXT) | instid1(SALU_CYCLE_1)
	s_and_b32 s2, exec_lo, s2
	s_or_b32 s27, s2, s27
	s_delay_alu instid0(SALU_CYCLE_1)
	s_and_not1_b32 exec_lo, exec_lo, s27
	s_cbranch_execnz .LBB80_34
; %bb.35:                               ;   in Loop: Header=BB80_32 Depth=1
	s_set_inst_prefetch_distance 0x2
	s_or_b32 exec_lo, exec_lo, s27
.LBB80_36:                              ;   in Loop: Header=BB80_32 Depth=1
	s_delay_alu instid0(VALU_DEP_1) | instskip(SKIP_2) | instid1(VALU_DEP_2)
	v_lshlrev_b64 v[7:8], 3, v[5:6]
	v_lshlrev_b64 v[9:10], 3, v[1:2]
	s_mov_b32 s2, exec_lo
	v_add_co_u32 v7, vcc_lo, s8, v7
	s_delay_alu instid0(VALU_DEP_3) | instskip(NEXT) | instid1(VALU_DEP_3)
	v_add_co_ci_u32_e32 v8, vcc_lo, s9, v8, vcc_lo
	v_add_co_u32 v9, vcc_lo, s10, v9
	s_delay_alu instid0(VALU_DEP_4)
	v_add_co_ci_u32_e32 v10, vcc_lo, s11, v10, vcc_lo
	global_load_b64 v[7:8], v[7:8], off
	global_load_b64 v[9:10], v[9:10], off
	s_waitcnt vmcnt(1)
	v_sub_co_u32 v7, vcc_lo, v7, s24
	v_subrev_co_ci_u32_e32 v8, vcc_lo, 0, v8, vcc_lo
	s_delay_alu instid0(VALU_DEP_1) | instskip(SKIP_4) | instid1(VALU_DEP_1)
	v_cmp_gt_i64_e32 vcc_lo, v[7:8], v[1:2]
	v_dual_cndmask_b32 v6, v6, v4 :: v_dual_cndmask_b32 v5, v5, v3
	s_waitcnt vmcnt(0)
	v_sub_co_u32 v3, vcc_lo, v9, s24
	v_subrev_co_ci_u32_e32 v4, vcc_lo, 0, v10, vcc_lo
	v_cmpx_ne_u64_e64 v[3:4], v[5:6]
	s_cbranch_execz .LBB80_31
; %bb.37:                               ;   in Loop: Header=BB80_32 Depth=1
	v_lshlrev_b64 v[7:8], 1, v[1:2]
	v_lshlrev_b64 v[5:6], 1, v[5:6]
	;; [unrolled: 1-line block ×3, first 2 shown]
	s_mov_b32 s27, 0
	s_delay_alu instid0(VALU_DEP_3) | instskip(NEXT) | instid1(VALU_DEP_4)
	v_add_co_u32 v7, vcc_lo, s12, v7
	v_add_co_ci_u32_e32 v8, vcc_lo, s13, v8, vcc_lo
	s_delay_alu instid0(VALU_DEP_4)
	v_add_co_u32 v5, vcc_lo, s14, v5
	v_add_co_ci_u32_e32 v6, vcc_lo, s15, v6, vcc_lo
	global_load_u16 v7, v[7:8], off
	v_add_co_u32 v3, vcc_lo, s20, v3
	global_load_u16 v5, v[5:6], off
	v_add_co_ci_u32_e32 v4, vcc_lo, s21, v4, vcc_lo
	global_load_b32 v6, v[3:4], off
	s_waitcnt vmcnt(2)
	v_lshlrev_b32_e32 v7, 16, v7
	s_waitcnt vmcnt(1)
	v_lshlrev_b32_e32 v5, 16, v5
	s_delay_alu instid0(VALU_DEP_2) | instskip(NEXT) | instid1(VALU_DEP_1)
	v_mul_f32_e32 v7, s30, v7
	v_mul_f32_e32 v7, v7, v5
.LBB80_38:                              ;   Parent Loop BB80_32 Depth=1
                                        ; =>  This Inner Loop Header: Depth=2
	s_waitcnt vmcnt(0)
	s_delay_alu instid0(VALU_DEP_1)
	v_add_f32_e32 v5, v6, v7
	global_atomic_cmpswap_b32 v5, v[3:4], v[5:6], off glc
	s_waitcnt vmcnt(0)
	v_cmp_eq_u32_e32 vcc_lo, v5, v6
	v_mov_b32_e32 v6, v5
	s_or_b32 s27, vcc_lo, s27
	s_delay_alu instid0(SALU_CYCLE_1)
	s_and_not1_b32 exec_lo, exec_lo, s27
	s_cbranch_execnz .LBB80_38
	s_branch .LBB80_31
.LBB80_39:
	s_or_b32 exec_lo, exec_lo, s3
	s_mov_b32 s2, 0
.LBB80_40:
	s_delay_alu instid0(SALU_CYCLE_1)
	s_and_b32 vcc_lo, exec_lo, s2
	s_cbranch_vccz .LBB80_164
; %bb.41:
	s_load_b32 s2, s[0:1], 0x6c
	s_mov_b32 s7, 0
	s_mov_b64 s[28:29], 0
	s_waitcnt lgkmcnt(0)
	s_and_b32 s6, s2, 0xffff
	s_delay_alu instid0(SALU_CYCLE_1) | instskip(NEXT) | instid1(VALU_DEP_1)
	v_cmp_lt_u64_e64 s2, s[6:7], s[22:23]
	s_and_b32 vcc_lo, exec_lo, s2
	s_cbranch_vccnz .LBB80_43
; %bb.42:
	v_cvt_f32_u32_e32 v1, s22
	s_sub_i32 s3, 0, s22
	s_delay_alu instid0(VALU_DEP_1) | instskip(SKIP_2) | instid1(VALU_DEP_1)
	v_rcp_iflag_f32_e32 v1, v1
	s_waitcnt_depctr 0xfff
	v_mul_f32_e32 v1, 0x4f7ffffe, v1
	v_cvt_u32_f32_e32 v1, v1
	s_delay_alu instid0(VALU_DEP_1) | instskip(NEXT) | instid1(VALU_DEP_1)
	v_readfirstlane_b32 s2, v1
	s_mul_i32 s3, s3, s2
	s_delay_alu instid0(SALU_CYCLE_1) | instskip(NEXT) | instid1(SALU_CYCLE_1)
	s_mul_hi_u32 s3, s2, s3
	s_add_i32 s2, s2, s3
	s_delay_alu instid0(SALU_CYCLE_1) | instskip(NEXT) | instid1(SALU_CYCLE_1)
	s_mul_hi_u32 s2, s6, s2
	s_mul_i32 s3, s2, s22
	s_add_i32 s4, s2, 1
	s_sub_i32 s3, s6, s3
	s_delay_alu instid0(SALU_CYCLE_1)
	s_sub_i32 s5, s3, s22
	s_cmp_ge_u32 s3, s22
	s_cselect_b32 s2, s4, s2
	s_cselect_b32 s3, s5, s3
	s_add_i32 s4, s2, 1
	s_cmp_ge_u32 s3, s22
	s_cselect_b32 s28, s4, s2
.LBB80_43:
	s_lshl_b64 s[2:3], s[16:17], 3
	v_sub_co_u32 v1, s7, v0, s24
	s_add_u32 s26, s8, s2
	s_addc_u32 s27, s9, s3
	s_load_b64 s[4:5], s[26:27], 0x0
	s_load_b128 s[0:3], s[0:1], 0x8
	v_sub_co_ci_u32_e64 v2, null, 0, 0, s7
	s_waitcnt lgkmcnt(0)
	v_add_co_u32 v4, vcc_lo, s4, v1
	s_delay_alu instid0(VALU_DEP_2) | instskip(SKIP_1) | instid1(VALU_DEP_3)
	v_add_co_ci_u32_e32 v5, vcc_lo, s5, v2, vcc_lo
	v_mov_b32_e32 v1, 0
	v_add_co_u32 v2, vcc_lo, 0x300, v4
	s_delay_alu instid0(VALU_DEP_3) | instskip(NEXT) | instid1(VALU_DEP_1)
	v_add_co_ci_u32_e32 v3, vcc_lo, 0, v5, vcc_lo
	v_cmp_le_i64_e32 vcc_lo, s[0:1], v[2:3]
	s_and_saveexec_b32 s0, vcc_lo
	s_delay_alu instid0(SALU_CYCLE_1)
	s_xor_b32 s7, exec_lo, s0
	s_cbranch_execnz .LBB80_46
; %bb.44:
	s_and_not1_saveexec_b32 s1, s7
	s_cbranch_execnz .LBB80_50
.LBB80_45:
	s_or_b32 exec_lo, exec_lo, s1
	s_delay_alu instid0(SALU_CYCLE_1)
	s_mov_b32 s1, exec_lo
	v_cmpx_gt_i64_e64 s[2:3], v[0:1]
	s_cbranch_execnz .LBB80_51
	s_branch .LBB80_53
.LBB80_46:
	s_lshl_b64 s[0:1], s[18:19], 3
	s_mov_b32 s25, exec_lo
	s_add_u32 s0, s8, s0
	s_addc_u32 s1, s9, s1
	s_load_b64 s[0:1], s[0:1], 0x0
	s_waitcnt lgkmcnt(0)
	s_sub_u32 s34, s0, s4
	s_subb_u32 s35, s1, s5
	s_delay_alu instid0(SALU_CYCLE_1)
	v_cmpx_gt_i64_e64 s[34:35], v[0:1]
	s_cbranch_execz .LBB80_49
; %bb.47:
	v_lshlrev_b64 v[6:7], 1, v[4:5]
	v_dual_mov_b32 v10, v14 :: v_dual_mov_b32 v9, v1
	v_mov_b32_e32 v8, v0
	s_mov_b32 s29, 0
	s_delay_alu instid0(VALU_DEP_3) | instskip(NEXT) | instid1(VALU_DEP_1)
	v_add_co_u32 v6, s0, s12, v6
	v_add_co_ci_u32_e64 v7, s0, s13, v7, s0
	.p2align	6
.LBB80_48:                              ; =>This Inner Loop Header: Depth=1
	global_load_u16 v11, v[6:7], off
	v_add_co_u32 v8, s0, 0x100, v8
	s_delay_alu instid0(VALU_DEP_1) | instskip(SKIP_1) | instid1(VALU_DEP_1)
	v_add_co_ci_u32_e64 v9, s0, 0, v9, s0
	v_add_co_u32 v6, s0, 0x200, v6
	v_add_co_ci_u32_e64 v7, s0, 0, v7, s0
	s_delay_alu instid0(VALU_DEP_3) | instskip(NEXT) | instid1(VALU_DEP_1)
	v_cmp_le_i64_e64 s1, s[34:35], v[8:9]
	s_or_b32 s29, s1, s29
	s_waitcnt vmcnt(0)
	v_lshlrev_b32_e32 v11, 16, v11
	s_delay_alu instid0(VALU_DEP_1)
	v_mul_f32_e32 v11, s30, v11
	ds_store_b32 v10, v11
	v_add_nc_u32_e32 v10, 0x400, v10
	s_and_not1_b32 exec_lo, exec_lo, s29
	s_cbranch_execnz .LBB80_48
.LBB80_49:
	s_or_b32 exec_lo, exec_lo, s25
	s_and_not1_saveexec_b32 s1, s7
	s_cbranch_execz .LBB80_45
.LBB80_50:
	v_lshlrev_b64 v[6:7], 1, v[4:5]
	s_delay_alu instid0(VALU_DEP_1) | instskip(NEXT) | instid1(VALU_DEP_1)
	v_add_co_u32 v6, s0, s12, v6
	v_add_co_ci_u32_e64 v7, s0, s13, v7, s0
	s_clause 0x3
	global_load_u16 v8, v[6:7], off
	global_load_u16 v9, v[6:7], off offset:512
	global_load_u16 v10, v[6:7], off offset:1024
	;; [unrolled: 1-line block ×3, first 2 shown]
	s_waitcnt vmcnt(0)
	v_lshlrev_b32_e32 v6, 16, v6
	s_delay_alu instid0(VALU_DEP_1) | instskip(NEXT) | instid1(VALU_DEP_1)
	v_dual_mul_f32 v6, s30, v6 :: v_dual_lshlrev_b32 v7, 16, v8
	v_dual_mul_f32 v7, s30, v7 :: v_dual_lshlrev_b32 v8, 16, v9
	s_delay_alu instid0(VALU_DEP_1) | instskip(NEXT) | instid1(VALU_DEP_1)
	v_dual_mul_f32 v8, s30, v8 :: v_dual_lshlrev_b32 v9, 16, v10
	v_mul_f32_e32 v9, s30, v9
	ds_store_2addr_stride64_b32 v14, v7, v8 offset1:4
	ds_store_2addr_stride64_b32 v14, v9, v6 offset0:8 offset1:12
	s_or_b32 exec_lo, exec_lo, s1
	s_delay_alu instid0(SALU_CYCLE_1)
	s_mov_b32 s1, exec_lo
	v_cmpx_gt_i64_e64 s[2:3], v[0:1]
	s_cbranch_execz .LBB80_53
.LBB80_51:
	v_mov_b32_e32 v7, v1
	v_lshl_add_u32 v8, v0, 2, 0x1000
	v_dual_mov_b32 v9, 0 :: v_dual_mov_b32 v6, v0
	s_mov_b32 s7, 0
.LBB80_52:                              ; =>This Inner Loop Header: Depth=1
	s_delay_alu instid0(VALU_DEP_1) | instskip(NEXT) | instid1(VALU_DEP_1)
	v_add_co_u32 v6, s0, 0x100, v6
	v_add_co_ci_u32_e64 v7, s0, 0, v7, s0
	ds_store_b32 v8, v9
	v_add_nc_u32_e32 v8, 0x400, v8
	v_cmp_le_i64_e64 s0, s[2:3], v[6:7]
	s_delay_alu instid0(VALU_DEP_1) | instskip(NEXT) | instid1(SALU_CYCLE_1)
	s_or_b32 s7, s0, s7
	s_and_not1_b32 exec_lo, exec_lo, s7
	s_cbranch_execnz .LBB80_52
.LBB80_53:
	s_or_b32 exec_lo, exec_lo, s1
	v_cmp_ge_i64_e64 s0, s[18:19], s[2:3]
	s_sub_u32 s1, s18, s2
	s_subb_u32 s7, s19, s3
	s_waitcnt lgkmcnt(0)
	s_barrier
	buffer_gl0_inv
	s_and_b32 s0, s0, exec_lo
	s_cselect_b32 s13, s7, 0
	s_cselect_b32 s12, s1, 0
	s_and_saveexec_b32 s0, vcc_lo
	s_delay_alu instid0(SALU_CYCLE_1)
	s_xor_b32 s7, exec_lo, s0
	s_cbranch_execz .LBB80_69
; %bb.54:
	s_lshl_b64 s[0:1], s[18:19], 3
	s_mov_b32 s25, exec_lo
	s_add_u32 s0, s8, s0
	s_addc_u32 s1, s9, s1
	s_load_b64 s[0:1], s[0:1], 0x0
	s_waitcnt lgkmcnt(0)
	s_sub_u32 s30, s0, s4
	s_subb_u32 s31, s1, s5
	s_delay_alu instid0(SALU_CYCLE_1)
	v_cmpx_gt_i64_e64 s[30:31], v[0:1]
	s_cbranch_execz .LBB80_68
; %bb.55:
	s_add_u32 s34, s18, -1
	s_addc_u32 s35, s19, -1
	s_add_u32 s36, s18, -2
	v_cmp_gt_i64_e64 s29, s[34:35], s[16:17]
	s_addc_u32 s37, s19, -1
	s_mov_b64 s[38:39], 0
	s_cmp_lg_u64 s[36:37], s[16:17]
	s_cselect_b32 s33, -1, 0
	s_delay_alu instid0(VALU_DEP_1) | instid1(SALU_CYCLE_1)
	s_and_b32 s29, s29, s33
	s_sub_u32 s36, s0, s24
	s_subb_u32 s37, s1, 0
	s_mov_b32 s1, 0
	s_branch .LBB80_57
.LBB80_56:                              ;   in Loop: Header=BB80_57 Depth=1
	s_or_b32 exec_lo, exec_lo, s33
	s_add_u32 s38, s38, 0x100
	s_addc_u32 s39, s39, 0
	v_add_co_u32 v2, s0, s38, v0
	s_delay_alu instid0(VALU_DEP_1) | instskip(NEXT) | instid1(VALU_DEP_1)
	v_add_co_ci_u32_e64 v3, null, s39, 0, s0
	v_cmp_le_i64_e32 vcc_lo, s[30:31], v[2:3]
	s_or_b32 s1, vcc_lo, s1
	s_delay_alu instid0(SALU_CYCLE_1)
	s_and_not1_b32 exec_lo, exec_lo, s1
	s_cbranch_execz .LBB80_68
.LBB80_57:                              ; =>This Loop Header: Depth=1
                                        ;     Child Loop BB80_59 Depth 2
                                        ;     Child Loop BB80_64 Depth 2
	v_add_co_u32 v2, vcc_lo, s38, v4
	v_add_co_ci_u32_e32 v3, vcc_lo, s39, v5, vcc_lo
	v_dual_mov_b32 v6, s16 :: v_dual_mov_b32 v7, s17
	v_dual_mov_b32 v8, s34 :: v_dual_mov_b32 v9, s35
	s_and_not1_b32 vcc_lo, exec_lo, s29
	s_cbranch_vccnz .LBB80_61
; %bb.58:                               ;   in Loop: Header=BB80_57 Depth=1
	v_dual_mov_b32 v6, s16 :: v_dual_mov_b32 v7, s17
	v_dual_mov_b32 v8, s34 :: v_dual_mov_b32 v9, s35
	s_mov_b32 s33, 0
	s_set_inst_prefetch_distance 0x1
	.p2align	6
.LBB80_59:                              ;   Parent Loop BB80_57 Depth=1
                                        ; =>  This Inner Loop Header: Depth=2
	s_delay_alu instid0(VALU_DEP_1) | instskip(NEXT) | instid1(VALU_DEP_2)
	v_add_co_u32 v10, vcc_lo, v8, v6
	v_add_co_ci_u32_e32 v11, vcc_lo, v9, v7, vcc_lo
	s_delay_alu instid0(VALU_DEP_1) | instskip(NEXT) | instid1(VALU_DEP_1)
	v_lshrrev_b32_e32 v12, 31, v11
	v_add_co_u32 v10, vcc_lo, v10, v12
	v_add_co_ci_u32_e32 v11, vcc_lo, 0, v11, vcc_lo
	s_delay_alu instid0(VALU_DEP_1) | instskip(NEXT) | instid1(VALU_DEP_1)
	v_ashrrev_i64 v[10:11], 1, v[10:11]
	v_lshlrev_b64 v[12:13], 3, v[10:11]
	s_delay_alu instid0(VALU_DEP_1) | instskip(NEXT) | instid1(VALU_DEP_2)
	v_add_co_u32 v12, vcc_lo, s8, v12
	v_add_co_ci_u32_e32 v13, vcc_lo, s9, v13, vcc_lo
	global_load_b64 v[12:13], v[12:13], off
	s_waitcnt vmcnt(0)
	v_sub_co_u32 v12, vcc_lo, v12, s24
	v_subrev_co_ci_u32_e32 v13, vcc_lo, 0, v13, vcc_lo
	s_delay_alu instid0(VALU_DEP_1) | instskip(SKIP_2) | instid1(VALU_DEP_2)
	v_cmp_gt_i64_e32 vcc_lo, v[12:13], v[2:3]
	v_dual_cndmask_b32 v9, v9, v11 :: v_dual_cndmask_b32 v8, v8, v10
	v_dual_cndmask_b32 v7, v11, v7 :: v_dual_cndmask_b32 v6, v10, v6
	v_add_co_u32 v10, vcc_lo, v8, -1
	s_delay_alu instid0(VALU_DEP_3) | instskip(NEXT) | instid1(VALU_DEP_3)
	v_add_co_ci_u32_e32 v11, vcc_lo, -1, v9, vcc_lo
	v_cmp_ge_i64_e32 vcc_lo, v[6:7], v[8:9]
	s_delay_alu instid0(VALU_DEP_2) | instskip(NEXT) | instid1(VALU_DEP_1)
	v_cmp_eq_u64_e64 s0, v[6:7], v[10:11]
	s_or_b32 s0, vcc_lo, s0
	s_delay_alu instid0(SALU_CYCLE_1) | instskip(NEXT) | instid1(SALU_CYCLE_1)
	s_and_b32 s0, exec_lo, s0
	s_or_b32 s33, s0, s33
	s_delay_alu instid0(SALU_CYCLE_1)
	s_and_not1_b32 exec_lo, exec_lo, s33
	s_cbranch_execnz .LBB80_59
; %bb.60:                               ;   in Loop: Header=BB80_57 Depth=1
	s_set_inst_prefetch_distance 0x2
	s_or_b32 exec_lo, exec_lo, s33
.LBB80_61:                              ;   in Loop: Header=BB80_57 Depth=1
	s_delay_alu instid0(VALU_DEP_1) | instskip(SKIP_1) | instid1(VALU_DEP_2)
	v_lshlrev_b64 v[10:11], 3, v[8:9]
	v_lshlrev_b64 v[12:13], 3, v[2:3]
	v_add_co_u32 v10, vcc_lo, s8, v10
	s_delay_alu instid0(VALU_DEP_3) | instskip(NEXT) | instid1(VALU_DEP_3)
	v_add_co_ci_u32_e32 v11, vcc_lo, s9, v11, vcc_lo
	v_add_co_u32 v12, vcc_lo, s10, v12
	s_delay_alu instid0(VALU_DEP_4)
	v_add_co_ci_u32_e32 v13, vcc_lo, s11, v13, vcc_lo
	global_load_b64 v[10:11], v[10:11], off
	global_load_b64 v[12:13], v[12:13], off
	s_waitcnt vmcnt(1)
	v_sub_co_u32 v10, vcc_lo, v10, s24
	v_subrev_co_ci_u32_e32 v11, vcc_lo, 0, v11, vcc_lo
	s_delay_alu instid0(VALU_DEP_1) | instskip(SKIP_2) | instid1(VALU_DEP_1)
	v_cmp_gt_i64_e32 vcc_lo, v[10:11], v[2:3]
	s_waitcnt vmcnt(0)
	v_sub_co_u32 v10, s0, v12, s24
	v_subrev_co_ci_u32_e64 v11, s0, 0, v13, s0
	v_cmp_gt_i64_e64 s0, s[36:37], v[2:3]
	v_dual_cndmask_b32 v7, v9, v7 :: v_dual_cndmask_b32 v6, v8, v6
	s_delay_alu instid0(VALU_DEP_1) | instskip(NEXT) | instid1(VALU_DEP_3)
	v_cmp_ne_u64_e32 vcc_lo, v[10:11], v[6:7]
	s_and_b32 s0, vcc_lo, s0
	s_delay_alu instid0(SALU_CYCLE_1)
	s_and_saveexec_b32 s33, s0
	s_cbranch_execz .LBB80_56
; %bb.62:                               ;   in Loop: Header=BB80_57 Depth=1
	v_add_co_u32 v8, null, s38, v0
	v_cmp_gt_i64_e32 vcc_lo, s[12:13], v[10:11]
	v_cmp_le_i64_e64 s0, s[18:19], v[10:11]
	v_lshlrev_b64 v[2:3], 1, v[6:7]
	s_delay_alu instid0(VALU_DEP_4) | instskip(NEXT) | instid1(VALU_DEP_3)
	v_lshlrev_b32_e32 v6, 2, v8
	s_or_b32 s0, vcc_lo, s0
	s_delay_alu instid0(SALU_CYCLE_1) | instskip(NEXT) | instid1(SALU_CYCLE_1)
	s_and_saveexec_b32 s40, s0
	s_xor_b32 s0, exec_lo, s40
	s_cbranch_execz .LBB80_66
; %bb.63:                               ;   in Loop: Header=BB80_57 Depth=1
	v_add_co_u32 v2, vcc_lo, s14, v2
	v_add_co_ci_u32_e32 v3, vcc_lo, s15, v3, vcc_lo
	v_lshlrev_b64 v[7:8], 2, v[10:11]
	ds_load_b32 v6, v6
	s_mov_b32 s40, 0
	global_load_u16 v9, v[2:3], off
	v_add_co_u32 v2, vcc_lo, s20, v7
	v_add_co_ci_u32_e32 v3, vcc_lo, s21, v8, vcc_lo
	global_load_b32 v7, v[2:3], off
	s_waitcnt vmcnt(1)
	v_lshlrev_b32_e32 v8, 16, v9
	s_waitcnt lgkmcnt(0)
	s_delay_alu instid0(VALU_DEP_1)
	v_mul_f32_e32 v8, v6, v8
.LBB80_64:                              ;   Parent Loop BB80_57 Depth=1
                                        ; =>  This Inner Loop Header: Depth=2
	s_waitcnt vmcnt(0)
	s_delay_alu instid0(VALU_DEP_1)
	v_add_f32_e32 v6, v7, v8
	global_atomic_cmpswap_b32 v6, v[2:3], v[6:7], off glc
	s_waitcnt vmcnt(0)
	v_cmp_eq_u32_e32 vcc_lo, v6, v7
	v_mov_b32_e32 v7, v6
	s_or_b32 s40, vcc_lo, s40
	s_delay_alu instid0(SALU_CYCLE_1)
	s_and_not1_b32 exec_lo, exec_lo, s40
	s_cbranch_execnz .LBB80_64
; %bb.65:                               ;   in Loop: Header=BB80_57 Depth=1
	s_or_b32 exec_lo, exec_lo, s40
                                        ; implicit-def: $vgpr10
                                        ; implicit-def: $vgpr6
                                        ; implicit-def: $vgpr2_vgpr3
.LBB80_66:                              ;   in Loop: Header=BB80_57 Depth=1
	s_and_not1_saveexec_b32 s0, s0
	s_cbranch_execz .LBB80_56
; %bb.67:                               ;   in Loop: Header=BB80_57 Depth=1
	v_add_co_u32 v2, vcc_lo, s14, v2
	v_add_co_ci_u32_e32 v3, vcc_lo, s15, v3, vcc_lo
	global_load_u16 v2, v[2:3], off
	ds_load_b32 v3, v6
	v_subrev_nc_u32_e32 v6, s12, v10
	s_delay_alu instid0(VALU_DEP_1) | instskip(SKIP_3) | instid1(VALU_DEP_1)
	v_lshl_add_u32 v6, v6, 2, 0x1000
	s_waitcnt vmcnt(0)
	v_lshlrev_b32_e32 v2, 16, v2
	s_waitcnt lgkmcnt(0)
	v_mul_f32_e32 v2, v3, v2
	ds_add_f32 v6, v2
	s_branch .LBB80_56
.LBB80_68:
	s_or_b32 exec_lo, exec_lo, s25
                                        ; implicit-def: $vgpr2_vgpr3
                                        ; implicit-def: $vgpr4
.LBB80_69:
	s_and_not1_saveexec_b32 s1, s7
	s_cbranch_execz .LBB80_119
; %bb.70:
	s_add_u32 s30, s18, -1
	s_addc_u32 s31, s19, -1
	s_add_u32 s34, s18, -2
	v_cmp_le_i64_e64 s0, s[30:31], s[16:17]
	s_addc_u32 s35, s19, -1
	v_dual_mov_b32 v8, s16 :: v_dual_mov_b32 v9, s17
	s_cmp_eq_u64 s[34:35], s[16:17]
	v_dual_mov_b32 v10, s30 :: v_dual_mov_b32 v11, s31
	s_cselect_b32 s7, -1, 0
	s_delay_alu instid0(SALU_CYCLE_1) | instskip(NEXT) | instid1(SALU_CYCLE_1)
	s_or_b32 s7, s0, s7
	s_and_b32 vcc_lo, exec_lo, s7
	s_cbranch_vccnz .LBB80_74
; %bb.71:
	v_dual_mov_b32 v8, s16 :: v_dual_mov_b32 v9, s17
	v_dual_mov_b32 v10, s30 :: v_dual_mov_b32 v11, s31
	s_mov_b32 s25, 0
	s_set_inst_prefetch_distance 0x1
	.p2align	6
.LBB80_72:                              ; =>This Inner Loop Header: Depth=1
	s_delay_alu instid0(VALU_DEP_1) | instskip(NEXT) | instid1(VALU_DEP_2)
	v_add_co_u32 v6, vcc_lo, v10, v8
	v_add_co_ci_u32_e32 v7, vcc_lo, v11, v9, vcc_lo
	s_delay_alu instid0(VALU_DEP_1) | instskip(NEXT) | instid1(VALU_DEP_1)
	v_lshrrev_b32_e32 v12, 31, v7
	v_add_co_u32 v6, vcc_lo, v6, v12
	v_add_co_ci_u32_e32 v7, vcc_lo, 0, v7, vcc_lo
	s_delay_alu instid0(VALU_DEP_1) | instskip(NEXT) | instid1(VALU_DEP_1)
	v_ashrrev_i64 v[6:7], 1, v[6:7]
	v_lshlrev_b64 v[12:13], 3, v[6:7]
	s_delay_alu instid0(VALU_DEP_1) | instskip(NEXT) | instid1(VALU_DEP_2)
	v_add_co_u32 v12, vcc_lo, s8, v12
	v_add_co_ci_u32_e32 v13, vcc_lo, s9, v13, vcc_lo
	global_load_b64 v[12:13], v[12:13], off
	s_waitcnt vmcnt(0)
	v_sub_co_u32 v12, vcc_lo, v12, s24
	v_subrev_co_ci_u32_e32 v13, vcc_lo, 0, v13, vcc_lo
	s_delay_alu instid0(VALU_DEP_1) | instskip(SKIP_2) | instid1(VALU_DEP_2)
	v_cmp_gt_i64_e32 vcc_lo, v[12:13], v[4:5]
	v_dual_cndmask_b32 v11, v11, v7 :: v_dual_cndmask_b32 v10, v10, v6
	v_dual_cndmask_b32 v9, v7, v9 :: v_dual_cndmask_b32 v8, v6, v8
	v_add_co_u32 v6, vcc_lo, v10, -1
	s_delay_alu instid0(VALU_DEP_3) | instskip(NEXT) | instid1(VALU_DEP_3)
	v_add_co_ci_u32_e32 v7, vcc_lo, -1, v11, vcc_lo
	v_cmp_ge_i64_e32 vcc_lo, v[8:9], v[10:11]
	s_delay_alu instid0(VALU_DEP_2) | instskip(NEXT) | instid1(VALU_DEP_1)
	v_cmp_eq_u64_e64 s0, v[8:9], v[6:7]
	s_or_b32 s0, vcc_lo, s0
	s_delay_alu instid0(SALU_CYCLE_1) | instskip(NEXT) | instid1(SALU_CYCLE_1)
	s_and_b32 s0, exec_lo, s0
	s_or_b32 s25, s0, s25
	s_delay_alu instid0(SALU_CYCLE_1)
	s_and_not1_b32 exec_lo, exec_lo, s25
	s_cbranch_execnz .LBB80_72
; %bb.73:
	s_set_inst_prefetch_distance 0x2
	s_or_b32 exec_lo, exec_lo, s25
.LBB80_74:
	v_lshlrev_b64 v[6:7], 3, v[10:11]
	s_xor_b32 s7, s7, -1
	s_mov_b32 s25, exec_lo
	s_delay_alu instid0(VALU_DEP_1) | instskip(NEXT) | instid1(VALU_DEP_2)
	v_add_co_u32 v6, vcc_lo, s8, v6
	v_add_co_ci_u32_e32 v7, vcc_lo, s9, v7, vcc_lo
	global_load_b64 v[12:13], v[6:7], off
	v_lshlrev_b64 v[6:7], 3, v[4:5]
	s_delay_alu instid0(VALU_DEP_1) | instskip(NEXT) | instid1(VALU_DEP_2)
	v_add_co_u32 v6, vcc_lo, s10, v6
	v_add_co_ci_u32_e32 v7, vcc_lo, s11, v7, vcc_lo
	s_lshl_b64 s[10:11], s[18:19], 3
	s_delay_alu instid0(SALU_CYCLE_1)
	s_add_u32 s10, s8, s10
	global_load_b64 v[15:16], v[6:7], off
	s_addc_u32 s11, s9, s11
	s_waitcnt vmcnt(1)
	v_sub_co_u32 v12, vcc_lo, v12, s24
	v_subrev_co_ci_u32_e32 v13, vcc_lo, 0, v13, vcc_lo
	s_delay_alu instid0(VALU_DEP_1) | instskip(SKIP_4) | instid1(VALU_DEP_1)
	v_cmp_gt_i64_e32 vcc_lo, v[12:13], v[4:5]
	v_dual_cndmask_b32 v11, v11, v9 :: v_dual_cndmask_b32 v10, v10, v8
	s_waitcnt vmcnt(0)
	v_sub_co_u32 v8, vcc_lo, v15, s24
	v_subrev_co_ci_u32_e32 v9, vcc_lo, 0, v16, vcc_lo
	v_cmpx_ne_u64_e64 v[8:9], v[10:11]
	s_cbranch_execz .LBB80_82
; %bb.75:
	s_load_b64 s[34:35], s[10:11], 0x0
	s_waitcnt lgkmcnt(0)
	s_sub_u32 s34, s34, s24
	s_subb_u32 s35, s35, 0
	s_delay_alu instid0(SALU_CYCLE_1)
	v_cmp_gt_i64_e32 vcc_lo, s[34:35], v[4:5]
	s_and_b32 exec_lo, exec_lo, vcc_lo
	s_cbranch_execz .LBB80_82
; %bb.76:
	v_cmp_gt_i64_e32 vcc_lo, s[12:13], v[8:9]
	v_cmp_le_i64_e64 s0, s[18:19], v[8:9]
	v_lshlrev_b64 v[10:11], 1, v[10:11]
	s_delay_alu instid0(VALU_DEP_2) | instskip(NEXT) | instid1(SALU_CYCLE_1)
	s_or_b32 s0, vcc_lo, s0
	s_and_saveexec_b32 s29, s0
	s_delay_alu instid0(SALU_CYCLE_1)
	s_xor_b32 s0, exec_lo, s29
	s_cbranch_execz .LBB80_80
; %bb.77:
	s_delay_alu instid0(VALU_DEP_1)
	v_add_co_u32 v10, vcc_lo, s14, v10
	v_add_co_ci_u32_e32 v11, vcc_lo, s15, v11, vcc_lo
	v_lshlrev_b64 v[8:9], 2, v[8:9]
	ds_load_b32 v12, v14
	s_mov_b32 s29, 0
	global_load_u16 v10, v[10:11], off
	v_add_co_u32 v8, vcc_lo, s20, v8
	v_add_co_ci_u32_e32 v9, vcc_lo, s21, v9, vcc_lo
	global_load_b32 v11, v[8:9], off
	s_waitcnt vmcnt(1)
	v_lshlrev_b32_e32 v10, 16, v10
	s_waitcnt lgkmcnt(0)
	s_delay_alu instid0(VALU_DEP_1)
	v_mul_f32_e32 v12, v12, v10
.LBB80_78:                              ; =>This Inner Loop Header: Depth=1
	s_waitcnt vmcnt(0)
	s_delay_alu instid0(VALU_DEP_1)
	v_add_f32_e32 v10, v11, v12
	global_atomic_cmpswap_b32 v10, v[8:9], v[10:11], off glc
	s_waitcnt vmcnt(0)
	v_cmp_eq_u32_e32 vcc_lo, v10, v11
	v_mov_b32_e32 v11, v10
	s_or_b32 s29, vcc_lo, s29
	s_delay_alu instid0(SALU_CYCLE_1)
	s_and_not1_b32 exec_lo, exec_lo, s29
	s_cbranch_execnz .LBB80_78
; %bb.79:
	s_or_b32 exec_lo, exec_lo, s29
                                        ; implicit-def: $vgpr8
                                        ; implicit-def: $vgpr10_vgpr11
.LBB80_80:
	s_and_not1_saveexec_b32 s0, s0
	s_cbranch_execz .LBB80_82
; %bb.81:
	v_add_co_u32 v9, vcc_lo, s14, v10
	v_add_co_ci_u32_e32 v10, vcc_lo, s15, v11, vcc_lo
	v_subrev_nc_u32_e32 v8, s12, v8
	global_load_u16 v9, v[9:10], off
	ds_load_b32 v10, v14
	v_lshl_add_u32 v8, v8, 2, 0x1000
	s_waitcnt vmcnt(0)
	v_lshlrev_b32_e32 v9, 16, v9
	s_waitcnt lgkmcnt(0)
	s_delay_alu instid0(VALU_DEP_1)
	v_mul_f32_e32 v9, v10, v9
	ds_add_f32 v8, v9
.LBB80_82:
	s_or_b32 exec_lo, exec_lo, s25
	v_add_co_u32 v8, vcc_lo, 0x100, v4
	v_cndmask_b32_e64 v15, 0, 1, s7
	v_add_co_ci_u32_e32 v9, vcc_lo, 0, v5, vcc_lo
	v_dual_mov_b32 v10, s16 :: v_dual_mov_b32 v11, s17
	v_dual_mov_b32 v12, s30 :: v_dual_mov_b32 v13, s31
	s_and_not1_b32 vcc_lo, exec_lo, s7
	s_cbranch_vccnz .LBB80_86
; %bb.83:
	v_dual_mov_b32 v10, s16 :: v_dual_mov_b32 v11, s17
	v_dual_mov_b32 v12, s30 :: v_dual_mov_b32 v13, s31
	s_mov_b32 s7, 0
	s_set_inst_prefetch_distance 0x1
	.p2align	6
.LBB80_84:                              ; =>This Inner Loop Header: Depth=1
	s_delay_alu instid0(VALU_DEP_1) | instskip(NEXT) | instid1(VALU_DEP_2)
	v_add_co_u32 v16, vcc_lo, v12, v10
	v_add_co_ci_u32_e32 v17, vcc_lo, v13, v11, vcc_lo
	s_delay_alu instid0(VALU_DEP_1) | instskip(NEXT) | instid1(VALU_DEP_1)
	v_lshrrev_b32_e32 v18, 31, v17
	v_add_co_u32 v16, vcc_lo, v16, v18
	v_add_co_ci_u32_e32 v17, vcc_lo, 0, v17, vcc_lo
	s_delay_alu instid0(VALU_DEP_1) | instskip(NEXT) | instid1(VALU_DEP_1)
	v_ashrrev_i64 v[16:17], 1, v[16:17]
	v_lshlrev_b64 v[18:19], 3, v[16:17]
	s_delay_alu instid0(VALU_DEP_1) | instskip(NEXT) | instid1(VALU_DEP_2)
	v_add_co_u32 v18, vcc_lo, s8, v18
	v_add_co_ci_u32_e32 v19, vcc_lo, s9, v19, vcc_lo
	global_load_b64 v[18:19], v[18:19], off
	s_waitcnt vmcnt(0)
	v_sub_co_u32 v18, vcc_lo, v18, s24
	v_subrev_co_ci_u32_e32 v19, vcc_lo, 0, v19, vcc_lo
	s_delay_alu instid0(VALU_DEP_1) | instskip(SKIP_2) | instid1(VALU_DEP_2)
	v_cmp_gt_i64_e32 vcc_lo, v[18:19], v[8:9]
	v_dual_cndmask_b32 v13, v13, v17 :: v_dual_cndmask_b32 v12, v12, v16
	v_dual_cndmask_b32 v11, v17, v11 :: v_dual_cndmask_b32 v10, v16, v10
	v_add_co_u32 v16, vcc_lo, v12, -1
	s_delay_alu instid0(VALU_DEP_3) | instskip(NEXT) | instid1(VALU_DEP_3)
	v_add_co_ci_u32_e32 v17, vcc_lo, -1, v13, vcc_lo
	v_cmp_ge_i64_e32 vcc_lo, v[10:11], v[12:13]
	s_delay_alu instid0(VALU_DEP_2) | instskip(NEXT) | instid1(VALU_DEP_1)
	v_cmp_eq_u64_e64 s0, v[10:11], v[16:17]
	s_or_b32 s0, vcc_lo, s0
	s_delay_alu instid0(SALU_CYCLE_1) | instskip(NEXT) | instid1(SALU_CYCLE_1)
	s_and_b32 s0, exec_lo, s0
	s_or_b32 s7, s0, s7
	s_delay_alu instid0(SALU_CYCLE_1)
	s_and_not1_b32 exec_lo, exec_lo, s7
	s_cbranch_execnz .LBB80_84
; %bb.85:
	s_set_inst_prefetch_distance 0x2
	s_or_b32 exec_lo, exec_lo, s7
.LBB80_86:
	s_delay_alu instid0(VALU_DEP_1) | instskip(SKIP_1) | instid1(VALU_DEP_1)
	v_lshlrev_b64 v[16:17], 3, v[12:13]
	s_mov_b32 s7, exec_lo
	v_add_co_u32 v16, vcc_lo, s8, v16
	s_delay_alu instid0(VALU_DEP_2)
	v_add_co_ci_u32_e32 v17, vcc_lo, s9, v17, vcc_lo
	global_load_b64 v[16:17], v[16:17], off
	global_load_b64 v[18:19], v[6:7], off offset:2048
	s_waitcnt vmcnt(1)
	v_sub_co_u32 v16, vcc_lo, v16, s24
	v_subrev_co_ci_u32_e32 v17, vcc_lo, 0, v17, vcc_lo
	s_delay_alu instid0(VALU_DEP_1) | instskip(SKIP_4) | instid1(VALU_DEP_1)
	v_cmp_gt_i64_e32 vcc_lo, v[16:17], v[8:9]
	v_dual_cndmask_b32 v13, v13, v11 :: v_dual_cndmask_b32 v12, v12, v10
	s_waitcnt vmcnt(0)
	v_sub_co_u32 v10, vcc_lo, v18, s24
	v_subrev_co_ci_u32_e32 v11, vcc_lo, 0, v19, vcc_lo
	v_cmpx_ne_u64_e64 v[10:11], v[12:13]
	s_cbranch_execz .LBB80_94
; %bb.87:
	s_load_b64 s[34:35], s[10:11], 0x0
	s_waitcnt lgkmcnt(0)
	s_sub_u32 s34, s34, s24
	s_subb_u32 s35, s35, 0
	s_delay_alu instid0(SALU_CYCLE_1)
	v_cmp_gt_i64_e32 vcc_lo, s[34:35], v[8:9]
	s_and_b32 exec_lo, exec_lo, vcc_lo
	s_cbranch_execz .LBB80_94
; %bb.88:
	v_cmp_gt_i64_e32 vcc_lo, s[12:13], v[10:11]
	v_cmp_le_i64_e64 s0, s[18:19], v[10:11]
	v_lshlrev_b64 v[8:9], 1, v[12:13]
	s_delay_alu instid0(VALU_DEP_2) | instskip(NEXT) | instid1(SALU_CYCLE_1)
	s_or_b32 s0, vcc_lo, s0
	s_and_saveexec_b32 s25, s0
	s_delay_alu instid0(SALU_CYCLE_1)
	s_xor_b32 s0, exec_lo, s25
	s_cbranch_execz .LBB80_92
; %bb.89:
	s_delay_alu instid0(VALU_DEP_1)
	v_add_co_u32 v8, vcc_lo, s14, v8
	v_add_co_ci_u32_e32 v9, vcc_lo, s15, v9, vcc_lo
	v_lshlrev_b64 v[10:11], 2, v[10:11]
	s_mov_b32 s25, 0
	global_load_u16 v12, v[8:9], off
	v_add_co_u32 v8, vcc_lo, s20, v10
	v_add_co_ci_u32_e32 v9, vcc_lo, s21, v11, vcc_lo
	ds_load_b32 v10, v14 offset:1024
	global_load_b32 v11, v[8:9], off
	s_waitcnt vmcnt(1)
	v_lshlrev_b32_e32 v12, 16, v12
	s_waitcnt lgkmcnt(0)
	s_delay_alu instid0(VALU_DEP_1)
	v_mul_f32_e32 v12, v10, v12
.LBB80_90:                              ; =>This Inner Loop Header: Depth=1
	s_waitcnt vmcnt(0)
	s_delay_alu instid0(VALU_DEP_1)
	v_add_f32_e32 v10, v11, v12
	global_atomic_cmpswap_b32 v10, v[8:9], v[10:11], off glc
	s_waitcnt vmcnt(0)
	v_cmp_eq_u32_e32 vcc_lo, v10, v11
	v_mov_b32_e32 v11, v10
	s_or_b32 s25, vcc_lo, s25
	s_delay_alu instid0(SALU_CYCLE_1)
	s_and_not1_b32 exec_lo, exec_lo, s25
	s_cbranch_execnz .LBB80_90
; %bb.91:
	s_or_b32 exec_lo, exec_lo, s25
                                        ; implicit-def: $vgpr10
                                        ; implicit-def: $vgpr8_vgpr9
.LBB80_92:
	s_and_not1_saveexec_b32 s0, s0
	s_cbranch_execz .LBB80_94
; %bb.93:
	v_add_co_u32 v8, vcc_lo, s14, v8
	v_add_co_ci_u32_e32 v9, vcc_lo, s15, v9, vcc_lo
	v_subrev_nc_u32_e32 v10, s12, v10
	global_load_u16 v8, v[8:9], off
	ds_load_b32 v9, v14 offset:1024
	v_lshl_add_u32 v10, v10, 2, 0x1000
	s_waitcnt vmcnt(0)
	v_lshlrev_b32_e32 v8, 16, v8
	s_waitcnt lgkmcnt(0)
	s_delay_alu instid0(VALU_DEP_1)
	v_mul_f32_e32 v8, v9, v8
	ds_add_f32 v10, v8
.LBB80_94:
	s_or_b32 exec_lo, exec_lo, s7
	v_cmp_ne_u32_e32 vcc_lo, 1, v15
	v_add_co_u32 v8, s0, 0x200, v4
	s_delay_alu instid0(VALU_DEP_1)
	v_add_co_ci_u32_e64 v9, s0, 0, v5, s0
	v_dual_mov_b32 v10, s16 :: v_dual_mov_b32 v11, s17
	v_dual_mov_b32 v12, s30 :: v_dual_mov_b32 v13, s31
	s_cbranch_vccnz .LBB80_98
; %bb.95:
	v_dual_mov_b32 v10, s16 :: v_dual_mov_b32 v11, s17
	v_dual_mov_b32 v12, s30 :: v_dual_mov_b32 v13, s31
	s_mov_b32 s7, 0
	s_set_inst_prefetch_distance 0x1
	.p2align	6
.LBB80_96:                              ; =>This Inner Loop Header: Depth=1
	s_delay_alu instid0(VALU_DEP_1) | instskip(NEXT) | instid1(VALU_DEP_2)
	v_add_co_u32 v4, vcc_lo, v12, v10
	v_add_co_ci_u32_e32 v5, vcc_lo, v13, v11, vcc_lo
	s_delay_alu instid0(VALU_DEP_1) | instskip(NEXT) | instid1(VALU_DEP_1)
	v_lshrrev_b32_e32 v16, 31, v5
	v_add_co_u32 v4, vcc_lo, v4, v16
	v_add_co_ci_u32_e32 v5, vcc_lo, 0, v5, vcc_lo
	s_delay_alu instid0(VALU_DEP_1) | instskip(NEXT) | instid1(VALU_DEP_1)
	v_ashrrev_i64 v[4:5], 1, v[4:5]
	v_lshlrev_b64 v[16:17], 3, v[4:5]
	s_delay_alu instid0(VALU_DEP_1) | instskip(NEXT) | instid1(VALU_DEP_2)
	v_add_co_u32 v16, vcc_lo, s8, v16
	v_add_co_ci_u32_e32 v17, vcc_lo, s9, v17, vcc_lo
	global_load_b64 v[16:17], v[16:17], off
	s_waitcnt vmcnt(0)
	v_sub_co_u32 v16, vcc_lo, v16, s24
	v_subrev_co_ci_u32_e32 v17, vcc_lo, 0, v17, vcc_lo
	s_delay_alu instid0(VALU_DEP_1) | instskip(SKIP_2) | instid1(VALU_DEP_2)
	v_cmp_gt_i64_e32 vcc_lo, v[16:17], v[8:9]
	v_dual_cndmask_b32 v13, v13, v5 :: v_dual_cndmask_b32 v12, v12, v4
	v_dual_cndmask_b32 v11, v5, v11 :: v_dual_cndmask_b32 v10, v4, v10
	v_add_co_u32 v4, vcc_lo, v12, -1
	s_delay_alu instid0(VALU_DEP_3) | instskip(NEXT) | instid1(VALU_DEP_3)
	v_add_co_ci_u32_e32 v5, vcc_lo, -1, v13, vcc_lo
	v_cmp_ge_i64_e32 vcc_lo, v[10:11], v[12:13]
	s_delay_alu instid0(VALU_DEP_2) | instskip(NEXT) | instid1(VALU_DEP_1)
	v_cmp_eq_u64_e64 s0, v[10:11], v[4:5]
	s_or_b32 s0, vcc_lo, s0
	s_delay_alu instid0(SALU_CYCLE_1) | instskip(NEXT) | instid1(SALU_CYCLE_1)
	s_and_b32 s0, exec_lo, s0
	s_or_b32 s7, s0, s7
	s_delay_alu instid0(SALU_CYCLE_1)
	s_and_not1_b32 exec_lo, exec_lo, s7
	s_cbranch_execnz .LBB80_96
; %bb.97:
	s_set_inst_prefetch_distance 0x2
	s_or_b32 exec_lo, exec_lo, s7
.LBB80_98:
	s_delay_alu instid0(VALU_DEP_1) | instskip(SKIP_1) | instid1(VALU_DEP_1)
	v_lshlrev_b64 v[4:5], 3, v[12:13]
	s_mov_b32 s7, exec_lo
	v_add_co_u32 v4, vcc_lo, s8, v4
	s_delay_alu instid0(VALU_DEP_2)
	v_add_co_ci_u32_e32 v5, vcc_lo, s9, v5, vcc_lo
	global_load_b64 v[16:17], v[4:5], off
	v_add_co_u32 v4, vcc_lo, 0x1000, v6
	v_add_co_ci_u32_e32 v5, vcc_lo, 0, v7, vcc_lo
	global_load_b64 v[6:7], v[4:5], off
	s_waitcnt vmcnt(1)
	v_sub_co_u32 v16, vcc_lo, v16, s24
	v_subrev_co_ci_u32_e32 v17, vcc_lo, 0, v17, vcc_lo
	s_delay_alu instid0(VALU_DEP_1) | instskip(SKIP_4) | instid1(VALU_DEP_1)
	v_cmp_gt_i64_e32 vcc_lo, v[16:17], v[8:9]
	v_dual_cndmask_b32 v11, v13, v11 :: v_dual_cndmask_b32 v10, v12, v10
	s_waitcnt vmcnt(0)
	v_sub_co_u32 v6, vcc_lo, v6, s24
	v_subrev_co_ci_u32_e32 v7, vcc_lo, 0, v7, vcc_lo
	v_cmpx_ne_u64_e64 v[6:7], v[10:11]
	s_cbranch_execz .LBB80_106
; %bb.99:
	s_load_b64 s[34:35], s[10:11], 0x0
	s_waitcnt lgkmcnt(0)
	s_sub_u32 s34, s34, s24
	s_subb_u32 s35, s35, 0
	s_delay_alu instid0(SALU_CYCLE_1)
	v_cmp_gt_i64_e32 vcc_lo, s[34:35], v[8:9]
	s_and_b32 exec_lo, exec_lo, vcc_lo
	s_cbranch_execz .LBB80_106
; %bb.100:
	v_cmp_gt_i64_e32 vcc_lo, s[12:13], v[6:7]
	v_cmp_le_i64_e64 s0, s[18:19], v[6:7]
	v_lshlrev_b64 v[8:9], 1, v[10:11]
	s_delay_alu instid0(VALU_DEP_2) | instskip(NEXT) | instid1(SALU_CYCLE_1)
	s_or_b32 s0, vcc_lo, s0
	s_and_saveexec_b32 s25, s0
	s_delay_alu instid0(SALU_CYCLE_1)
	s_xor_b32 s0, exec_lo, s25
	s_cbranch_execz .LBB80_104
; %bb.101:
	s_delay_alu instid0(VALU_DEP_1)
	v_add_co_u32 v8, vcc_lo, s14, v8
	v_add_co_ci_u32_e32 v9, vcc_lo, s15, v9, vcc_lo
	v_lshlrev_b64 v[6:7], 2, v[6:7]
	ds_load_b32 v10, v14 offset:2048
	s_mov_b32 s25, 0
	global_load_u16 v8, v[8:9], off
	v_add_co_u32 v6, vcc_lo, s20, v6
	v_add_co_ci_u32_e32 v7, vcc_lo, s21, v7, vcc_lo
	global_load_b32 v9, v[6:7], off
	s_waitcnt vmcnt(1)
	v_lshlrev_b32_e32 v8, 16, v8
	s_waitcnt lgkmcnt(0)
	s_delay_alu instid0(VALU_DEP_1)
	v_mul_f32_e32 v10, v10, v8
.LBB80_102:                             ; =>This Inner Loop Header: Depth=1
	s_waitcnt vmcnt(0)
	s_delay_alu instid0(VALU_DEP_1)
	v_add_f32_e32 v8, v9, v10
	global_atomic_cmpswap_b32 v8, v[6:7], v[8:9], off glc
	s_waitcnt vmcnt(0)
	v_cmp_eq_u32_e32 vcc_lo, v8, v9
	v_mov_b32_e32 v9, v8
	s_or_b32 s25, vcc_lo, s25
	s_delay_alu instid0(SALU_CYCLE_1)
	s_and_not1_b32 exec_lo, exec_lo, s25
	s_cbranch_execnz .LBB80_102
; %bb.103:
	s_or_b32 exec_lo, exec_lo, s25
                                        ; implicit-def: $vgpr6
                                        ; implicit-def: $vgpr8_vgpr9
.LBB80_104:
	s_and_not1_saveexec_b32 s0, s0
	s_cbranch_execz .LBB80_106
; %bb.105:
	v_add_co_u32 v7, vcc_lo, s14, v8
	v_add_co_ci_u32_e32 v8, vcc_lo, s15, v9, vcc_lo
	v_subrev_nc_u32_e32 v6, s12, v6
	global_load_u16 v7, v[7:8], off
	ds_load_b32 v8, v14 offset:2048
	v_lshl_add_u32 v6, v6, 2, 0x1000
	s_waitcnt vmcnt(0)
	v_lshlrev_b32_e32 v7, 16, v7
	s_waitcnt lgkmcnt(0)
	s_delay_alu instid0(VALU_DEP_1)
	v_mul_f32_e32 v7, v8, v7
	ds_add_f32 v6, v7
.LBB80_106:
	s_or_b32 exec_lo, exec_lo, s7
	v_cmp_ne_u32_e32 vcc_lo, 1, v15
	v_dual_mov_b32 v6, s16 :: v_dual_mov_b32 v7, s17
	v_dual_mov_b32 v8, s30 :: v_dual_mov_b32 v9, s31
	s_cbranch_vccnz .LBB80_110
; %bb.107:
	v_dual_mov_b32 v6, s16 :: v_dual_mov_b32 v7, s17
	v_dual_mov_b32 v8, s30 :: v_dual_mov_b32 v9, s31
	s_mov_b32 s7, 0
	s_set_inst_prefetch_distance 0x1
	.p2align	6
.LBB80_108:                             ; =>This Inner Loop Header: Depth=1
	s_delay_alu instid0(VALU_DEP_1) | instskip(NEXT) | instid1(VALU_DEP_2)
	v_add_co_u32 v10, vcc_lo, v8, v6
	v_add_co_ci_u32_e32 v11, vcc_lo, v9, v7, vcc_lo
	s_delay_alu instid0(VALU_DEP_1) | instskip(NEXT) | instid1(VALU_DEP_1)
	v_lshrrev_b32_e32 v12, 31, v11
	v_add_co_u32 v10, vcc_lo, v10, v12
	v_add_co_ci_u32_e32 v11, vcc_lo, 0, v11, vcc_lo
	s_delay_alu instid0(VALU_DEP_1) | instskip(NEXT) | instid1(VALU_DEP_1)
	v_ashrrev_i64 v[10:11], 1, v[10:11]
	v_lshlrev_b64 v[12:13], 3, v[10:11]
	s_delay_alu instid0(VALU_DEP_1) | instskip(NEXT) | instid1(VALU_DEP_2)
	v_add_co_u32 v12, vcc_lo, s8, v12
	v_add_co_ci_u32_e32 v13, vcc_lo, s9, v13, vcc_lo
	global_load_b64 v[12:13], v[12:13], off
	s_waitcnt vmcnt(0)
	v_sub_co_u32 v12, vcc_lo, v12, s24
	v_subrev_co_ci_u32_e32 v13, vcc_lo, 0, v13, vcc_lo
	s_delay_alu instid0(VALU_DEP_1) | instskip(SKIP_2) | instid1(VALU_DEP_2)
	v_cmp_gt_i64_e32 vcc_lo, v[12:13], v[2:3]
	v_dual_cndmask_b32 v9, v9, v11 :: v_dual_cndmask_b32 v8, v8, v10
	v_dual_cndmask_b32 v7, v11, v7 :: v_dual_cndmask_b32 v6, v10, v6
	v_add_co_u32 v10, vcc_lo, v8, -1
	s_delay_alu instid0(VALU_DEP_3) | instskip(NEXT) | instid1(VALU_DEP_3)
	v_add_co_ci_u32_e32 v11, vcc_lo, -1, v9, vcc_lo
	v_cmp_ge_i64_e32 vcc_lo, v[6:7], v[8:9]
	s_delay_alu instid0(VALU_DEP_2) | instskip(NEXT) | instid1(VALU_DEP_1)
	v_cmp_eq_u64_e64 s0, v[6:7], v[10:11]
	s_or_b32 s0, vcc_lo, s0
	s_delay_alu instid0(SALU_CYCLE_1) | instskip(NEXT) | instid1(SALU_CYCLE_1)
	s_and_b32 s0, exec_lo, s0
	s_or_b32 s7, s0, s7
	s_delay_alu instid0(SALU_CYCLE_1)
	s_and_not1_b32 exec_lo, exec_lo, s7
	s_cbranch_execnz .LBB80_108
; %bb.109:
	s_set_inst_prefetch_distance 0x2
	s_or_b32 exec_lo, exec_lo, s7
.LBB80_110:
	s_delay_alu instid0(VALU_DEP_1) | instskip(SKIP_1) | instid1(VALU_DEP_1)
	v_lshlrev_b64 v[10:11], 3, v[8:9]
	s_mov_b32 s7, exec_lo
	v_add_co_u32 v10, vcc_lo, s8, v10
	s_delay_alu instid0(VALU_DEP_2)
	v_add_co_ci_u32_e32 v11, vcc_lo, s9, v11, vcc_lo
	global_load_b64 v[10:11], v[10:11], off
	global_load_b64 v[4:5], v[4:5], off offset:2048
	s_waitcnt vmcnt(1)
	v_sub_co_u32 v10, vcc_lo, v10, s24
	v_subrev_co_ci_u32_e32 v11, vcc_lo, 0, v11, vcc_lo
	s_delay_alu instid0(VALU_DEP_1) | instskip(SKIP_4) | instid1(VALU_DEP_1)
	v_cmp_gt_i64_e32 vcc_lo, v[10:11], v[2:3]
	v_dual_cndmask_b32 v7, v9, v7 :: v_dual_cndmask_b32 v6, v8, v6
	s_waitcnt vmcnt(0)
	v_sub_co_u32 v4, vcc_lo, v4, s24
	v_subrev_co_ci_u32_e32 v5, vcc_lo, 0, v5, vcc_lo
	v_cmpx_ne_u64_e64 v[4:5], v[6:7]
	s_cbranch_execz .LBB80_118
; %bb.111:
	s_load_b64 s[10:11], s[10:11], 0x0
	s_waitcnt lgkmcnt(0)
	s_sub_u32 s10, s10, s24
	s_subb_u32 s11, s11, 0
	s_delay_alu instid0(SALU_CYCLE_1)
	v_cmp_gt_i64_e32 vcc_lo, s[10:11], v[2:3]
	s_and_b32 exec_lo, exec_lo, vcc_lo
	s_cbranch_execz .LBB80_118
; %bb.112:
	v_cmp_gt_i64_e32 vcc_lo, s[12:13], v[4:5]
	v_cmp_le_i64_e64 s0, s[18:19], v[4:5]
	v_lshlrev_b64 v[2:3], 1, v[6:7]
	s_delay_alu instid0(VALU_DEP_2) | instskip(NEXT) | instid1(SALU_CYCLE_1)
	s_or_b32 s0, vcc_lo, s0
	s_and_saveexec_b32 s10, s0
	s_delay_alu instid0(SALU_CYCLE_1)
	s_xor_b32 s0, exec_lo, s10
	s_cbranch_execz .LBB80_116
; %bb.113:
	s_delay_alu instid0(VALU_DEP_1)
	v_add_co_u32 v2, vcc_lo, s14, v2
	v_add_co_ci_u32_e32 v3, vcc_lo, s15, v3, vcc_lo
	v_lshlrev_b64 v[4:5], 2, v[4:5]
	s_mov_b32 s10, 0
	global_load_u16 v6, v[2:3], off
	v_add_co_u32 v2, vcc_lo, s20, v4
	v_add_co_ci_u32_e32 v3, vcc_lo, s21, v5, vcc_lo
	ds_load_b32 v4, v14 offset:3072
	global_load_b32 v5, v[2:3], off
	s_waitcnt vmcnt(1)
	v_lshlrev_b32_e32 v6, 16, v6
	s_waitcnt lgkmcnt(0)
	s_delay_alu instid0(VALU_DEP_1)
	v_mul_f32_e32 v6, v4, v6
.LBB80_114:                             ; =>This Inner Loop Header: Depth=1
	s_waitcnt vmcnt(0)
	s_delay_alu instid0(VALU_DEP_1)
	v_add_f32_e32 v4, v5, v6
	global_atomic_cmpswap_b32 v4, v[2:3], v[4:5], off glc
	s_waitcnt vmcnt(0)
	v_cmp_eq_u32_e32 vcc_lo, v4, v5
	v_mov_b32_e32 v5, v4
	s_or_b32 s10, vcc_lo, s10
	s_delay_alu instid0(SALU_CYCLE_1)
	s_and_not1_b32 exec_lo, exec_lo, s10
	s_cbranch_execnz .LBB80_114
; %bb.115:
	s_or_b32 exec_lo, exec_lo, s10
                                        ; implicit-def: $vgpr4
                                        ; implicit-def: $vgpr2_vgpr3
.LBB80_116:
	s_and_not1_saveexec_b32 s0, s0
	s_cbranch_execz .LBB80_118
; %bb.117:
	v_add_co_u32 v2, vcc_lo, s14, v2
	v_add_co_ci_u32_e32 v3, vcc_lo, s15, v3, vcc_lo
	v_subrev_nc_u32_e32 v4, s12, v4
	global_load_u16 v2, v[2:3], off
	ds_load_b32 v3, v14 offset:3072
	v_lshl_add_u32 v4, v4, 2, 0x1000
	s_waitcnt vmcnt(0)
	v_lshlrev_b32_e32 v2, 16, v2
	s_waitcnt lgkmcnt(0)
	s_delay_alu instid0(VALU_DEP_1)
	v_mul_f32_e32 v2, v3, v2
	ds_add_f32 v4, v2
.LBB80_118:
	s_or_b32 exec_lo, exec_lo, s7
.LBB80_119:
	s_delay_alu instid0(SALU_CYCLE_1)
	s_or_b32 exec_lo, exec_lo, s1
	v_cmp_lt_i64_e64 s0, s[18:19], s[2:3]
	s_waitcnt lgkmcnt(0)
	s_barrier
	buffer_gl0_inv
	s_and_b32 s0, s0, exec_lo
	s_cselect_b32 s1, s18, s2
	s_cselect_b32 s0, s19, s3
	s_sub_u32 s2, s1, s22
	s_subb_u32 s3, s0, s23
	s_mov_b32 s0, exec_lo
	v_cmpx_gt_i64_e64 s[2:3], v[0:1]
	s_cbranch_execz .LBB80_124
; %bb.120:
	s_lshl_b64 s[10:11], s[12:13], 2
	v_dual_mov_b32 v3, v1 :: v_dual_mov_b32 v2, v0
	s_add_u32 s7, s20, s10
	s_addc_u32 s10, s21, s11
	s_mov_b32 s11, 0
	.p2align	6
.LBB80_121:                             ; =>This Loop Header: Depth=1
                                        ;     Child Loop BB80_122 Depth 2
	s_delay_alu instid0(VALU_DEP_1)
	v_lshlrev_b64 v[4:5], 2, v[2:3]
	v_lshl_add_u32 v6, v2, 2, 0x1000
	s_mov_b32 s12, 0
	ds_load_b32 v8, v6
	v_add_co_u32 v4, vcc_lo, s7, v4
	v_add_co_ci_u32_e32 v5, vcc_lo, s10, v5, vcc_lo
	global_load_b32 v7, v[4:5], off
.LBB80_122:                             ;   Parent Loop BB80_121 Depth=1
                                        ; =>  This Inner Loop Header: Depth=2
	s_waitcnt vmcnt(0) lgkmcnt(0)
	v_add_f32_e32 v6, v7, v8
	global_atomic_cmpswap_b32 v6, v[4:5], v[6:7], off glc
	s_waitcnt vmcnt(0)
	v_cmp_eq_u32_e32 vcc_lo, v6, v7
	v_mov_b32_e32 v7, v6
	s_or_b32 s12, vcc_lo, s12
	s_delay_alu instid0(SALU_CYCLE_1)
	s_and_not1_b32 exec_lo, exec_lo, s12
	s_cbranch_execnz .LBB80_122
; %bb.123:                              ;   in Loop: Header=BB80_121 Depth=1
	s_or_b32 exec_lo, exec_lo, s12
	v_add_co_u32 v2, vcc_lo, 0x100, v2
	v_add_co_ci_u32_e32 v3, vcc_lo, 0, v3, vcc_lo
	s_delay_alu instid0(VALU_DEP_1) | instskip(SKIP_1) | instid1(SALU_CYCLE_1)
	v_cmp_le_i64_e32 vcc_lo, s[2:3], v[2:3]
	s_or_b32 s11, vcc_lo, s11
	s_and_not1_b32 exec_lo, exec_lo, s11
	s_cbranch_execnz .LBB80_121
.LBB80_124:
	s_or_b32 exec_lo, exec_lo, s0
	s_add_i32 s0, s28, -1
	v_add_co_u32 v6, s10, s16, v0
	s_ashr_i32 s3, s0, 1
	v_add_co_ci_u32_e64 v7, null, s17, 0, s10
	s_or_b32 s0, s3, s0
	s_delay_alu instid0(SALU_CYCLE_1) | instskip(SKIP_4) | instid1(SALU_CYCLE_1)
	s_ashr_i32 s3, s0, 2
	s_barrier
	s_or_b32 s0, s3, s0
	buffer_gl0_inv
	s_ashr_i32 s3, s0, 4
	s_or_b32 s0, s3, s0
	s_delay_alu instid0(SALU_CYCLE_1) | instskip(NEXT) | instid1(SALU_CYCLE_1)
	s_ashr_i32 s3, s0, 8
	s_or_b32 s0, s3, s0
	s_delay_alu instid0(SALU_CYCLE_1) | instskip(NEXT) | instid1(SALU_CYCLE_1)
	s_ashr_i32 s3, s0, 16
	s_or_b32 s3, s3, s0
	s_mov_b32 s0, -1
	s_add_i32 s3, s3, 1
	s_delay_alu instid0(SALU_CYCLE_1) | instskip(NEXT) | instid1(SALU_CYCLE_1)
	s_ashr_i32 s7, s3, 1
	s_cmp_gt_i32 s7, 1
	s_cbranch_scc1 .LBB80_135
; %bb.125:
	s_mov_b32 s0, exec_lo
	v_cmpx_gt_i64_e64 s[18:19], v[6:7]
	s_cbranch_execz .LBB80_134
; %bb.126:
	s_sub_i32 s1, s1, s18
	v_dual_mov_b32 v9, v7 :: v_dual_mov_b32 v8, v6
	s_lshl_b32 s11, s4, 2
	s_lshl_b32 s1, s1, 2
	s_mov_b32 s10, 0
	s_addk_i32 s1, 0x1000
	s_sub_i32 s11, 0, s11
.LBB80_127:                             ; =>This Loop Header: Depth=1
                                        ;     Child Loop BB80_129 Depth 2
                                        ;     Child Loop BB80_132 Depth 2
	v_lshlrev_b64 v[2:3], 3, v[8:9]
	v_mov_b32_e32 v12, 0
	s_mov_b32 s12, exec_lo
	s_delay_alu instid0(VALU_DEP_2) | instskip(NEXT) | instid1(VALU_DEP_3)
	v_add_co_u32 v2, vcc_lo, s8, v2
	v_add_co_ci_u32_e32 v3, vcc_lo, s9, v3, vcc_lo
	global_load_b128 v[2:5], v[2:3], off
	s_waitcnt vmcnt(0)
	v_cmpx_lt_i64_e64 v[2:3], v[4:5]
	s_cbranch_execz .LBB80_131
; %bb.128:                              ;   in Loop: Header=BB80_127 Depth=1
	v_sub_co_u32 v4, vcc_lo, v4, s4
	v_subrev_co_ci_u32_e32 v5, vcc_lo, s5, v5, vcc_lo
	v_sub_co_u32 v10, vcc_lo, v2, s4
	v_subrev_co_ci_u32_e32 v11, vcc_lo, s5, v3, vcc_lo
	v_lshl_add_u32 v2, v2, 2, s11
	v_mov_b32_e32 v12, 0
	s_mov_b32 s13, 0
.LBB80_129:                             ;   Parent Loop BB80_127 Depth=1
                                        ; =>  This Inner Loop Header: Depth=2
	ds_load_b32 v3, v2
	v_add_co_u32 v10, vcc_lo, v10, 1
	v_add_co_ci_u32_e32 v11, vcc_lo, 0, v11, vcc_lo
	v_add_nc_u32_e32 v2, 4, v2
	s_delay_alu instid0(VALU_DEP_2)
	v_cmp_ge_i64_e32 vcc_lo, v[10:11], v[4:5]
	s_or_b32 s13, vcc_lo, s13
	s_waitcnt lgkmcnt(0)
	v_add_f32_e32 v12, v12, v3
	s_and_not1_b32 exec_lo, exec_lo, s13
	s_cbranch_execnz .LBB80_129
; %bb.130:                              ;   in Loop: Header=BB80_127 Depth=1
	s_or_b32 exec_lo, exec_lo, s13
.LBB80_131:                             ;   in Loop: Header=BB80_127 Depth=1
	s_delay_alu instid0(SALU_CYCLE_1)
	s_or_b32 exec_lo, exec_lo, s12
	v_lshlrev_b64 v[2:3], 2, v[8:9]
	v_lshl_add_u32 v4, v8, 2, s1
	s_mov_b32 s12, 0
	ds_load_b32 v4, v4
	v_add_co_u32 v2, vcc_lo, s20, v2
	v_add_co_ci_u32_e32 v3, vcc_lo, s21, v3, vcc_lo
	global_load_b32 v5, v[2:3], off
	s_waitcnt lgkmcnt(0)
	v_add_f32_e32 v10, v12, v4
.LBB80_132:                             ;   Parent Loop BB80_127 Depth=1
                                        ; =>  This Inner Loop Header: Depth=2
	s_waitcnt vmcnt(0)
	s_delay_alu instid0(VALU_DEP_1)
	v_add_f32_e32 v4, v5, v10
	global_atomic_cmpswap_b32 v4, v[2:3], v[4:5], off glc
	s_waitcnt vmcnt(0)
	v_cmp_eq_u32_e32 vcc_lo, v4, v5
	v_mov_b32_e32 v5, v4
	s_or_b32 s12, vcc_lo, s12
	s_delay_alu instid0(SALU_CYCLE_1)
	s_and_not1_b32 exec_lo, exec_lo, s12
	s_cbranch_execnz .LBB80_132
; %bb.133:                              ;   in Loop: Header=BB80_127 Depth=1
	s_or_b32 exec_lo, exec_lo, s12
	v_add_co_u32 v8, vcc_lo, v8, s6
	v_add_co_ci_u32_e32 v9, vcc_lo, 0, v9, vcc_lo
	s_delay_alu instid0(VALU_DEP_1) | instskip(SKIP_1) | instid1(SALU_CYCLE_1)
	v_cmp_le_i64_e32 vcc_lo, s[18:19], v[8:9]
	s_or_b32 s10, vcc_lo, s10
	s_and_not1_b32 exec_lo, exec_lo, s10
	s_cbranch_execnz .LBB80_127
.LBB80_134:
	s_or_b32 exec_lo, exec_lo, s0
	s_mov_b32 s0, 0
.LBB80_135:
	s_delay_alu instid0(SALU_CYCLE_1)
	s_and_not1_b32 vcc_lo, exec_lo, s0
	s_cbranch_vccnz .LBB80_164
; %bb.136:
	v_cvt_f32_u32_e32 v13, s7
	s_sub_i32 s1, 0, s7
	v_mov_b32_e32 v11, 0
	s_delay_alu instid0(VALU_DEP_2) | instskip(SKIP_2) | instid1(VALU_DEP_1)
	v_rcp_iflag_f32_e32 v2, v13
	s_waitcnt_depctr 0xfff
	v_mul_f32_e32 v2, 0x4f7ffffe, v2
	v_cvt_u32_f32_e32 v2, v2
	s_delay_alu instid0(VALU_DEP_1) | instskip(NEXT) | instid1(VALU_DEP_1)
	v_mul_lo_u32 v3, s1, v2
	v_mul_hi_u32 v3, v2, v3
	s_delay_alu instid0(VALU_DEP_1) | instskip(NEXT) | instid1(VALU_DEP_1)
	v_add_nc_u32_e32 v2, v2, v3
	v_mul_hi_u32 v2, v0, v2
	s_delay_alu instid0(VALU_DEP_1) | instskip(SKIP_1) | instid1(VALU_DEP_2)
	v_mul_lo_u32 v3, v2, s7
	v_add_nc_u32_e32 v4, 1, v2
	v_sub_nc_u32_e32 v3, v0, v3
	s_delay_alu instid0(VALU_DEP_1) | instskip(SKIP_1) | instid1(VALU_DEP_2)
	v_subrev_nc_u32_e32 v5, s7, v3
	v_cmp_le_u32_e32 vcc_lo, s7, v3
	v_dual_cndmask_b32 v2, v2, v4 :: v_dual_cndmask_b32 v3, v3, v5
	s_delay_alu instid0(VALU_DEP_1) | instskip(NEXT) | instid1(VALU_DEP_2)
	v_add_nc_u32_e32 v4, 1, v2
	v_cmp_le_u32_e32 vcc_lo, s7, v3
	s_delay_alu instid0(VALU_DEP_2) | instskip(NEXT) | instid1(VALU_DEP_1)
	v_cndmask_b32_e32 v10, v2, v4, vcc_lo
	v_lshlrev_b64 v[2:3], 3, v[10:11]
	s_delay_alu instid0(VALU_DEP_1) | instskip(NEXT) | instid1(VALU_DEP_2)
	v_add_co_u32 v2, vcc_lo, s26, v2
	v_add_co_ci_u32_e32 v3, vcc_lo, s27, v3, vcc_lo
	global_load_b128 v[2:5], v[2:3], off
	s_waitcnt vmcnt(0)
	v_sub_co_u32 v8, vcc_lo, v2, s4
	v_subrev_co_ci_u32_e32 v9, vcc_lo, s5, v3, vcc_lo
	v_sub_co_u32 v15, vcc_lo, v4, s4
	v_subrev_co_ci_u32_e32 v16, vcc_lo, s5, v5, vcc_lo
	v_mov_b32_e32 v4, v11
	s_delay_alu instid0(VALU_DEP_3) | instskip(NEXT) | instid1(VALU_DEP_3)
	v_sub_co_u32 v12, vcc_lo, v15, v8
	v_sub_co_ci_u32_e32 v5, vcc_lo, v16, v9, vcc_lo
	s_delay_alu instid0(VALU_DEP_1) | instskip(SKIP_1) | instid1(SALU_CYCLE_1)
	v_cmp_ne_u64_e32 vcc_lo, 0, v[4:5]
                                        ; implicit-def: $vgpr3_vgpr4
	s_and_saveexec_b32 s0, vcc_lo
	s_xor_b32 s5, exec_lo, s0
	s_cbranch_execz .LBB80_138
; %bb.137:
	v_cvt_f32_ubyte0_e32 v3, 0
	s_sub_u32 s0, 0, s7
	s_subb_u32 s6, 0, 0
	s_delay_alu instid0(VALU_DEP_1) | instskip(NEXT) | instid1(VALU_DEP_1)
	v_fmamk_f32 v3, v3, 0x4f800000, v13
	v_rcp_f32_e32 v3, v3
	s_waitcnt_depctr 0xfff
	v_mul_f32_e32 v3, 0x5f7ffffc, v3
	s_delay_alu instid0(VALU_DEP_1) | instskip(NEXT) | instid1(VALU_DEP_1)
	v_mul_f32_e32 v4, 0x2f800000, v3
	v_trunc_f32_e32 v4, v4
	s_delay_alu instid0(VALU_DEP_1) | instskip(SKIP_1) | instid1(VALU_DEP_2)
	v_fmamk_f32 v3, v4, 0xcf800000, v3
	v_cvt_u32_f32_e32 v4, v4
	v_cvt_u32_f32_e32 v3, v3
	s_delay_alu instid0(VALU_DEP_2) | instskip(NEXT) | instid1(VALU_DEP_2)
	v_mul_lo_u32 v13, s0, v4
	v_mul_hi_u32 v17, s0, v3
	v_mul_lo_u32 v18, s6, v3
	s_delay_alu instid0(VALU_DEP_2) | instskip(SKIP_1) | instid1(VALU_DEP_2)
	v_add_nc_u32_e32 v13, v17, v13
	v_mul_lo_u32 v17, s0, v3
	v_add_nc_u32_e32 v13, v13, v18
	s_delay_alu instid0(VALU_DEP_2) | instskip(NEXT) | instid1(VALU_DEP_2)
	v_mul_hi_u32 v18, v3, v17
	v_mul_lo_u32 v19, v3, v13
	v_mul_hi_u32 v20, v3, v13
	v_mul_hi_u32 v21, v4, v17
	v_mul_lo_u32 v17, v4, v17
	v_mul_hi_u32 v22, v4, v13
	v_mul_lo_u32 v13, v4, v13
	v_add_co_u32 v18, vcc_lo, v18, v19
	v_add_co_ci_u32_e32 v19, vcc_lo, 0, v20, vcc_lo
	s_delay_alu instid0(VALU_DEP_2) | instskip(NEXT) | instid1(VALU_DEP_2)
	v_add_co_u32 v17, vcc_lo, v18, v17
	v_add_co_ci_u32_e32 v17, vcc_lo, v19, v21, vcc_lo
	v_add_co_ci_u32_e32 v18, vcc_lo, 0, v22, vcc_lo
	v_ashrrev_i32_e32 v21, 31, v5
	s_delay_alu instid0(VALU_DEP_3) | instskip(NEXT) | instid1(VALU_DEP_3)
	v_add_co_u32 v13, vcc_lo, v17, v13
	v_add_co_ci_u32_e32 v17, vcc_lo, 0, v18, vcc_lo
	s_delay_alu instid0(VALU_DEP_2) | instskip(NEXT) | instid1(VALU_DEP_2)
	v_add_co_u32 v3, vcc_lo, v3, v13
	v_add_co_ci_u32_e32 v4, vcc_lo, v4, v17, vcc_lo
	s_delay_alu instid0(VALU_DEP_2) | instskip(SKIP_1) | instid1(VALU_DEP_3)
	v_mul_hi_u32 v13, s0, v3
	v_mul_lo_u32 v18, s6, v3
	v_mul_lo_u32 v17, s0, v4
	s_delay_alu instid0(VALU_DEP_1) | instskip(SKIP_1) | instid1(VALU_DEP_2)
	v_add_nc_u32_e32 v13, v13, v17
	v_mul_lo_u32 v17, s0, v3
	v_add_nc_u32_e32 v13, v13, v18
	s_delay_alu instid0(VALU_DEP_2) | instskip(NEXT) | instid1(VALU_DEP_2)
	v_mul_hi_u32 v18, v3, v17
	v_mul_lo_u32 v19, v3, v13
	v_mul_hi_u32 v20, v3, v13
	v_mul_hi_u32 v22, v4, v17
	v_mul_lo_u32 v17, v4, v17
	v_mul_hi_u32 v23, v4, v13
	v_mul_lo_u32 v13, v4, v13
	v_add_co_u32 v18, vcc_lo, v18, v19
	v_add_co_ci_u32_e32 v19, vcc_lo, 0, v20, vcc_lo
	s_delay_alu instid0(VALU_DEP_2) | instskip(NEXT) | instid1(VALU_DEP_2)
	v_add_co_u32 v17, vcc_lo, v18, v17
	v_add_co_ci_u32_e32 v17, vcc_lo, v19, v22, vcc_lo
	v_add_co_ci_u32_e32 v18, vcc_lo, 0, v23, vcc_lo
	v_add_co_u32 v12, vcc_lo, v12, v21
	v_add_co_ci_u32_e32 v5, vcc_lo, v5, v21, vcc_lo
	s_delay_alu instid0(VALU_DEP_4) | instskip(NEXT) | instid1(VALU_DEP_4)
	v_add_co_u32 v13, vcc_lo, v17, v13
	v_add_co_ci_u32_e32 v17, vcc_lo, 0, v18, vcc_lo
	s_delay_alu instid0(VALU_DEP_4) | instskip(NEXT) | instid1(VALU_DEP_3)
	v_xor_b32_e32 v19, v12, v21
	v_add_co_u32 v18, vcc_lo, v3, v13
	s_delay_alu instid0(VALU_DEP_3) | instskip(SKIP_1) | instid1(VALU_DEP_3)
	v_add_co_ci_u32_e32 v20, vcc_lo, v4, v17, vcc_lo
	v_xor_b32_e32 v5, v5, v21
	v_mul_hi_u32 v22, v19, v18
	s_delay_alu instid0(VALU_DEP_3) | instskip(NEXT) | instid1(VALU_DEP_3)
	v_mad_u64_u32 v[3:4], null, v19, v20, 0
	v_mad_u64_u32 v[12:13], null, v5, v18, 0
	;; [unrolled: 1-line block ×3, first 2 shown]
	s_delay_alu instid0(VALU_DEP_3) | instskip(NEXT) | instid1(VALU_DEP_4)
	v_add_co_u32 v3, vcc_lo, v22, v3
	v_add_co_ci_u32_e32 v4, vcc_lo, 0, v4, vcc_lo
	s_delay_alu instid0(VALU_DEP_2) | instskip(NEXT) | instid1(VALU_DEP_2)
	v_add_co_u32 v3, vcc_lo, v3, v12
	v_add_co_ci_u32_e32 v3, vcc_lo, v4, v13, vcc_lo
	v_add_co_ci_u32_e32 v4, vcc_lo, 0, v18, vcc_lo
	s_delay_alu instid0(VALU_DEP_2) | instskip(NEXT) | instid1(VALU_DEP_2)
	v_add_co_u32 v17, vcc_lo, v3, v17
	v_add_co_ci_u32_e32 v18, vcc_lo, 0, v4, vcc_lo
	s_delay_alu instid0(VALU_DEP_2) | instskip(NEXT) | instid1(VALU_DEP_1)
	v_mad_u64_u32 v[3:4], null, s7, v17, 0
	v_mad_u64_u32 v[12:13], null, s7, v18, v[4:5]
	s_delay_alu instid0(VALU_DEP_2) | instskip(NEXT) | instid1(VALU_DEP_2)
	v_sub_co_u32 v3, vcc_lo, v19, v3
	v_sub_co_ci_u32_e32 v4, vcc_lo, v5, v12, vcc_lo
	s_delay_alu instid0(VALU_DEP_2) | instskip(NEXT) | instid1(VALU_DEP_2)
	v_sub_co_u32 v5, vcc_lo, v3, s7
	v_subrev_co_ci_u32_e32 v12, vcc_lo, 0, v4, vcc_lo
	s_delay_alu instid0(VALU_DEP_2)
	v_cmp_le_u32_e32 vcc_lo, s7, v5
	v_cmp_eq_u32_e64 s0, 0, v4
	v_cndmask_b32_e64 v5, 0, -1, vcc_lo
	v_add_co_u32 v13, vcc_lo, v17, 2
	v_add_co_ci_u32_e32 v19, vcc_lo, 0, v18, vcc_lo
	v_cmp_le_u32_e32 vcc_lo, s7, v3
	v_cndmask_b32_e64 v3, 0, -1, vcc_lo
	v_cmp_eq_u32_e32 vcc_lo, 0, v12
	s_delay_alu instid0(VALU_DEP_2) | instskip(SKIP_3) | instid1(VALU_DEP_3)
	v_cndmask_b32_e64 v3, -1, v3, s0
	v_cndmask_b32_e32 v5, -1, v5, vcc_lo
	v_add_co_u32 v12, vcc_lo, v17, 1
	v_add_co_ci_u32_e32 v20, vcc_lo, 0, v18, vcc_lo
	v_cmp_ne_u32_e32 vcc_lo, 0, v5
	s_delay_alu instid0(VALU_DEP_2) | instskip(NEXT) | instid1(VALU_DEP_4)
	v_cndmask_b32_e32 v4, v20, v19, vcc_lo
	v_cndmask_b32_e32 v5, v12, v13, vcc_lo
	v_cmp_ne_u32_e32 vcc_lo, 0, v3
                                        ; implicit-def: $vgpr12
	s_delay_alu instid0(VALU_DEP_2) | instskip(NEXT) | instid1(VALU_DEP_1)
	v_dual_cndmask_b32 v3, v18, v4 :: v_dual_cndmask_b32 v4, v17, v5
	v_xor_b32_e32 v5, v3, v21
	s_delay_alu instid0(VALU_DEP_2) | instskip(NEXT) | instid1(VALU_DEP_1)
	v_xor_b32_e32 v4, v4, v21
	v_sub_co_u32 v3, vcc_lo, v4, v21
	s_delay_alu instid0(VALU_DEP_3)
	v_sub_co_ci_u32_e32 v4, vcc_lo, v5, v21, vcc_lo
.LBB80_138:
	s_and_not1_saveexec_b32 s0, s5
	s_cbranch_execz .LBB80_140
; %bb.139:
	v_cvt_f32_u32_e32 v3, s7
	s_delay_alu instid0(VALU_DEP_1) | instskip(SKIP_2) | instid1(VALU_DEP_1)
	v_rcp_iflag_f32_e32 v3, v3
	s_waitcnt_depctr 0xfff
	v_mul_f32_e32 v3, 0x4f7ffffe, v3
	v_cvt_u32_f32_e32 v3, v3
	s_delay_alu instid0(VALU_DEP_1) | instskip(NEXT) | instid1(VALU_DEP_1)
	v_mul_lo_u32 v4, s1, v3
	v_mul_hi_u32 v4, v3, v4
	s_delay_alu instid0(VALU_DEP_1) | instskip(NEXT) | instid1(VALU_DEP_1)
	v_add_nc_u32_e32 v3, v3, v4
	v_mul_hi_u32 v3, v12, v3
	s_delay_alu instid0(VALU_DEP_1) | instskip(SKIP_1) | instid1(VALU_DEP_2)
	v_mul_lo_u32 v4, v3, s7
	v_add_nc_u32_e32 v5, 1, v3
	v_sub_nc_u32_e32 v4, v12, v4
	s_delay_alu instid0(VALU_DEP_1) | instskip(SKIP_1) | instid1(VALU_DEP_2)
	v_subrev_nc_u32_e32 v12, s7, v4
	v_cmp_le_u32_e32 vcc_lo, s7, v4
	v_dual_cndmask_b32 v4, v4, v12 :: v_dual_cndmask_b32 v3, v3, v5
	s_delay_alu instid0(VALU_DEP_1) | instskip(NEXT) | instid1(VALU_DEP_2)
	v_cmp_le_u32_e32 vcc_lo, s7, v4
	v_dual_mov_b32 v4, 0 :: v_dual_add_nc_u32 v5, 1, v3
	s_delay_alu instid0(VALU_DEP_1)
	v_cndmask_b32_e32 v3, v3, v5, vcc_lo
.LBB80_140:
	s_or_b32 exec_lo, exec_lo, s0
	v_mov_b32_e32 v5, 0
	s_mov_b32 s5, exec_lo
	v_cmpx_gt_i64_e64 s[22:23], v[10:11]
	s_cbranch_execz .LBB80_154
; %bb.141:
	s_add_i32 s0, s7, -1
	s_mov_b32 s6, exec_lo
	v_dual_mov_b32 v5, 0 :: v_dual_and_b32 v10, s0, v0
	v_cmpx_lt_i64_e32 0, v[3:4]
	s_cbranch_execz .LBB80_151
; %bb.142:
	v_mov_b32_e32 v11, 0
	v_dual_mov_b32 v12, 0 :: v_dual_mov_b32 v5, 0
	s_mov_b32 s8, exec_lo
	v_cmpx_lt_u64_e32 3, v[3:4]
	s_cbranch_execz .LBB80_146
; %bb.143:
	v_lshlrev_b32_e32 v5, 2, v2
	s_lshl_b32 s0, s7, 2
	s_lshl_b32 s1, s4, 2
	v_and_b32_e32 v12, 0x7fffffff, v4
	v_and_b32_e32 v11, -4, v3
	v_lshl_add_u32 v13, v10, 2, v5
	v_mov_b32_e32 v5, 0
	s_sub_i32 s9, s0, s1
	s_lshl_b32 s0, s7, 3
	s_mul_i32 s12, s7, 12
	s_lshl_b32 s10, s7, 4
	s_sub_i32 s11, s0, s1
	s_sub_i32 s12, s12, s1
	s_mov_b32 s13, 0
	s_sub_i32 s14, 0, s1
	s_mov_b64 s[0:1], 0
	.p2align	6
.LBB80_144:                             ; =>This Inner Loop Header: Depth=1
	v_add_nc_u32_e32 v17, s14, v13
	v_add_nc_u32_e32 v18, s9, v13
	;; [unrolled: 1-line block ×3, first 2 shown]
	s_add_u32 s0, s0, 4
	s_addc_u32 s1, s1, 0
	ds_load_b32 v17, v17
	ds_load_b32 v18, v18
	v_cmp_eq_u64_e32 vcc_lo, s[0:1], v[11:12]
	s_or_b32 s13, vcc_lo, s13
	s_waitcnt lgkmcnt(1)
	v_add_f32_e32 v5, v5, v17
	v_add_nc_u32_e32 v20, s12, v13
	v_add_nc_u32_e32 v13, s10, v13
	s_waitcnt lgkmcnt(0)
	s_delay_alu instid0(VALU_DEP_3)
	v_add_f32_e32 v5, v5, v18
	ds_load_b32 v19, v19
	ds_load_b32 v20, v20
	s_waitcnt lgkmcnt(1)
	v_add_f32_e32 v5, v5, v19
	s_waitcnt lgkmcnt(0)
	s_delay_alu instid0(VALU_DEP_1)
	v_add_f32_e32 v5, v5, v20
	s_and_not1_b32 exec_lo, exec_lo, s13
	s_cbranch_execnz .LBB80_144
; %bb.145:
	s_or_b32 exec_lo, exec_lo, s13
.LBB80_146:
	s_delay_alu instid0(SALU_CYCLE_1) | instskip(SKIP_2) | instid1(VALU_DEP_1)
	s_or_b32 exec_lo, exec_lo, s8
	v_dual_mov_b32 v13, 0 :: v_dual_and_b32 v12, 3, v3
	s_mov_b32 s0, exec_lo
	v_cmpx_ne_u64_e32 0, v[12:13]
	s_cbranch_execz .LBB80_150
; %bb.147:
	v_mul_lo_u32 v11, s7, v11
	s_mov_b32 s1, 0
	s_delay_alu instid0(VALU_DEP_1) | instskip(NEXT) | instid1(VALU_DEP_1)
	v_add3_u32 v2, v10, v11, v2
	v_subrev_nc_u32_e32 v2, s4, v2
	s_lshl_b32 s4, s7, 2
	s_delay_alu instid0(VALU_DEP_1)
	v_lshlrev_b32_e32 v2, 2, v2
.LBB80_148:                             ; =>This Inner Loop Header: Depth=1
	ds_load_b32 v11, v2
	v_add_co_u32 v12, vcc_lo, v12, -1
	v_add_co_ci_u32_e32 v13, vcc_lo, -1, v13, vcc_lo
	v_add_nc_u32_e32 v2, s4, v2
	s_delay_alu instid0(VALU_DEP_2)
	v_cmp_eq_u64_e32 vcc_lo, 0, v[12:13]
	s_or_b32 s1, vcc_lo, s1
	s_waitcnt lgkmcnt(0)
	v_add_f32_e32 v5, v5, v11
	s_and_not1_b32 exec_lo, exec_lo, s1
	s_cbranch_execnz .LBB80_148
; %bb.149:
	s_or_b32 exec_lo, exec_lo, s1
.LBB80_150:
	s_delay_alu instid0(SALU_CYCLE_1)
	s_or_b32 exec_lo, exec_lo, s0
.LBB80_151:
	s_delay_alu instid0(SALU_CYCLE_1) | instskip(SKIP_3) | instid1(VALU_DEP_2)
	s_or_b32 exec_lo, exec_lo, s6
	v_mad_u64_u32 v[12:13], null, v3, s7, v[8:9]
	v_mov_b32_e32 v11, 0
	s_mov_b32 s0, exec_lo
	v_mov_b32_e32 v2, v13
	s_delay_alu instid0(VALU_DEP_1) | instskip(NEXT) | instid1(VALU_DEP_4)
	v_mad_u64_u32 v[8:9], null, v4, s7, v[2:3]
	v_sub_co_u32 v2, vcc_lo, v15, v12
	s_delay_alu instid0(VALU_DEP_2) | instskip(NEXT) | instid1(VALU_DEP_1)
	v_mov_b32_e32 v3, v8
	v_sub_co_ci_u32_e32 v3, vcc_lo, v16, v3, vcc_lo
	s_delay_alu instid0(VALU_DEP_1)
	v_cmpx_gt_i64_e64 v[2:3], v[10:11]
	s_cbranch_execz .LBB80_153
; %bb.152:
	v_add_lshl_u32 v2, v10, v12, 2
	ds_load_b32 v2, v2
	s_waitcnt lgkmcnt(0)
	v_add_f32_e32 v5, v5, v2
.LBB80_153:
	s_or_b32 exec_lo, exec_lo, s0
.LBB80_154:
	s_delay_alu instid0(SALU_CYCLE_1)
	s_or_b32 exec_lo, exec_lo, s5
	s_barrier
	buffer_gl0_inv
	ds_store_b32 v14, v5
	s_waitcnt lgkmcnt(0)
	s_barrier
	buffer_gl0_inv
	s_mov_b32 s0, exec_lo
	v_cmpx_gt_i64_e64 s[22:23], v[0:1]
	s_cbranch_execz .LBB80_164
; %bb.155:
	v_mul_lo_u32 v1, s7, v0
	s_cmp_lt_u32 s7, 8
	s_cbranch_scc1 .LBB80_158
; %bb.156:
	s_delay_alu instid0(VALU_DEP_1)
	v_dual_mov_b32 v3, 0 :: v_dual_lshlrev_b32 v2, 2, v1
	s_and_b32 s0, s7, 0x7ffffff8
	s_mov_b32 s1, 0
	.p2align	6
.LBB80_157:                             ; =>This Inner Loop Header: Depth=1
	ds_load_2addr_b32 v[4:5], v2 offset1:1
	ds_load_2addr_b32 v[8:9], v2 offset0:2 offset1:3
	ds_load_2addr_b32 v[10:11], v2 offset0:4 offset1:5
	;; [unrolled: 1-line block ×3, first 2 shown]
	s_add_i32 s1, s1, 8
	v_add_nc_u32_e32 v2, 32, v2
	s_cmp_eq_u32 s0, s1
	s_waitcnt lgkmcnt(3)
	v_add_f32_e32 v3, v3, v4
	s_delay_alu instid0(VALU_DEP_1) | instskip(SKIP_1) | instid1(VALU_DEP_1)
	v_add_f32_e32 v3, v3, v5
	s_waitcnt lgkmcnt(2)
	v_add_f32_e32 v3, v3, v8
	s_delay_alu instid0(VALU_DEP_1) | instskip(SKIP_1) | instid1(VALU_DEP_1)
	v_add_f32_e32 v3, v3, v9
	;; [unrolled: 4-line block ×3, first 2 shown]
	s_waitcnt lgkmcnt(0)
	v_add_f32_e32 v3, v3, v12
	s_delay_alu instid0(VALU_DEP_1)
	v_add_f32_e32 v3, v3, v13
	s_cbranch_scc0 .LBB80_157
	s_branch .LBB80_159
.LBB80_158:
	v_mov_b32_e32 v3, 0
	s_mov_b32 s0, 0
.LBB80_159:
	s_bfe_u32 s1, s3, 0x30001
	s_delay_alu instid0(SALU_CYCLE_1)
	s_cmp_eq_u32 s1, 0
	s_cbranch_scc1 .LBB80_162
; %bb.160:
	v_add_lshl_u32 v1, s0, v1, 2
.LBB80_161:                             ; =>This Inner Loop Header: Depth=1
	ds_load_b32 v2, v1
	v_add_nc_u32_e32 v1, 4, v1
	s_add_i32 s1, s1, -1
	s_delay_alu instid0(SALU_CYCLE_1)
	s_cmp_lg_u32 s1, 0
	s_waitcnt lgkmcnt(0)
	v_add_f32_e32 v3, v3, v2
	s_cbranch_scc1 .LBB80_161
.LBB80_162:
	v_lshlrev_b64 v[1:2], 2, v[6:7]
	v_lshlrev_b32_e32 v0, 2, v0
	s_lshl_b32 s0, s2, 2
	s_delay_alu instid0(VALU_DEP_1) | instid1(SALU_CYCLE_1)
	v_add3_u32 v0, 0x1000, s0, v0
	s_delay_alu instid0(VALU_DEP_3) | instskip(NEXT) | instid1(VALU_DEP_4)
	v_add_co_u32 v1, vcc_lo, s20, v1
	v_add_co_ci_u32_e32 v2, vcc_lo, s21, v2, vcc_lo
	ds_load_b32 v0, v0
	s_mov_b32 s0, 0
	global_load_b32 v4, v[1:2], off
	s_waitcnt lgkmcnt(0)
	v_add_f32_e32 v0, v3, v0
.LBB80_163:                             ; =>This Inner Loop Header: Depth=1
	s_waitcnt vmcnt(0)
	s_delay_alu instid0(VALU_DEP_1)
	v_add_f32_e32 v3, v4, v0
	global_atomic_cmpswap_b32 v3, v[1:2], v[3:4], off glc
	s_waitcnt vmcnt(0)
	v_cmp_eq_u32_e32 vcc_lo, v3, v4
	v_mov_b32_e32 v4, v3
	s_or_b32 s0, vcc_lo, s0
	s_delay_alu instid0(SALU_CYCLE_1)
	s_and_not1_b32 exec_lo, exec_lo, s0
	s_cbranch_execnz .LBB80_163
.LBB80_164:
	s_endpgm
	.section	.rodata,"a",@progbits
	.p2align	6, 0x0
	.amdhsa_kernel _ZN9rocsparseL27csrmvn_symm_adaptive_kernelIll18rocsparse_bfloat16S1_ffEEvbT_S2_PKS2_NS_24const_host_device_scalarIT4_EES4_PKT0_PKT1_PKT2_S7_PT3_21rocsparse_index_base_b
		.amdhsa_group_segment_fixed_size 4096
		.amdhsa_private_segment_fixed_size 0
		.amdhsa_kernarg_size 352
		.amdhsa_user_sgpr_count 15
		.amdhsa_user_sgpr_dispatch_ptr 0
		.amdhsa_user_sgpr_queue_ptr 0
		.amdhsa_user_sgpr_kernarg_segment_ptr 1
		.amdhsa_user_sgpr_dispatch_id 0
		.amdhsa_user_sgpr_private_segment_size 0
		.amdhsa_wavefront_size32 1
		.amdhsa_uses_dynamic_stack 0
		.amdhsa_enable_private_segment 0
		.amdhsa_system_sgpr_workgroup_id_x 1
		.amdhsa_system_sgpr_workgroup_id_y 0
		.amdhsa_system_sgpr_workgroup_id_z 0
		.amdhsa_system_sgpr_workgroup_info 0
		.amdhsa_system_vgpr_workitem_id 0
		.amdhsa_next_free_vgpr 24
		.amdhsa_next_free_sgpr 41
		.amdhsa_reserve_vcc 1
		.amdhsa_float_round_mode_32 0
		.amdhsa_float_round_mode_16_64 0
		.amdhsa_float_denorm_mode_32 3
		.amdhsa_float_denorm_mode_16_64 3
		.amdhsa_dx10_clamp 1
		.amdhsa_ieee_mode 1
		.amdhsa_fp16_overflow 0
		.amdhsa_workgroup_processor_mode 1
		.amdhsa_memory_ordered 1
		.amdhsa_forward_progress 0
		.amdhsa_shared_vgpr_count 0
		.amdhsa_exception_fp_ieee_invalid_op 0
		.amdhsa_exception_fp_denorm_src 0
		.amdhsa_exception_fp_ieee_div_zero 0
		.amdhsa_exception_fp_ieee_overflow 0
		.amdhsa_exception_fp_ieee_underflow 0
		.amdhsa_exception_fp_ieee_inexact 0
		.amdhsa_exception_int_div_zero 0
	.end_amdhsa_kernel
	.section	.text._ZN9rocsparseL27csrmvn_symm_adaptive_kernelIll18rocsparse_bfloat16S1_ffEEvbT_S2_PKS2_NS_24const_host_device_scalarIT4_EES4_PKT0_PKT1_PKT2_S7_PT3_21rocsparse_index_base_b,"axG",@progbits,_ZN9rocsparseL27csrmvn_symm_adaptive_kernelIll18rocsparse_bfloat16S1_ffEEvbT_S2_PKS2_NS_24const_host_device_scalarIT4_EES4_PKT0_PKT1_PKT2_S7_PT3_21rocsparse_index_base_b,comdat
.Lfunc_end80:
	.size	_ZN9rocsparseL27csrmvn_symm_adaptive_kernelIll18rocsparse_bfloat16S1_ffEEvbT_S2_PKS2_NS_24const_host_device_scalarIT4_EES4_PKT0_PKT1_PKT2_S7_PT3_21rocsparse_index_base_b, .Lfunc_end80-_ZN9rocsparseL27csrmvn_symm_adaptive_kernelIll18rocsparse_bfloat16S1_ffEEvbT_S2_PKS2_NS_24const_host_device_scalarIT4_EES4_PKT0_PKT1_PKT2_S7_PT3_21rocsparse_index_base_b
                                        ; -- End function
	.section	.AMDGPU.csdata,"",@progbits
; Kernel info:
; codeLenInByte = 9152
; NumSgprs: 43
; NumVgprs: 24
; ScratchSize: 0
; MemoryBound: 0
; FloatMode: 240
; IeeeMode: 1
; LDSByteSize: 4096 bytes/workgroup (compile time only)
; SGPRBlocks: 5
; VGPRBlocks: 2
; NumSGPRsForWavesPerEU: 43
; NumVGPRsForWavesPerEU: 24
; Occupancy: 16
; WaveLimiterHint : 1
; COMPUTE_PGM_RSRC2:SCRATCH_EN: 0
; COMPUTE_PGM_RSRC2:USER_SGPR: 15
; COMPUTE_PGM_RSRC2:TRAP_HANDLER: 0
; COMPUTE_PGM_RSRC2:TGID_X_EN: 1
; COMPUTE_PGM_RSRC2:TGID_Y_EN: 0
; COMPUTE_PGM_RSRC2:TGID_Z_EN: 0
; COMPUTE_PGM_RSRC2:TIDIG_COMP_CNT: 0
	.section	.text._ZL33csrmvn_symm_large_adaptive_kernelIll18rocsparse_bfloat16S0_ffEvbT_PKS1_N9rocsparse24const_host_device_scalarIT4_EES3_PKT0_PKT1_PKT2_S7_PT3_21rocsparse_index_base_b,"axG",@progbits,_ZL33csrmvn_symm_large_adaptive_kernelIll18rocsparse_bfloat16S0_ffEvbT_PKS1_N9rocsparse24const_host_device_scalarIT4_EES3_PKT0_PKT1_PKT2_S7_PT3_21rocsparse_index_base_b,comdat
	.globl	_ZL33csrmvn_symm_large_adaptive_kernelIll18rocsparse_bfloat16S0_ffEvbT_PKS1_N9rocsparse24const_host_device_scalarIT4_EES3_PKT0_PKT1_PKT2_S7_PT3_21rocsparse_index_base_b ; -- Begin function _ZL33csrmvn_symm_large_adaptive_kernelIll18rocsparse_bfloat16S0_ffEvbT_PKS1_N9rocsparse24const_host_device_scalarIT4_EES3_PKT0_PKT1_PKT2_S7_PT3_21rocsparse_index_base_b
	.p2align	8
	.type	_ZL33csrmvn_symm_large_adaptive_kernelIll18rocsparse_bfloat16S0_ffEvbT_PKS1_N9rocsparse24const_host_device_scalarIT4_EES3_PKT0_PKT1_PKT2_S7_PT3_21rocsparse_index_base_b,@function
_ZL33csrmvn_symm_large_adaptive_kernelIll18rocsparse_bfloat16S0_ffEvbT_PKS1_N9rocsparse24const_host_device_scalarIT4_EES3_PKT0_PKT1_PKT2_S7_PT3_21rocsparse_index_base_b: ; @_ZL33csrmvn_symm_large_adaptive_kernelIll18rocsparse_bfloat16S0_ffEvbT_PKS1_N9rocsparse24const_host_device_scalarIT4_EES3_PKT0_PKT1_PKT2_S7_PT3_21rocsparse_index_base_b
; %bb.0:
	s_clause 0x2
	s_load_b64 s[6:7], s[0:1], 0x50
	s_load_b64 s[20:21], s[0:1], 0x18
	;; [unrolled: 1-line block ×3, first 2 shown]
	s_mov_b32 s2, s15
	s_waitcnt lgkmcnt(0)
	s_bitcmp1_b32 s7, 0
	s_cselect_b32 s3, -1, 0
	s_delay_alu instid0(SALU_CYCLE_1)
	s_and_b32 vcc_lo, exec_lo, s3
	s_xor_b32 s3, s3, -1
	s_cbranch_vccnz .LBB81_2
; %bb.1:
	s_load_b32 s20, s[20:21], 0x0
.LBB81_2:
	s_and_not1_b32 vcc_lo, exec_lo, s3
	s_cbranch_vccnz .LBB81_4
; %bb.3:
	s_load_b32 s4, s[4:5], 0x0
.LBB81_4:
	s_waitcnt lgkmcnt(0)
	v_cmp_neq_f32_e64 s3, s20, 0
	v_cmp_neq_f32_e64 s4, s4, 1.0
	s_delay_alu instid0(VALU_DEP_1) | instskip(NEXT) | instid1(SALU_CYCLE_1)
	s_or_b32 s3, s3, s4
	s_and_not1_b32 vcc_lo, exec_lo, s3
	s_cbranch_vccnz .LBB81_38
; %bb.5:
	s_load_b64 s[4:5], s[0:1], 0x10
	s_ashr_i32 s3, s2, 31
	v_dual_mov_b32 v1, 0 :: v_dual_lshlrev_b32 v6, 2, v0
	s_lshl_b64 s[2:3], s[2:3], 3
	ds_store_2addr_stride64_b32 v6, v1, v1 offset1:4
	ds_store_2addr_stride64_b32 v6, v1, v1 offset0:8 offset1:12
	s_waitcnt lgkmcnt(0)
	s_barrier
	buffer_gl0_inv
	s_add_u32 s2, s4, s2
	s_addc_u32 s3, s5, s3
	s_load_b128 s[16:19], s[2:3], 0x0
	s_clause 0x1
	s_load_b256 s[8:15], s[0:1], 0x20
	s_load_b64 s[22:23], s[0:1], 0x48
	v_sub_co_u32 v7, s1, v0, s6
	s_delay_alu instid0(VALU_DEP_1) | instskip(SKIP_2) | instid1(VALU_DEP_1)
	v_sub_co_ci_u32_e64 v8, null, 0, 0, s1
	s_waitcnt lgkmcnt(0)
	v_cmp_lt_i64_e64 s0, s[16:17], s[18:19]
	s_and_b32 vcc_lo, exec_lo, s0
	s_cbranch_vccnz .LBB81_7
; %bb.6:
	s_lshl_b64 s[0:1], s[16:17], 3
	s_delay_alu instid0(SALU_CYCLE_1)
	s_add_u32 s0, s8, s0
	s_addc_u32 s1, s9, s1
	s_load_b64 s[24:25], s[0:1], 0x0
	s_cbranch_execz .LBB81_8
	s_branch .LBB81_28
.LBB81_7:
                                        ; implicit-def: $sgpr24_sgpr25
.LBB81_8:
	s_lshl_b64 s[0:1], s[16:17], 3
	v_cmp_gt_u32_e64 s2, 16, v0
	s_add_u32 s0, s8, s0
	s_addc_u32 s1, s9, s1
	v_cmp_gt_u32_e64 s3, 4, v0
	s_waitcnt lgkmcnt(0)
	s_load_b64 s[24:25], s[0:1], 0x0
	v_cmp_gt_u32_e64 s0, 0x100, v0
	v_cmp_gt_u32_e64 s1, 64, v0
	v_cmp_eq_u32_e64 s4, 0, v0
	v_mov_b32_e32 v9, 0
	s_add_u32 s7, s8, 8
	s_addc_u32 s21, s9, 0
	s_mov_b64 s[26:27], s[16:17]
	s_waitcnt lgkmcnt(0)
	s_mov_b64 s[28:29], s[24:25]
	s_branch .LBB81_10
.LBB81_9:                               ;   in Loop: Header=BB81_10 Depth=1
	s_or_b32 exec_lo, exec_lo, s5
	s_add_u32 s26, s26, 1
	s_addc_u32 s27, s27, 0
	s_delay_alu instid0(SALU_CYCLE_1) | instskip(NEXT) | instid1(VALU_DEP_1)
	v_cmp_ge_i64_e64 s5, s[26:27], s[18:19]
	s_and_b32 vcc_lo, exec_lo, s5
	s_cbranch_vccnz .LBB81_28
.LBB81_10:                              ; =>This Loop Header: Depth=1
                                        ;     Child Loop BB81_12 Depth 2
                                        ;     Child Loop BB81_27 Depth 2
	s_lshl_b64 s[30:31], s[26:27], 3
	s_mov_b64 s[34:35], s[28:29]
	s_add_u32 s30, s7, s30
	s_addc_u32 s31, s21, s31
	v_add_co_u32 v0, vcc_lo, s34, v7
	s_load_b64 s[28:29], s[30:31], 0x0
	v_add_co_ci_u32_e32 v1, vcc_lo, s35, v8, vcc_lo
	v_mov_b32_e32 v10, 0
	s_mov_b32 s33, exec_lo
	s_waitcnt lgkmcnt(0)
	s_sub_u32 s30, s28, s6
	s_subb_u32 s31, s29, 0
	s_delay_alu instid0(SALU_CYCLE_1)
	v_cmpx_gt_i64_e64 s[30:31], v[0:1]
	s_cbranch_execz .LBB81_14
; %bb.11:                               ;   in Loop: Header=BB81_10 Depth=1
	v_lshlrev_b64 v[2:3], 3, v[0:1]
	v_lshlrev_b64 v[4:5], 1, v[0:1]
	v_mov_b32_e32 v10, 0
	s_mov_b32 s34, 0
	s_delay_alu instid0(VALU_DEP_3) | instskip(NEXT) | instid1(VALU_DEP_4)
	v_add_co_u32 v2, vcc_lo, s10, v2
	v_add_co_ci_u32_e32 v3, vcc_lo, s11, v3, vcc_lo
	s_delay_alu instid0(VALU_DEP_4)
	v_add_co_u32 v4, vcc_lo, s12, v4
	v_add_co_ci_u32_e32 v5, vcc_lo, s13, v5, vcc_lo
	s_set_inst_prefetch_distance 0x1
	.p2align	6
.LBB81_12:                              ;   Parent Loop BB81_10 Depth=1
                                        ; =>  This Inner Loop Header: Depth=2
	global_load_b64 v[11:12], v[2:3], off
	s_waitcnt vmcnt(0)
	v_sub_co_u32 v11, vcc_lo, v11, s6
	v_subrev_co_ci_u32_e32 v12, vcc_lo, 0, v12, vcc_lo
	s_delay_alu instid0(VALU_DEP_1) | instskip(NEXT) | instid1(VALU_DEP_1)
	v_lshlrev_b64 v[11:12], 1, v[11:12]
	v_add_co_u32 v11, vcc_lo, s14, v11
	s_delay_alu instid0(VALU_DEP_2)
	v_add_co_ci_u32_e32 v12, vcc_lo, s15, v12, vcc_lo
	v_add_co_u32 v0, vcc_lo, 0x100, v0
	global_load_u16 v13, v[4:5], off
	global_load_u16 v11, v[11:12], off
	v_add_co_ci_u32_e32 v1, vcc_lo, 0, v1, vcc_lo
	v_add_co_u32 v2, vcc_lo, 0x800, v2
	v_add_co_ci_u32_e32 v3, vcc_lo, 0, v3, vcc_lo
	s_delay_alu instid0(VALU_DEP_3) | instskip(SKIP_1) | instid1(VALU_DEP_1)
	v_cmp_le_i64_e32 vcc_lo, s[30:31], v[0:1]
	v_add_co_u32 v4, s5, 0x200, v4
	v_add_co_ci_u32_e64 v5, s5, 0, v5, s5
	s_or_b32 s34, vcc_lo, s34
	s_waitcnt vmcnt(1)
	v_lshlrev_b32_e32 v12, 16, v13
	s_waitcnt vmcnt(0)
	v_lshlrev_b32_e32 v11, 16, v11
	s_delay_alu instid0(VALU_DEP_1)
	v_fmac_f32_e32 v10, v12, v11
	s_and_not1_b32 exec_lo, exec_lo, s34
	s_cbranch_execnz .LBB81_12
; %bb.13:                               ;   in Loop: Header=BB81_10 Depth=1
	s_set_inst_prefetch_distance 0x2
	s_or_b32 exec_lo, exec_lo, s34
.LBB81_14:                              ;   in Loop: Header=BB81_10 Depth=1
	s_delay_alu instid0(SALU_CYCLE_1)
	s_or_b32 exec_lo, exec_lo, s33
	ds_store_b32 v6, v10
	s_waitcnt lgkmcnt(0)
	s_barrier
	buffer_gl0_inv
	s_and_saveexec_b32 s5, s0
	s_cbranch_execz .LBB81_16
; %bb.15:                               ;   in Loop: Header=BB81_10 Depth=1
	ds_load_2addr_stride64_b32 v[0:1], v6 offset1:4
	ds_load_2addr_stride64_b32 v[2:3], v6 offset0:8 offset1:12
	s_waitcnt lgkmcnt(0)
	v_add_f32_e32 v1, v1, v2
	s_delay_alu instid0(VALU_DEP_1) | instskip(NEXT) | instid1(VALU_DEP_1)
	v_add_f32_e32 v1, v1, v3
	v_add_f32_e32 v0, v0, v1
	ds_store_b32 v6, v0
.LBB81_16:                              ;   in Loop: Header=BB81_10 Depth=1
	s_or_b32 exec_lo, exec_lo, s5
	s_waitcnt lgkmcnt(0)
	s_barrier
	buffer_gl0_inv
	s_and_saveexec_b32 s5, s1
	s_cbranch_execz .LBB81_18
; %bb.17:                               ;   in Loop: Header=BB81_10 Depth=1
	ds_load_2addr_stride64_b32 v[0:1], v6 offset1:1
	ds_load_2addr_stride64_b32 v[2:3], v6 offset0:2 offset1:3
	s_waitcnt lgkmcnt(0)
	v_add_f32_e32 v1, v1, v2
	s_delay_alu instid0(VALU_DEP_1) | instskip(NEXT) | instid1(VALU_DEP_1)
	v_add_f32_e32 v1, v1, v3
	v_add_f32_e32 v0, v0, v1
	ds_store_b32 v6, v0
.LBB81_18:                              ;   in Loop: Header=BB81_10 Depth=1
	s_or_b32 exec_lo, exec_lo, s5
	s_waitcnt lgkmcnt(0)
	s_barrier
	buffer_gl0_inv
	s_and_saveexec_b32 s5, s2
	s_cbranch_execz .LBB81_20
; %bb.19:                               ;   in Loop: Header=BB81_10 Depth=1
	ds_load_2addr_b32 v[0:1], v6 offset1:16
	ds_load_2addr_b32 v[2:3], v6 offset0:32 offset1:48
	s_waitcnt lgkmcnt(0)
	v_add_f32_e32 v1, v1, v2
	s_delay_alu instid0(VALU_DEP_1) | instskip(NEXT) | instid1(VALU_DEP_1)
	v_add_f32_e32 v1, v1, v3
	v_add_f32_e32 v0, v0, v1
	ds_store_b32 v6, v0
.LBB81_20:                              ;   in Loop: Header=BB81_10 Depth=1
	s_or_b32 exec_lo, exec_lo, s5
	s_waitcnt lgkmcnt(0)
	s_barrier
	buffer_gl0_inv
	s_and_saveexec_b32 s5, s3
	s_cbranch_execz .LBB81_22
; %bb.21:                               ;   in Loop: Header=BB81_10 Depth=1
	ds_load_2addr_b32 v[0:1], v6 offset1:4
	ds_load_2addr_b32 v[2:3], v6 offset0:8 offset1:12
	s_waitcnt lgkmcnt(0)
	v_add_f32_e32 v1, v1, v2
	s_delay_alu instid0(VALU_DEP_1) | instskip(NEXT) | instid1(VALU_DEP_1)
	v_add_f32_e32 v1, v1, v3
	v_add_f32_e32 v0, v0, v1
	ds_store_b32 v6, v0
.LBB81_22:                              ;   in Loop: Header=BB81_10 Depth=1
	s_or_b32 exec_lo, exec_lo, s5
	s_waitcnt lgkmcnt(0)
	s_barrier
	buffer_gl0_inv
	s_and_saveexec_b32 s5, s4
	s_cbranch_execz .LBB81_24
; %bb.23:                               ;   in Loop: Header=BB81_10 Depth=1
	ds_load_2addr_b32 v[0:1], v9 offset0:1 offset1:2
	ds_load_b32 v2, v9 offset:12
	ds_load_b32 v3, v6
	s_waitcnt lgkmcnt(2)
	v_add_f32_e32 v0, v0, v1
	s_waitcnt lgkmcnt(1)
	s_delay_alu instid0(VALU_DEP_1) | instskip(SKIP_1) | instid1(VALU_DEP_1)
	v_add_f32_e32 v0, v0, v2
	s_waitcnt lgkmcnt(0)
	v_add_f32_e32 v0, v3, v0
	ds_store_b32 v6, v0
.LBB81_24:                              ;   in Loop: Header=BB81_10 Depth=1
	s_or_b32 exec_lo, exec_lo, s5
	s_waitcnt lgkmcnt(0)
	s_barrier
	buffer_gl0_inv
	s_and_saveexec_b32 s5, s4
	s_cbranch_execz .LBB81_9
; %bb.25:                               ;   in Loop: Header=BB81_10 Depth=1
	s_mov_b32 s33, exec_lo
	s_delay_alu instid0(SALU_CYCLE_1) | instskip(NEXT) | instid1(VALU_DEP_1)
	v_mbcnt_lo_u32_b32 v0, s33, 0
	v_cmp_eq_u32_e32 vcc_lo, 0, v0
	s_and_b32 s30, exec_lo, vcc_lo
	s_delay_alu instid0(SALU_CYCLE_1)
	s_mov_b32 exec_lo, s30
	s_cbranch_execz .LBB81_9
; %bb.26:                               ;   in Loop: Header=BB81_10 Depth=1
	s_lshl_b64 s[30:31], s[26:27], 2
	ds_load_b32 v0, v9
	s_add_u32 s30, s22, s30
	s_addc_u32 s31, s23, s31
	s_bcnt1_i32_b32 s33, s33
	global_load_b32 v1, v9, s[30:31]
	v_cvt_f32_ubyte0_e32 v2, s33
	s_mov_b32 s33, 0
	s_waitcnt lgkmcnt(0)
	v_mul_f32_e32 v0, s20, v0
	s_delay_alu instid0(VALU_DEP_1)
	v_mul_f32_e32 v2, v0, v2
.LBB81_27:                              ;   Parent Loop BB81_10 Depth=1
                                        ; =>  This Inner Loop Header: Depth=2
	s_waitcnt vmcnt(0)
	s_delay_alu instid0(VALU_DEP_1)
	v_add_f32_e32 v0, v1, v2
	global_atomic_cmpswap_b32 v0, v9, v[0:1], s[30:31] glc
	s_waitcnt vmcnt(0)
	v_cmp_eq_u32_e32 vcc_lo, v0, v1
	v_mov_b32_e32 v1, v0
	s_or_b32 s33, vcc_lo, s33
	s_delay_alu instid0(SALU_CYCLE_1)
	s_and_not1_b32 exec_lo, exec_lo, s33
	s_cbranch_execnz .LBB81_27
	s_branch .LBB81_9
.LBB81_28:
	s_lshl_b64 s[0:1], s[18:19], 3
	s_waitcnt lgkmcnt(0)
	v_add_co_u32 v0, vcc_lo, s24, v7
	s_add_u32 s0, s8, s0
	s_addc_u32 s1, s9, s1
	v_add_co_ci_u32_e32 v1, vcc_lo, s25, v8, vcc_lo
	s_load_b64 s[0:1], s[0:1], 0x0
	s_waitcnt lgkmcnt(0)
	s_sub_u32 s2, s0, s6
	s_subb_u32 s3, s1, 0
	s_mov_b32 s0, exec_lo
	v_cmpx_gt_i64_e64 s[2:3], v[0:1]
	s_cbranch_execz .LBB81_38
; %bb.29:
	s_add_u32 s4, s18, -1
	s_addc_u32 s5, s19, -1
	s_add_u32 s0, s18, -2
	v_cmp_gt_i64_e64 s7, s[4:5], s[16:17]
	s_addc_u32 s1, s19, -1
	s_delay_alu instid0(SALU_CYCLE_1)
	s_cmp_lg_u64 s[0:1], s[16:17]
	s_cselect_b32 s0, -1, 0
	s_delay_alu instid0(VALU_DEP_1) | instid1(SALU_CYCLE_1)
	s_and_b32 s1, s7, s0
	s_mov_b32 s7, 0
	s_branch .LBB81_31
.LBB81_30:                              ;   in Loop: Header=BB81_31 Depth=1
	s_or_b32 exec_lo, exec_lo, s0
	v_add_co_u32 v0, vcc_lo, 0x100, v0
	v_add_co_ci_u32_e32 v1, vcc_lo, 0, v1, vcc_lo
	s_delay_alu instid0(VALU_DEP_1) | instskip(SKIP_1) | instid1(SALU_CYCLE_1)
	v_cmp_le_i64_e32 vcc_lo, s[2:3], v[0:1]
	s_or_b32 s7, vcc_lo, s7
	s_and_not1_b32 exec_lo, exec_lo, s7
	s_cbranch_execz .LBB81_38
.LBB81_31:                              ; =>This Loop Header: Depth=1
                                        ;     Child Loop BB81_33 Depth 2
                                        ;     Child Loop BB81_37 Depth 2
	v_dual_mov_b32 v2, s16 :: v_dual_mov_b32 v3, s17
	v_dual_mov_b32 v4, s4 :: v_dual_mov_b32 v5, s5
	s_and_not1_b32 vcc_lo, exec_lo, s1
	s_cbranch_vccnz .LBB81_35
; %bb.32:                               ;   in Loop: Header=BB81_31 Depth=1
	v_dual_mov_b32 v2, s16 :: v_dual_mov_b32 v3, s17
	v_dual_mov_b32 v4, s4 :: v_dual_mov_b32 v5, s5
	s_mov_b32 s18, 0
	s_set_inst_prefetch_distance 0x1
	.p2align	6
.LBB81_33:                              ;   Parent Loop BB81_31 Depth=1
                                        ; =>  This Inner Loop Header: Depth=2
	s_delay_alu instid0(VALU_DEP_1) | instskip(NEXT) | instid1(VALU_DEP_2)
	v_add_co_u32 v6, vcc_lo, v4, v2
	v_add_co_ci_u32_e32 v7, vcc_lo, v5, v3, vcc_lo
	s_delay_alu instid0(VALU_DEP_1) | instskip(NEXT) | instid1(VALU_DEP_1)
	v_lshrrev_b32_e32 v8, 31, v7
	v_add_co_u32 v6, vcc_lo, v6, v8
	v_add_co_ci_u32_e32 v7, vcc_lo, 0, v7, vcc_lo
	s_delay_alu instid0(VALU_DEP_1) | instskip(NEXT) | instid1(VALU_DEP_1)
	v_ashrrev_i64 v[6:7], 1, v[6:7]
	v_lshlrev_b64 v[8:9], 3, v[6:7]
	s_delay_alu instid0(VALU_DEP_1) | instskip(NEXT) | instid1(VALU_DEP_2)
	v_add_co_u32 v8, vcc_lo, s8, v8
	v_add_co_ci_u32_e32 v9, vcc_lo, s9, v9, vcc_lo
	global_load_b64 v[8:9], v[8:9], off
	s_waitcnt vmcnt(0)
	v_sub_co_u32 v8, vcc_lo, v8, s6
	v_subrev_co_ci_u32_e32 v9, vcc_lo, 0, v9, vcc_lo
	s_delay_alu instid0(VALU_DEP_1) | instskip(SKIP_2) | instid1(VALU_DEP_2)
	v_cmp_gt_i64_e32 vcc_lo, v[8:9], v[0:1]
	v_dual_cndmask_b32 v5, v5, v7 :: v_dual_cndmask_b32 v4, v4, v6
	v_dual_cndmask_b32 v3, v7, v3 :: v_dual_cndmask_b32 v2, v6, v2
	v_add_co_u32 v6, vcc_lo, v4, -1
	s_delay_alu instid0(VALU_DEP_3) | instskip(NEXT) | instid1(VALU_DEP_3)
	v_add_co_ci_u32_e32 v7, vcc_lo, -1, v5, vcc_lo
	v_cmp_ge_i64_e32 vcc_lo, v[2:3], v[4:5]
	s_delay_alu instid0(VALU_DEP_2) | instskip(NEXT) | instid1(VALU_DEP_1)
	v_cmp_eq_u64_e64 s0, v[2:3], v[6:7]
	s_or_b32 s0, vcc_lo, s0
	s_delay_alu instid0(SALU_CYCLE_1) | instskip(NEXT) | instid1(SALU_CYCLE_1)
	s_and_b32 s0, exec_lo, s0
	s_or_b32 s18, s0, s18
	s_delay_alu instid0(SALU_CYCLE_1)
	s_and_not1_b32 exec_lo, exec_lo, s18
	s_cbranch_execnz .LBB81_33
; %bb.34:                               ;   in Loop: Header=BB81_31 Depth=1
	s_set_inst_prefetch_distance 0x2
	s_or_b32 exec_lo, exec_lo, s18
.LBB81_35:                              ;   in Loop: Header=BB81_31 Depth=1
	s_delay_alu instid0(VALU_DEP_1) | instskip(SKIP_2) | instid1(VALU_DEP_2)
	v_lshlrev_b64 v[6:7], 3, v[4:5]
	v_lshlrev_b64 v[8:9], 3, v[0:1]
	s_mov_b32 s0, exec_lo
	v_add_co_u32 v6, vcc_lo, s8, v6
	s_delay_alu instid0(VALU_DEP_3) | instskip(NEXT) | instid1(VALU_DEP_3)
	v_add_co_ci_u32_e32 v7, vcc_lo, s9, v7, vcc_lo
	v_add_co_u32 v8, vcc_lo, s10, v8
	s_delay_alu instid0(VALU_DEP_4)
	v_add_co_ci_u32_e32 v9, vcc_lo, s11, v9, vcc_lo
	global_load_b64 v[6:7], v[6:7], off
	global_load_b64 v[8:9], v[8:9], off
	s_waitcnt vmcnt(1)
	v_sub_co_u32 v6, vcc_lo, v6, s6
	v_subrev_co_ci_u32_e32 v7, vcc_lo, 0, v7, vcc_lo
	s_delay_alu instid0(VALU_DEP_1) | instskip(SKIP_4) | instid1(VALU_DEP_1)
	v_cmp_gt_i64_e32 vcc_lo, v[6:7], v[0:1]
	v_dual_cndmask_b32 v5, v5, v3 :: v_dual_cndmask_b32 v4, v4, v2
	s_waitcnt vmcnt(0)
	v_sub_co_u32 v2, vcc_lo, v8, s6
	v_subrev_co_ci_u32_e32 v3, vcc_lo, 0, v9, vcc_lo
	v_cmpx_ne_u64_e64 v[2:3], v[4:5]
	s_cbranch_execz .LBB81_30
; %bb.36:                               ;   in Loop: Header=BB81_31 Depth=1
	v_lshlrev_b64 v[6:7], 1, v[0:1]
	v_lshlrev_b64 v[4:5], 1, v[4:5]
	;; [unrolled: 1-line block ×3, first 2 shown]
	s_mov_b32 s18, 0
	s_delay_alu instid0(VALU_DEP_3) | instskip(NEXT) | instid1(VALU_DEP_4)
	v_add_co_u32 v6, vcc_lo, s12, v6
	v_add_co_ci_u32_e32 v7, vcc_lo, s13, v7, vcc_lo
	s_delay_alu instid0(VALU_DEP_4)
	v_add_co_u32 v4, vcc_lo, s14, v4
	v_add_co_ci_u32_e32 v5, vcc_lo, s15, v5, vcc_lo
	global_load_u16 v6, v[6:7], off
	v_add_co_u32 v2, vcc_lo, s22, v2
	global_load_u16 v4, v[4:5], off
	v_add_co_ci_u32_e32 v3, vcc_lo, s23, v3, vcc_lo
	global_load_b32 v5, v[2:3], off
	s_waitcnt vmcnt(2)
	v_lshlrev_b32_e32 v6, 16, v6
	s_waitcnt vmcnt(1)
	v_lshlrev_b32_e32 v4, 16, v4
	s_delay_alu instid0(VALU_DEP_2) | instskip(NEXT) | instid1(VALU_DEP_1)
	v_mul_f32_e32 v6, s20, v6
	v_mul_f32_e32 v6, v6, v4
.LBB81_37:                              ;   Parent Loop BB81_31 Depth=1
                                        ; =>  This Inner Loop Header: Depth=2
	s_waitcnt vmcnt(0)
	s_delay_alu instid0(VALU_DEP_1)
	v_add_f32_e32 v4, v5, v6
	global_atomic_cmpswap_b32 v4, v[2:3], v[4:5], off glc
	s_waitcnt vmcnt(0)
	v_cmp_eq_u32_e32 vcc_lo, v4, v5
	v_mov_b32_e32 v5, v4
	s_or_b32 s18, vcc_lo, s18
	s_delay_alu instid0(SALU_CYCLE_1)
	s_and_not1_b32 exec_lo, exec_lo, s18
	s_cbranch_execnz .LBB81_37
	s_branch .LBB81_30
.LBB81_38:
	s_endpgm
	.section	.rodata,"a",@progbits
	.p2align	6, 0x0
	.amdhsa_kernel _ZL33csrmvn_symm_large_adaptive_kernelIll18rocsparse_bfloat16S0_ffEvbT_PKS1_N9rocsparse24const_host_device_scalarIT4_EES3_PKT0_PKT1_PKT2_S7_PT3_21rocsparse_index_base_b
		.amdhsa_group_segment_fixed_size 4096
		.amdhsa_private_segment_fixed_size 0
		.amdhsa_kernarg_size 88
		.amdhsa_user_sgpr_count 15
		.amdhsa_user_sgpr_dispatch_ptr 0
		.amdhsa_user_sgpr_queue_ptr 0
		.amdhsa_user_sgpr_kernarg_segment_ptr 1
		.amdhsa_user_sgpr_dispatch_id 0
		.amdhsa_user_sgpr_private_segment_size 0
		.amdhsa_wavefront_size32 1
		.amdhsa_uses_dynamic_stack 0
		.amdhsa_enable_private_segment 0
		.amdhsa_system_sgpr_workgroup_id_x 1
		.amdhsa_system_sgpr_workgroup_id_y 0
		.amdhsa_system_sgpr_workgroup_id_z 0
		.amdhsa_system_sgpr_workgroup_info 0
		.amdhsa_system_vgpr_workitem_id 0
		.amdhsa_next_free_vgpr 14
		.amdhsa_next_free_sgpr 36
		.amdhsa_reserve_vcc 1
		.amdhsa_float_round_mode_32 0
		.amdhsa_float_round_mode_16_64 0
		.amdhsa_float_denorm_mode_32 3
		.amdhsa_float_denorm_mode_16_64 3
		.amdhsa_dx10_clamp 1
		.amdhsa_ieee_mode 1
		.amdhsa_fp16_overflow 0
		.amdhsa_workgroup_processor_mode 1
		.amdhsa_memory_ordered 1
		.amdhsa_forward_progress 0
		.amdhsa_shared_vgpr_count 0
		.amdhsa_exception_fp_ieee_invalid_op 0
		.amdhsa_exception_fp_denorm_src 0
		.amdhsa_exception_fp_ieee_div_zero 0
		.amdhsa_exception_fp_ieee_overflow 0
		.amdhsa_exception_fp_ieee_underflow 0
		.amdhsa_exception_fp_ieee_inexact 0
		.amdhsa_exception_int_div_zero 0
	.end_amdhsa_kernel
	.section	.text._ZL33csrmvn_symm_large_adaptive_kernelIll18rocsparse_bfloat16S0_ffEvbT_PKS1_N9rocsparse24const_host_device_scalarIT4_EES3_PKT0_PKT1_PKT2_S7_PT3_21rocsparse_index_base_b,"axG",@progbits,_ZL33csrmvn_symm_large_adaptive_kernelIll18rocsparse_bfloat16S0_ffEvbT_PKS1_N9rocsparse24const_host_device_scalarIT4_EES3_PKT0_PKT1_PKT2_S7_PT3_21rocsparse_index_base_b,comdat
.Lfunc_end81:
	.size	_ZL33csrmvn_symm_large_adaptive_kernelIll18rocsparse_bfloat16S0_ffEvbT_PKS1_N9rocsparse24const_host_device_scalarIT4_EES3_PKT0_PKT1_PKT2_S7_PT3_21rocsparse_index_base_b, .Lfunc_end81-_ZL33csrmvn_symm_large_adaptive_kernelIll18rocsparse_bfloat16S0_ffEvbT_PKS1_N9rocsparse24const_host_device_scalarIT4_EES3_PKT0_PKT1_PKT2_S7_PT3_21rocsparse_index_base_b
                                        ; -- End function
	.section	.AMDGPU.csdata,"",@progbits
; Kernel info:
; codeLenInByte = 1980
; NumSgprs: 38
; NumVgprs: 14
; ScratchSize: 0
; MemoryBound: 0
; FloatMode: 240
; IeeeMode: 1
; LDSByteSize: 4096 bytes/workgroup (compile time only)
; SGPRBlocks: 4
; VGPRBlocks: 1
; NumSGPRsForWavesPerEU: 38
; NumVGPRsForWavesPerEU: 14
; Occupancy: 16
; WaveLimiterHint : 1
; COMPUTE_PGM_RSRC2:SCRATCH_EN: 0
; COMPUTE_PGM_RSRC2:USER_SGPR: 15
; COMPUTE_PGM_RSRC2:TRAP_HANDLER: 0
; COMPUTE_PGM_RSRC2:TGID_X_EN: 1
; COMPUTE_PGM_RSRC2:TGID_Y_EN: 0
; COMPUTE_PGM_RSRC2:TGID_Z_EN: 0
; COMPUTE_PGM_RSRC2:TIDIG_COMP_CNT: 0
	.section	.text._ZN9rocsparseL22csrmvn_adaptive_kernelIiif21rocsparse_complex_numIfES2_S2_EEvbT_PKS3_PjPKT0_NS_24const_host_device_scalarIT4_EES5_S9_PKT1_PKT2_SC_PT3_21rocsparse_index_base_b,"axG",@progbits,_ZN9rocsparseL22csrmvn_adaptive_kernelIiif21rocsparse_complex_numIfES2_S2_EEvbT_PKS3_PjPKT0_NS_24const_host_device_scalarIT4_EES5_S9_PKT1_PKT2_SC_PT3_21rocsparse_index_base_b,comdat
	.globl	_ZN9rocsparseL22csrmvn_adaptive_kernelIiif21rocsparse_complex_numIfES2_S2_EEvbT_PKS3_PjPKT0_NS_24const_host_device_scalarIT4_EES5_S9_PKT1_PKT2_SC_PT3_21rocsparse_index_base_b ; -- Begin function _ZN9rocsparseL22csrmvn_adaptive_kernelIiif21rocsparse_complex_numIfES2_S2_EEvbT_PKS3_PjPKT0_NS_24const_host_device_scalarIT4_EES5_S9_PKT1_PKT2_SC_PT3_21rocsparse_index_base_b
	.p2align	8
	.type	_ZN9rocsparseL22csrmvn_adaptive_kernelIiif21rocsparse_complex_numIfES2_S2_EEvbT_PKS3_PjPKT0_NS_24const_host_device_scalarIT4_EES5_S9_PKT1_PKT2_SC_PT3_21rocsparse_index_base_b,@function
_ZN9rocsparseL22csrmvn_adaptive_kernelIiif21rocsparse_complex_numIfES2_S2_EEvbT_PKS3_PjPKT0_NS_24const_host_device_scalarIT4_EES5_S9_PKT1_PKT2_SC_PT3_21rocsparse_index_base_b: ; @_ZN9rocsparseL22csrmvn_adaptive_kernelIiif21rocsparse_complex_numIfES2_S2_EEvbT_PKS3_PjPKT0_NS_24const_host_device_scalarIT4_EES5_S9_PKT1_PKT2_SC_PT3_21rocsparse_index_base_b
; %bb.0:
	s_clause 0x2
	s_load_b64 s[26:27], s[0:1], 0x58
	s_load_b64 s[4:5], s[0:1], 0x20
	;; [unrolled: 1-line block ×3, first 2 shown]
	s_mov_b32 s30, s15
	s_waitcnt lgkmcnt(0)
	s_bitcmp1_b32 s27, 0
	v_mov_b32_e32 v10, s4
	s_cselect_b32 s6, -1, 0
	s_delay_alu instid0(SALU_CYCLE_1)
	s_and_b32 vcc_lo, exec_lo, s6
	s_xor_b32 s6, s6, -1
	s_cbranch_vccz .LBB82_37
; %bb.1:
	v_cndmask_b32_e64 v1, 0, 1, s6
	v_mov_b32_e32 v11, s5
	s_and_not1_b32 vcc_lo, exec_lo, s6
	s_cbranch_vccz .LBB82_38
.LBB82_2:
	s_delay_alu instid0(VALU_DEP_2)
	v_cmp_ne_u32_e32 vcc_lo, 1, v1
	v_mov_b32_e32 v8, s2
	s_cbranch_vccz .LBB82_39
.LBB82_3:
	v_cmp_ne_u32_e32 vcc_lo, 1, v1
	v_mov_b32_e32 v9, s3
	s_cbranch_vccnz .LBB82_5
.LBB82_4:
	v_dual_mov_b32 v1, s2 :: v_dual_mov_b32 v2, s3
	flat_load_b32 v9, v[1:2] offset:4
.LBB82_5:
	s_waitcnt vmcnt(0) lgkmcnt(0)
	v_cmp_eq_f32_e32 vcc_lo, 0, v10
	v_cmp_eq_f32_e64 s2, 0, v11
	s_delay_alu instid0(VALU_DEP_1)
	s_and_b32 s4, vcc_lo, s2
	s_mov_b32 s2, -1
	s_and_saveexec_b32 s3, s4
; %bb.6:
	v_cmp_neq_f32_e32 vcc_lo, 1.0, v8
	v_cmp_neq_f32_e64 s2, 0, v9
	s_delay_alu instid0(VALU_DEP_1) | instskip(NEXT) | instid1(SALU_CYCLE_1)
	s_or_b32 s2, vcc_lo, s2
	s_or_not1_b32 s2, s2, exec_lo
; %bb.7:
	s_or_b32 exec_lo, exec_lo, s3
	s_and_saveexec_b32 s3, s2
	s_cbranch_execz .LBB82_125
; %bb.8:
	s_clause 0x2
	s_load_b64 s[2:3], s[0:1], 0x8
	s_load_b64 s[4:5], s[0:1], 0x18
	;; [unrolled: 1-line block ×3, first 2 shown]
	s_ashr_i32 s31, s30, 31
	s_delay_alu instid0(SALU_CYCLE_1)
	s_lshl_b64 s[34:35], s[30:31], 2
	s_waitcnt lgkmcnt(0)
	s_add_u32 s2, s2, s34
	s_addc_u32 s3, s3, s35
	s_load_b64 s[22:23], s[2:3], 0x0
	s_load_b256 s[12:19], s[0:1], 0x28
	s_mov_b32 s3, -1
	s_waitcnt lgkmcnt(0)
	s_sub_i32 s2, s23, s22
	s_add_u32 s4, s4, s34
	s_addc_u32 s5, s5, s35
	s_ashr_i32 s29, s22, 31
	s_mov_b32 s28, s22
	s_delay_alu instid0(SALU_CYCLE_1) | instskip(NEXT) | instid1(SALU_CYCLE_1)
	s_lshl_b64 s[6:7], s[28:29], 2
	s_add_u32 s24, s12, s6
	s_addc_u32 s25, s13, s7
	s_load_b32 s11, s[4:5], 0x0
	s_load_b32 s27, s[24:25], 0x0
	s_cmp_lt_i32 s2, 2
	s_cbranch_scc0 .LBB82_81
; %bb.9:
	s_cmp_lg_u32 s2, 1
	s_cselect_b32 s2, -1, 0
	s_waitcnt lgkmcnt(0)
	s_cmp_lg_u32 s11, 0
	s_cselect_b32 s3, -1, 0
	s_delay_alu instid0(SALU_CYCLE_1) | instskip(NEXT) | instid1(SALU_CYCLE_1)
	s_or_b32 s2, s2, s3
	s_and_b32 vcc_lo, exec_lo, s2
	s_mov_b32 s2, -1
	s_cbranch_vccnz .LBB82_41
; %bb.10:
	s_cmp_le_i32 s23, s22
	s_cbranch_scc1 .LBB82_40
; %bb.11:
	v_cmp_neq_f32_e64 s9, 0, v8
	v_cmp_neq_f32_e64 s10, 0, v9
	v_subrev_nc_u32_e32 v12, s26, v0
	v_dual_mul_f32 v13, 0x80000000, v11 :: v_dual_mul_f32 v14, 0, v10
	v_dual_mov_b32 v16, 0 :: v_dual_lshlrev_b32 v15, 3, v0
	v_cmp_gt_u32_e32 vcc_lo, 0x80, v0
	v_cmp_gt_u32_e64 s2, 64, v0
	v_cmp_gt_u32_e64 s3, 32, v0
	;; [unrolled: 1-line block ×6, first 2 shown]
	v_cmp_eq_u32_e64 s8, 0, v0
	s_or_b32 s31, s9, s10
	s_add_u32 s33, s12, 4
	s_addc_u32 s38, s13, 0
	s_mov_b32 s39, s27
	s_mov_b32 s36, s22
	s_branch .LBB82_14
.LBB82_12:                              ;   in Loop: Header=BB82_14 Depth=1
	s_or_b32 exec_lo, exec_lo, s10
	s_lshl_b64 s[40:41], s[36:37], 3
	s_delay_alu instid0(SALU_CYCLE_1)
	s_add_u32 s40, s20, s40
	s_addc_u32 s41, s21, s41
	s_waitcnt lgkmcnt(0)
	global_store_b64 v16, v[1:2], s[40:41]
.LBB82_13:                              ;   in Loop: Header=BB82_14 Depth=1
	s_or_b32 exec_lo, exec_lo, s9
	s_add_i32 s36, s36, 1
	s_delay_alu instid0(SALU_CYCLE_1)
	s_cmp_ge_i32 s36, s23
	s_cbranch_scc1 .LBB82_40
.LBB82_14:                              ; =>This Loop Header: Depth=1
                                        ;     Child Loop BB82_16 Depth 2
	s_ashr_i32 s37, s36, 31
	s_mov_b32 s9, s39
	s_lshl_b64 s[40:41], s[36:37], 2
	v_dual_mov_b32 v2, 0 :: v_dual_add_nc_u32 v1, s9, v12
	s_add_u32 s40, s33, s40
	s_addc_u32 s41, s38, s41
	v_mov_b32_e32 v3, 0
	s_load_b32 s39, s[40:41], 0x0
	s_mov_b32 s40, exec_lo
	s_waitcnt lgkmcnt(0)
	s_sub_i32 s41, s39, s26
	s_delay_alu instid0(SALU_CYCLE_1)
	v_cmpx_gt_i32_e64 s41, v1
	s_cbranch_execz .LBB82_18
; %bb.15:                               ;   in Loop: Header=BB82_14 Depth=1
	v_ashrrev_i32_e32 v2, 31, v1
	v_mov_b32_e32 v3, 0
	s_mov_b32 s42, 0
	s_delay_alu instid0(VALU_DEP_2) | instskip(NEXT) | instid1(VALU_DEP_2)
	v_lshlrev_b64 v[6:7], 2, v[1:2]
	v_mov_b32_e32 v2, v3
	s_delay_alu instid0(VALU_DEP_2) | instskip(NEXT) | instid1(VALU_DEP_1)
	v_add_co_u32 v4, s9, s16, v6
	v_add_co_ci_u32_e64 v5, s9, s17, v7, s9
	v_add_co_u32 v6, s9, s14, v6
	s_delay_alu instid0(VALU_DEP_1)
	v_add_co_ci_u32_e64 v7, s9, s15, v7, s9
	s_set_inst_prefetch_distance 0x1
	.p2align	6
.LBB82_16:                              ;   Parent Loop BB82_14 Depth=1
                                        ; =>  This Inner Loop Header: Depth=2
	global_load_b32 v17, v[6:7], off
	global_load_b32 v19, v[4:5], off
	v_add_nc_u32_e32 v1, 0x100, v1
	s_delay_alu instid0(VALU_DEP_1) | instskip(NEXT) | instid1(VALU_DEP_1)
	v_cmp_le_i32_e64 s10, s41, v1
	s_or_b32 s42, s10, s42
	s_waitcnt vmcnt(1)
	v_subrev_nc_u32_e32 v17, s26, v17
	s_waitcnt vmcnt(0)
	v_fma_f32 v20, v10, v19, v13
	v_fma_f32 v19, v11, v19, v14
	s_delay_alu instid0(VALU_DEP_3) | instskip(NEXT) | instid1(VALU_DEP_1)
	v_ashrrev_i32_e32 v18, 31, v17
	v_lshlrev_b64 v[17:18], 3, v[17:18]
	s_delay_alu instid0(VALU_DEP_1) | instskip(NEXT) | instid1(VALU_DEP_1)
	v_add_co_u32 v17, s9, s18, v17
	v_add_co_ci_u32_e64 v18, s9, s19, v18, s9
	v_add_co_u32 v4, s9, 0x400, v4
	s_delay_alu instid0(VALU_DEP_1) | instskip(SKIP_2) | instid1(VALU_DEP_1)
	v_add_co_ci_u32_e64 v5, s9, 0, v5, s9
	global_load_b64 v[17:18], v[17:18], off
	v_add_co_u32 v6, s9, 0x400, v6
	v_add_co_ci_u32_e64 v7, s9, 0, v7, s9
	s_waitcnt vmcnt(0)
	v_fmac_f32_e32 v2, v20, v17
	v_fmac_f32_e32 v3, v19, v17
	s_delay_alu instid0(VALU_DEP_2) | instskip(NEXT) | instid1(VALU_DEP_2)
	v_fma_f32 v2, -v19, v18, v2
	v_fmac_f32_e32 v3, v20, v18
	s_and_not1_b32 exec_lo, exec_lo, s42
	s_cbranch_execnz .LBB82_16
; %bb.17:                               ;   in Loop: Header=BB82_14 Depth=1
	s_set_inst_prefetch_distance 0x2
	s_or_b32 exec_lo, exec_lo, s42
.LBB82_18:                              ;   in Loop: Header=BB82_14 Depth=1
	s_delay_alu instid0(SALU_CYCLE_1)
	s_or_b32 exec_lo, exec_lo, s40
	ds_store_b64 v15, v[2:3]
	s_waitcnt lgkmcnt(0)
	s_waitcnt_vscnt null, 0x0
	s_barrier
	buffer_gl0_inv
	s_and_saveexec_b32 s9, vcc_lo
	s_cbranch_execz .LBB82_20
; %bb.19:                               ;   in Loop: Header=BB82_14 Depth=1
	ds_load_2addr_stride64_b64 v[1:4], v15 offset1:2
	s_waitcnt lgkmcnt(0)
	v_dual_add_f32 v1, v3, v1 :: v_dual_add_f32 v2, v4, v2
	ds_store_b64 v15, v[1:2]
.LBB82_20:                              ;   in Loop: Header=BB82_14 Depth=1
	s_or_b32 exec_lo, exec_lo, s9
	s_waitcnt lgkmcnt(0)
	s_barrier
	buffer_gl0_inv
	s_and_saveexec_b32 s9, s2
	s_cbranch_execz .LBB82_22
; %bb.21:                               ;   in Loop: Header=BB82_14 Depth=1
	ds_load_2addr_stride64_b64 v[1:4], v15 offset1:1
	s_waitcnt lgkmcnt(0)
	v_dual_add_f32 v1, v3, v1 :: v_dual_add_f32 v2, v4, v2
	ds_store_b64 v15, v[1:2]
.LBB82_22:                              ;   in Loop: Header=BB82_14 Depth=1
	s_or_b32 exec_lo, exec_lo, s9
	s_waitcnt lgkmcnt(0)
	s_barrier
	buffer_gl0_inv
	s_and_saveexec_b32 s9, s3
	s_cbranch_execz .LBB82_24
; %bb.23:                               ;   in Loop: Header=BB82_14 Depth=1
	ds_load_2addr_b64 v[1:4], v15 offset1:32
	s_waitcnt lgkmcnt(0)
	v_dual_add_f32 v1, v3, v1 :: v_dual_add_f32 v2, v4, v2
	ds_store_b64 v15, v[1:2]
.LBB82_24:                              ;   in Loop: Header=BB82_14 Depth=1
	s_or_b32 exec_lo, exec_lo, s9
	s_waitcnt lgkmcnt(0)
	s_barrier
	buffer_gl0_inv
	s_and_saveexec_b32 s9, s4
	s_cbranch_execz .LBB82_26
; %bb.25:                               ;   in Loop: Header=BB82_14 Depth=1
	ds_load_2addr_b64 v[1:4], v15 offset1:16
	s_waitcnt lgkmcnt(0)
	v_dual_add_f32 v1, v3, v1 :: v_dual_add_f32 v2, v4, v2
	ds_store_b64 v15, v[1:2]
.LBB82_26:                              ;   in Loop: Header=BB82_14 Depth=1
	s_or_b32 exec_lo, exec_lo, s9
	s_waitcnt lgkmcnt(0)
	s_barrier
	buffer_gl0_inv
	s_and_saveexec_b32 s9, s5
	s_cbranch_execz .LBB82_28
; %bb.27:                               ;   in Loop: Header=BB82_14 Depth=1
	ds_load_2addr_b64 v[1:4], v15 offset1:8
	s_waitcnt lgkmcnt(0)
	v_dual_add_f32 v1, v3, v1 :: v_dual_add_f32 v2, v4, v2
	ds_store_b64 v15, v[1:2]
.LBB82_28:                              ;   in Loop: Header=BB82_14 Depth=1
	s_or_b32 exec_lo, exec_lo, s9
	s_waitcnt lgkmcnt(0)
	s_barrier
	buffer_gl0_inv
	s_and_saveexec_b32 s9, s6
	s_cbranch_execz .LBB82_30
; %bb.29:                               ;   in Loop: Header=BB82_14 Depth=1
	ds_load_2addr_b64 v[1:4], v15 offset1:4
	s_waitcnt lgkmcnt(0)
	v_dual_add_f32 v1, v3, v1 :: v_dual_add_f32 v2, v4, v2
	ds_store_b64 v15, v[1:2]
.LBB82_30:                              ;   in Loop: Header=BB82_14 Depth=1
	s_or_b32 exec_lo, exec_lo, s9
	s_waitcnt lgkmcnt(0)
	s_barrier
	buffer_gl0_inv
	s_and_saveexec_b32 s9, s7
	s_cbranch_execz .LBB82_32
; %bb.31:                               ;   in Loop: Header=BB82_14 Depth=1
	ds_load_2addr_b64 v[1:4], v15 offset1:2
	s_waitcnt lgkmcnt(0)
	v_dual_add_f32 v1, v3, v1 :: v_dual_add_f32 v2, v4, v2
	ds_store_b64 v15, v[1:2]
.LBB82_32:                              ;   in Loop: Header=BB82_14 Depth=1
	s_or_b32 exec_lo, exec_lo, s9
	s_waitcnt lgkmcnt(0)
	s_barrier
	buffer_gl0_inv
	s_and_saveexec_b32 s9, s8
	s_cbranch_execz .LBB82_34
; %bb.33:                               ;   in Loop: Header=BB82_14 Depth=1
	ds_load_2addr_b64 v[1:4], v16 offset1:1
	s_waitcnt lgkmcnt(0)
	v_dual_add_f32 v1, v3, v1 :: v_dual_add_f32 v2, v4, v2
	ds_store_b64 v16, v[1:2]
.LBB82_34:                              ;   in Loop: Header=BB82_14 Depth=1
	s_or_b32 exec_lo, exec_lo, s9
	s_waitcnt lgkmcnt(0)
	s_barrier
	buffer_gl0_inv
	s_and_saveexec_b32 s9, s8
	s_cbranch_execz .LBB82_13
; %bb.35:                               ;   in Loop: Header=BB82_14 Depth=1
	ds_load_b64 v[1:2], v16
	s_and_saveexec_b32 s10, s31
	s_cbranch_execz .LBB82_12
; %bb.36:                               ;   in Loop: Header=BB82_14 Depth=1
	s_lshl_b64 s[40:41], s[36:37], 3
	s_delay_alu instid0(SALU_CYCLE_1)
	s_add_u32 s40, s20, s40
	s_addc_u32 s41, s21, s41
	global_load_b64 v[3:4], v16, s[40:41]
	s_waitcnt vmcnt(0) lgkmcnt(0)
	v_fma_f32 v1, v8, v3, v1
	v_fmac_f32_e32 v2, v9, v3
	s_delay_alu instid0(VALU_DEP_2) | instskip(NEXT) | instid1(VALU_DEP_2)
	v_fma_f32 v1, -v9, v4, v1
	v_fmac_f32_e32 v2, v8, v4
	s_branch .LBB82_12
.LBB82_37:
	v_dual_mov_b32 v1, s4 :: v_dual_mov_b32 v2, s5
	flat_load_b32 v10, v[1:2]
	v_cndmask_b32_e64 v1, 0, 1, s6
	v_mov_b32_e32 v11, s5
	s_and_not1_b32 vcc_lo, exec_lo, s6
	s_cbranch_vccnz .LBB82_2
.LBB82_38:
	v_dual_mov_b32 v2, s4 :: v_dual_mov_b32 v3, s5
	flat_load_b32 v11, v[2:3] offset:4
	v_cmp_ne_u32_e32 vcc_lo, 1, v1
	v_mov_b32_e32 v8, s2
	s_cbranch_vccnz .LBB82_3
.LBB82_39:
	v_dual_mov_b32 v2, s2 :: v_dual_mov_b32 v3, s3
	flat_load_b32 v8, v[2:3]
	v_cmp_ne_u32_e32 vcc_lo, 1, v1
	v_mov_b32_e32 v9, s3
	s_cbranch_vccz .LBB82_4
	s_branch .LBB82_5
.LBB82_40:
	s_mov_b32 s2, 0
.LBB82_41:
	s_delay_alu instid0(SALU_CYCLE_1)
	s_and_not1_b32 vcc_lo, exec_lo, s2
	s_cbranch_vccnz .LBB82_80
; %bb.42:
	s_load_b64 s[6:7], s[0:1], 0x10
	s_sub_i32 s8, s30, s11
	v_or_b32_e32 v1, s11, v0
	v_mov_b32_e32 v2, 0
	s_delay_alu instid0(VALU_DEP_2)
	v_cmp_eq_u32_e32 vcc_lo, 0, v1
	v_mov_b32_e32 v1, 0
	s_waitcnt lgkmcnt(0)
	s_add_u32 s4, s6, s34
	s_addc_u32 s5, s7, s35
	s_load_b32 s10, s[4:5], 0x0
	s_and_saveexec_b32 s2, vcc_lo
	s_cbranch_execz .LBB82_46
; %bb.43:
	s_lshl_b64 s[30:31], s[28:29], 3
	v_dual_mov_b32 v5, 0 :: v_dual_add_f32 v6, -1.0, v8
	s_add_u32 s30, s20, s30
	s_addc_u32 s31, s21, s31
	s_mov_b32 s3, exec_lo
	global_load_b64 v[3:4], v5, s[30:31]
	v_mbcnt_lo_u32_b32 v7, s3, 0
	s_mov_b32 s30, exec_lo
	s_waitcnt vmcnt(0) expcnt(0) lgkmcnt(0)
	s_waitcnt_vscnt null, 0x0
	v_mul_f32_e64 v1, v4, -v9
	v_mul_f32_e32 v2, v6, v4
	v_cmpx_eq_u32_e32 0, v7
	s_cbranch_execz .LBB82_45
; %bb.44:
	s_ashr_i32 s9, s8, 31
	s_delay_alu instid0(SALU_CYCLE_1) | instskip(NEXT) | instid1(SALU_CYCLE_1)
	s_lshl_b64 s[34:35], s[8:9], 2
	s_add_u32 s34, s6, s34
	s_addc_u32 s35, s7, s35
	s_bcnt1_i32_b32 s3, s3
	s_delay_alu instid0(SALU_CYCLE_1) | instskip(NEXT) | instid1(SALU_CYCLE_1)
	s_and_b32 s3, s3, 1
	v_mov_b32_e32 v4, s3
	global_atomic_xor_b32 v5, v4, s[34:35]
.LBB82_45:
	s_or_b32 exec_lo, exec_lo, s30
	v_fmac_f32_e32 v1, v6, v3
	v_fmac_f32_e32 v2, v9, v3
.LBB82_46:
	s_or_b32 exec_lo, exec_lo, s2
	s_load_b32 s2, s[24:25], 0x4
	s_mul_i32 s3, s11, 0xc00
	s_sub_i32 s9, s27, s26
	s_delay_alu instid0(SALU_CYCLE_1)
	s_add_i32 s9, s9, s3
	s_mov_b32 s3, exec_lo
	v_add_nc_u32_e32 v3, s9, v0
	s_waitcnt lgkmcnt(0)
	s_sub_i32 s2, s2, s26
	s_delay_alu instid0(VALU_DEP_1) | instid1(SALU_CYCLE_1)
	v_cmpx_gt_i32_e64 s2, v3
	s_cbranch_execz .LBB82_50
; %bb.47:
	v_ashrrev_i32_e32 v4, 31, v3
	v_dual_mul_f32 v12, 0x80000000, v11 :: v_dual_mul_f32 v13, 0, v10
	s_addk_i32 s9, 0xc00
	s_delay_alu instid0(SALU_CYCLE_1) | instskip(NEXT) | instid1(VALU_DEP_2)
	s_min_i32 s30, s9, s2
	v_lshlrev_b64 v[6:7], 2, v[3:4]
	s_mov_b32 s9, 0
	s_delay_alu instid0(VALU_DEP_1) | instskip(NEXT) | instid1(VALU_DEP_2)
	v_add_co_u32 v4, vcc_lo, s16, v6
	v_add_co_ci_u32_e32 v5, vcc_lo, s17, v7, vcc_lo
	v_add_co_u32 v6, vcc_lo, s14, v6
	v_add_co_ci_u32_e32 v7, vcc_lo, s15, v7, vcc_lo
	s_set_inst_prefetch_distance 0x1
	.p2align	6
.LBB82_48:                              ; =>This Inner Loop Header: Depth=1
	global_load_b32 v14, v[6:7], off
	global_load_b32 v16, v[4:5], off
	s_waitcnt vmcnt(1)
	v_subrev_nc_u32_e32 v14, s26, v14
	s_waitcnt vmcnt(0)
	v_fma_f32 v17, v10, v16, v12
	v_fma_f32 v16, v11, v16, v13
	s_delay_alu instid0(VALU_DEP_3) | instskip(NEXT) | instid1(VALU_DEP_1)
	v_ashrrev_i32_e32 v15, 31, v14
	v_lshlrev_b64 v[14:15], 3, v[14:15]
	s_delay_alu instid0(VALU_DEP_1) | instskip(NEXT) | instid1(VALU_DEP_2)
	v_add_co_u32 v14, vcc_lo, s18, v14
	v_add_co_ci_u32_e32 v15, vcc_lo, s19, v15, vcc_lo
	v_add_co_u32 v4, vcc_lo, 0x400, v4
	v_add_co_ci_u32_e32 v5, vcc_lo, 0, v5, vcc_lo
	global_load_b64 v[14:15], v[14:15], off
	v_add_nc_u32_e32 v3, 0x100, v3
	v_add_co_u32 v6, vcc_lo, 0x400, v6
	v_add_co_ci_u32_e32 v7, vcc_lo, 0, v7, vcc_lo
	s_waitcnt vmcnt(0)
	v_fmac_f32_e32 v2, v16, v14
	v_fmac_f32_e32 v1, v17, v14
	v_cmp_le_i32_e64 s2, s30, v3
	s_delay_alu instid0(VALU_DEP_3) | instskip(NEXT) | instid1(VALU_DEP_3)
	v_fmac_f32_e32 v2, v17, v15
	v_fma_f32 v1, -v16, v15, v1
	s_delay_alu instid0(VALU_DEP_3) | instskip(NEXT) | instid1(SALU_CYCLE_1)
	s_or_b32 s9, s2, s9
	s_and_not1_b32 exec_lo, exec_lo, s9
	s_cbranch_execnz .LBB82_48
; %bb.49:
	s_set_inst_prefetch_distance 0x2
	s_or_b32 exec_lo, exec_lo, s9
.LBB82_50:
	s_delay_alu instid0(SALU_CYCLE_1)
	s_or_b32 exec_lo, exec_lo, s3
	v_lshlrev_b32_e32 v3, 3, v0
	s_mov_b32 s2, exec_lo
	ds_store_b64 v3, v[1:2]
	s_waitcnt lgkmcnt(0)
	s_waitcnt_vscnt null, 0x0
	s_barrier
	buffer_gl0_inv
	v_cmpx_gt_u32_e32 0x80, v0
	s_cbranch_execz .LBB82_52
; %bb.51:
	ds_load_2addr_stride64_b64 v[4:7], v3 offset1:2
	s_waitcnt lgkmcnt(0)
	v_dual_add_f32 v1, v6, v4 :: v_dual_add_f32 v2, v7, v5
	ds_store_b64 v3, v[1:2]
.LBB82_52:
	s_or_b32 exec_lo, exec_lo, s2
	s_delay_alu instid0(SALU_CYCLE_1)
	s_mov_b32 s2, exec_lo
	s_waitcnt lgkmcnt(0)
	s_barrier
	buffer_gl0_inv
	v_cmpx_gt_u32_e32 64, v0
	s_cbranch_execz .LBB82_54
; %bb.53:
	ds_load_2addr_stride64_b64 v[4:7], v3 offset1:1
	s_waitcnt lgkmcnt(0)
	v_dual_add_f32 v1, v6, v4 :: v_dual_add_f32 v2, v7, v5
	ds_store_b64 v3, v[1:2]
.LBB82_54:
	s_or_b32 exec_lo, exec_lo, s2
	s_delay_alu instid0(SALU_CYCLE_1)
	s_mov_b32 s2, exec_lo
	s_waitcnt lgkmcnt(0)
	s_barrier
	buffer_gl0_inv
	v_cmpx_gt_u32_e32 32, v0
	s_cbranch_execz .LBB82_56
; %bb.55:
	ds_load_2addr_b64 v[4:7], v3 offset1:32
	s_waitcnt lgkmcnt(0)
	v_dual_add_f32 v1, v6, v4 :: v_dual_add_f32 v2, v7, v5
	ds_store_b64 v3, v[1:2]
.LBB82_56:
	s_or_b32 exec_lo, exec_lo, s2
	s_delay_alu instid0(SALU_CYCLE_1)
	s_mov_b32 s2, exec_lo
	s_waitcnt lgkmcnt(0)
	s_barrier
	buffer_gl0_inv
	v_cmpx_gt_u32_e32 16, v0
	s_cbranch_execz .LBB82_58
; %bb.57:
	ds_load_2addr_b64 v[4:7], v3 offset1:16
	s_waitcnt lgkmcnt(0)
	v_dual_add_f32 v1, v6, v4 :: v_dual_add_f32 v2, v7, v5
	ds_store_b64 v3, v[1:2]
.LBB82_58:
	;; [unrolled: 14-line block ×5, first 2 shown]
	s_or_b32 exec_lo, exec_lo, s2
	v_cmp_eq_u32_e32 vcc_lo, 0, v0
	s_waitcnt lgkmcnt(0)
	s_barrier
	buffer_gl0_inv
	s_and_saveexec_b32 s2, vcc_lo
	s_cbranch_execz .LBB82_66
; %bb.65:
	v_mov_b32_e32 v5, 0
	ds_load_2addr_b64 v[1:4], v5 offset1:1
	s_waitcnt lgkmcnt(0)
	v_dual_add_f32 v2, v4, v2 :: v_dual_add_f32 v1, v3, v1
	ds_store_b64 v5, v[1:2]
.LBB82_66:
	s_or_b32 exec_lo, exec_lo, s2
	s_waitcnt lgkmcnt(0)
	s_barrier
	buffer_gl0_inv
	s_and_saveexec_b32 s30, vcc_lo
	s_cbranch_execz .LBB82_79
; %bb.67:
	s_cmp_eq_u32 s11, 0
	s_cbranch_scc1 .LBB82_73
; %bb.68:
	s_ashr_i32 s9, s8, 31
	v_mov_b32_e32 v1, 0
	s_lshl_b64 s[2:3], s[8:9], 2
	s_delay_alu instid0(SALU_CYCLE_1)
	s_add_u32 s2, s6, s2
	s_addc_u32 s3, s7, s3
	s_branch .LBB82_70
.LBB82_69:                              ;   in Loop: Header=BB82_70 Depth=1
	s_or_b32 exec_lo, exec_lo, s6
	s_waitcnt vmcnt(0)
	v_readfirstlane_b32 s6, v2
	s_delay_alu instid0(VALU_DEP_1)
	s_cmp_eq_u32 s6, s10
	s_cbranch_scc0 .LBB82_72
.LBB82_70:                              ; =>This Inner Loop Header: Depth=1
	v_mbcnt_lo_u32_b32 v2, exec_lo, 0
	s_delay_alu instid0(VALU_DEP_1)
	v_cmp_eq_u32_e32 vcc_lo, 0, v2
                                        ; implicit-def: $vgpr2
	s_and_saveexec_b32 s6, vcc_lo
	s_cbranch_execz .LBB82_69
; %bb.71:                               ;   in Loop: Header=BB82_70 Depth=1
	global_load_b32 v2, v1, s[2:3] glc
	s_branch .LBB82_69
.LBB82_72:
	v_mov_b32_e32 v1, 0
	global_load_b32 v2, v1, s[4:5]
	s_waitcnt vmcnt(0)
	v_xor_b32_e32 v2, 1, v2
	global_store_b32 v1, v2, s[4:5]
.LBB82_73:
	v_mov_b32_e32 v5, 0
	s_mov_b32 s5, exec_lo
	s_lshl_b64 s[2:3], s[28:29], 3
	v_mbcnt_lo_u32_b32 v3, s5, 0
	s_add_u32 s2, s20, s2
	ds_load_b64 v[1:2], v5
	s_addc_u32 s3, s21, s3
	s_mov_b32 s4, exec_lo
	v_cmpx_eq_u32_e32 0, v3
	s_cbranch_execz .LBB82_76
; %bb.74:
	global_load_b32 v4, v5, s[2:3]
	s_bcnt1_i32_b32 s5, s5
	s_delay_alu instid0(SALU_CYCLE_1) | instskip(SKIP_2) | instid1(VALU_DEP_1)
	v_cvt_f32_ubyte0_e32 v3, s5
	s_mov_b32 s5, 0
	s_waitcnt lgkmcnt(0)
	v_mul_f32_e32 v1, v1, v3
.LBB82_75:                              ; =>This Inner Loop Header: Depth=1
	s_waitcnt vmcnt(0)
	s_delay_alu instid0(VALU_DEP_1)
	v_add_f32_e32 v3, v4, v1
	global_atomic_cmpswap_b32 v3, v5, v[3:4], s[2:3] glc
	s_waitcnt vmcnt(0)
	v_cmp_eq_u32_e32 vcc_lo, v3, v4
	v_mov_b32_e32 v4, v3
	s_or_b32 s5, vcc_lo, s5
	s_delay_alu instid0(SALU_CYCLE_1)
	s_and_not1_b32 exec_lo, exec_lo, s5
	s_cbranch_execnz .LBB82_75
.LBB82_76:
	s_or_b32 exec_lo, exec_lo, s4
	s_delay_alu instid0(SALU_CYCLE_1) | instskip(SKIP_3) | instid1(VALU_DEP_1)
	s_mov_b32 s5, exec_lo
	s_mov_b32 s4, 0
	s_waitcnt lgkmcnt(0)
	v_mbcnt_lo_u32_b32 v1, s5, 0
	v_cmp_eq_u32_e32 vcc_lo, 0, v1
	s_and_b32 s6, exec_lo, vcc_lo
	s_delay_alu instid0(SALU_CYCLE_1)
	s_mov_b32 exec_lo, s6
	s_cbranch_execz .LBB82_79
; %bb.77:
	s_bcnt1_i32_b32 s5, s5
	s_delay_alu instid0(SALU_CYCLE_1) | instskip(NEXT) | instid1(VALU_DEP_1)
	v_cvt_f32_ubyte0_e32 v4, s5
	v_dual_mov_b32 v1, 0 :: v_dual_mul_f32 v4, v2, v4
	global_load_b32 v3, v1, s[2:3] offset:4
.LBB82_78:                              ; =>This Inner Loop Header: Depth=1
	s_waitcnt vmcnt(0)
	v_add_f32_e32 v2, v3, v4
	global_atomic_cmpswap_b32 v2, v1, v[2:3], s[2:3] offset:4 glc
	s_waitcnt vmcnt(0)
	v_cmp_eq_u32_e32 vcc_lo, v2, v3
	v_mov_b32_e32 v3, v2
	s_or_b32 s4, vcc_lo, s4
	s_delay_alu instid0(SALU_CYCLE_1)
	s_and_not1_b32 exec_lo, exec_lo, s4
	s_cbranch_execnz .LBB82_78
.LBB82_79:
	s_or_b32 exec_lo, exec_lo, s30
.LBB82_80:
	s_mov_b32 s3, 0
.LBB82_81:
	s_delay_alu instid0(SALU_CYCLE_1)
	s_and_not1_b32 vcc_lo, exec_lo, s3
	s_cbranch_vccnz .LBB82_125
; %bb.82:
	s_load_b32 s0, s[0:1], 0x4
	v_subrev_nc_u32_e32 v1, s26, v0
	s_waitcnt lgkmcnt(0)
	s_delay_alu instid0(VALU_DEP_1) | instskip(NEXT) | instid1(VALU_DEP_1)
	v_add_nc_u32_e32 v1, s27, v1
	v_add_nc_u32_e32 v2, 0x300, v1
	s_delay_alu instid0(VALU_DEP_1) | instskip(SKIP_1) | instid1(SALU_CYCLE_1)
	v_cmp_le_i32_e32 vcc_lo, s0, v2
	s_and_saveexec_b32 s0, vcc_lo
	s_xor_b32 s0, exec_lo, s0
	s_cbranch_execz .LBB82_87
; %bb.83:
	s_ashr_i32 s3, s23, 31
	s_mov_b32 s2, s23
	s_delay_alu instid0(SALU_CYCLE_1) | instskip(NEXT) | instid1(SALU_CYCLE_1)
	s_lshl_b64 s[2:3], s[2:3], 2
	s_add_u32 s2, s12, s2
	s_addc_u32 s3, s13, s3
	s_load_b32 s1, s[2:3], 0x0
	s_mov_b32 s2, exec_lo
	s_waitcnt lgkmcnt(0)
	s_sub_i32 s1, s1, s26
	s_delay_alu instid0(SALU_CYCLE_1)
	v_cmpx_gt_i32_e64 s1, v1
	s_cbranch_execz .LBB82_86
; %bb.84:
	v_dual_mul_f32 v3, 0x80000000, v11 :: v_dual_mul_f32 v4, 0, v10
	v_lshlrev_b32_e32 v5, 3, v0
	s_mov_b32 s3, 0
	s_set_inst_prefetch_distance 0x1
	.p2align	6
.LBB82_85:                              ; =>This Inner Loop Header: Depth=1
	v_ashrrev_i32_e32 v2, 31, v1
	s_delay_alu instid0(VALU_DEP_1) | instskip(NEXT) | instid1(VALU_DEP_1)
	v_lshlrev_b64 v[6:7], 2, v[1:2]
	v_add_co_u32 v12, vcc_lo, s14, v6
	s_delay_alu instid0(VALU_DEP_2)
	v_add_co_ci_u32_e32 v13, vcc_lo, s15, v7, vcc_lo
	v_add_co_u32 v6, vcc_lo, s16, v6
	v_add_co_ci_u32_e32 v7, vcc_lo, s17, v7, vcc_lo
	global_load_b32 v2, v[12:13], off
	global_load_b32 v12, v[6:7], off
	s_waitcnt vmcnt(1)
	v_subrev_nc_u32_e32 v6, s26, v2
	s_waitcnt vmcnt(0)
	v_fma_f32 v2, v11, v12, v4
	v_fma_f32 v14, v10, v12, v3
	s_delay_alu instid0(VALU_DEP_3) | instskip(NEXT) | instid1(VALU_DEP_1)
	v_ashrrev_i32_e32 v7, 31, v6
	v_lshlrev_b64 v[6:7], 3, v[6:7]
	s_delay_alu instid0(VALU_DEP_1) | instskip(NEXT) | instid1(VALU_DEP_2)
	v_add_co_u32 v6, vcc_lo, s18, v6
	v_add_co_ci_u32_e32 v7, vcc_lo, s19, v7, vcc_lo
	global_load_b64 v[6:7], v[6:7], off
	s_waitcnt vmcnt(0)
	v_mul_f32_e64 v12, v7, -v2
	v_mul_f32_e32 v13, v14, v7
	s_delay_alu instid0(VALU_DEP_2) | instskip(NEXT) | instid1(VALU_DEP_2)
	v_dual_fmac_f32 v12, v14, v6 :: v_dual_add_nc_u32 v1, 0x100, v1
	v_fmac_f32_e32 v13, v2, v6
	s_delay_alu instid0(VALU_DEP_2) | instskip(SKIP_3) | instid1(SALU_CYCLE_1)
	v_cmp_le_i32_e32 vcc_lo, s1, v1
	ds_store_b64 v5, v[12:13]
	v_add_nc_u32_e32 v5, 0x800, v5
	s_or_b32 s3, vcc_lo, s3
	s_and_not1_b32 exec_lo, exec_lo, s3
	s_cbranch_execnz .LBB82_85
.LBB82_86:
	s_set_inst_prefetch_distance 0x2
	s_or_b32 exec_lo, exec_lo, s2
                                        ; implicit-def: $vgpr11
                                        ; implicit-def: $vgpr10
                                        ; implicit-def: $vgpr1
.LBB82_87:
	s_or_saveexec_b32 s0, s0
	v_lshlrev_b32_e32 v7, 3, v0
	s_xor_b32 exec_lo, exec_lo, s0
	s_cbranch_execz .LBB82_89
; %bb.88:
	v_ashrrev_i32_e32 v2, 31, v1
	v_dual_mul_f32 v20, 0x80000000, v11 :: v_dual_mul_f32 v21, 0, v10
	s_delay_alu instid0(VALU_DEP_2) | instskip(NEXT) | instid1(VALU_DEP_1)
	v_lshlrev_b64 v[1:2], 2, v[1:2]
	v_add_co_u32 v3, vcc_lo, s14, v1
	s_delay_alu instid0(VALU_DEP_2)
	v_add_co_ci_u32_e32 v4, vcc_lo, s15, v2, vcc_lo
	v_add_co_u32 v1, vcc_lo, s16, v1
	v_add_co_ci_u32_e32 v2, vcc_lo, s17, v2, vcc_lo
	s_clause 0x3
	global_load_b32 v5, v[3:4], off
	global_load_b32 v6, v[3:4], off offset:1024
	global_load_b32 v12, v[3:4], off offset:2048
	;; [unrolled: 1-line block ×3, first 2 shown]
	s_clause 0x3
	global_load_b32 v16, v[1:2], off
	global_load_b32 v17, v[1:2], off offset:1024
	global_load_b32 v18, v[1:2], off offset:2048
	;; [unrolled: 1-line block ×3, first 2 shown]
	s_waitcnt vmcnt(7)
	v_subrev_nc_u32_e32 v3, s26, v5
	s_waitcnt vmcnt(6)
	v_subrev_nc_u32_e32 v5, s26, v6
	;; [unrolled: 2-line block ×4, first 2 shown]
	s_waitcnt vmcnt(2)
	v_fma_f32 v25, v11, v17, v21
	v_ashrrev_i32_e32 v4, 31, v3
	v_ashrrev_i32_e32 v6, 31, v5
	;; [unrolled: 1-line block ×4, first 2 shown]
	v_fma_f32 v22, v10, v16, v20
	v_lshlrev_b64 v[3:4], 3, v[3:4]
	v_lshlrev_b64 v[1:2], 3, v[5:6]
	;; [unrolled: 1-line block ×4, first 2 shown]
	v_fma_f32 v23, v11, v16, v21
	v_fma_f32 v24, v10, v17, v20
	v_add_co_u32 v3, vcc_lo, s18, v3
	v_add_co_ci_u32_e32 v4, vcc_lo, s19, v4, vcc_lo
	v_add_co_u32 v1, vcc_lo, s18, v1
	v_add_co_ci_u32_e32 v2, vcc_lo, s19, v2, vcc_lo
	v_add_co_u32 v5, vcc_lo, s18, v5
	v_add_co_ci_u32_e32 v6, vcc_lo, s19, v6, vcc_lo
	v_add_co_u32 v12, vcc_lo, s18, v12
	v_add_co_ci_u32_e32 v13, vcc_lo, s19, v13, vcc_lo
	s_clause 0x3
	global_load_b64 v[3:4], v[3:4], off
	global_load_b64 v[1:2], v[1:2], off
	;; [unrolled: 1-line block ×4, first 2 shown]
	s_waitcnt vmcnt(5)
	v_fma_f32 v26, v10, v18, v20
	v_fma_f32 v27, v11, v18, v21
	s_waitcnt vmcnt(2)
	v_dual_fmac_f32 v20, v10, v19 :: v_dual_mul_f32 v15, v24, v2
	v_mul_f32_e64 v14, v2, -v25
	v_fmac_f32_e32 v21, v11, v19
	v_mul_f32_e64 v10, v4, -v23
	v_mul_f32_e32 v11, v22, v4
	s_waitcnt vmcnt(1)
	v_mul_f32_e64 v16, v6, -v27
	v_fmac_f32_e32 v14, v24, v1
	s_waitcnt vmcnt(0)
	v_mul_f32_e64 v18, v13, -v21
	v_mul_f32_e32 v17, v26, v6
	v_dual_mul_f32 v19, v20, v13 :: v_dual_fmac_f32 v10, v22, v3
	v_dual_fmac_f32 v11, v23, v3 :: v_dual_fmac_f32 v16, v26, v5
	s_delay_alu instid0(VALU_DEP_4) | instskip(NEXT) | instid1(VALU_DEP_4)
	v_dual_fmac_f32 v15, v25, v1 :: v_dual_fmac_f32 v18, v20, v12
	v_fmac_f32_e32 v17, v27, v5
	s_delay_alu instid0(VALU_DEP_4)
	v_fmac_f32_e32 v19, v21, v12
	ds_store_2addr_stride64_b64 v7, v[10:11], v[14:15] offset1:4
	ds_store_2addr_stride64_b64 v7, v[16:17], v[18:19] offset0:8 offset1:12
.LBB82_89:
	s_or_b32 exec_lo, exec_lo, s0
	s_cmp_lt_i32 s11, 2
	s_mov_b32 s0, -1
	s_waitcnt lgkmcnt(0)
	s_waitcnt_vscnt null, 0x0
	s_barrier
	buffer_gl0_inv
	s_cbranch_scc0 .LBB82_100
; %bb.90:
	v_add_nc_u32_e32 v1, s22, v0
	s_mov_b32 s1, exec_lo
	s_delay_alu instid0(VALU_DEP_1)
	v_cmpx_gt_i32_e64 s23, v1
	s_cbranch_execz .LBB82_99
; %bb.91:
	v_cmp_neq_f32_e32 vcc_lo, 0, v8
	v_cmp_neq_f32_e64 s0, 0, v9
	s_lshl_b32 s4, s27, 3
	s_mov_b32 s2, 0
	s_sub_i32 s4, 0, s4
	s_delay_alu instid0(VALU_DEP_1)
	s_or_b32 s3, vcc_lo, s0
	s_branch .LBB82_93
.LBB82_92:                              ;   in Loop: Header=BB82_93 Depth=1
	s_or_b32 exec_lo, exec_lo, s0
	v_add_nc_u32_e32 v1, 0x100, v1
	s_delay_alu instid0(VALU_DEP_2) | instskip(NEXT) | instid1(VALU_DEP_1)
	v_add_co_u32 v5, s0, s20, v5
	v_add_co_ci_u32_e64 v6, s0, s21, v6, s0
	s_delay_alu instid0(VALU_DEP_3) | instskip(SKIP_2) | instid1(SALU_CYCLE_1)
	v_cmp_le_i32_e32 vcc_lo, s23, v1
	global_store_b64 v[5:6], v[3:4], off
	s_or_b32 s2, vcc_lo, s2
	s_and_not1_b32 exec_lo, exec_lo, s2
	s_cbranch_execz .LBB82_99
.LBB82_93:                              ; =>This Loop Header: Depth=1
                                        ;     Child Loop BB82_95 Depth 2
	v_ashrrev_i32_e32 v2, 31, v1
	s_mov_b32 s0, exec_lo
	s_delay_alu instid0(VALU_DEP_1) | instskip(NEXT) | instid1(VALU_DEP_1)
	v_lshlrev_b64 v[3:4], 2, v[1:2]
	v_add_co_u32 v3, vcc_lo, s12, v3
	s_delay_alu instid0(VALU_DEP_2)
	v_add_co_ci_u32_e32 v4, vcc_lo, s13, v4, vcc_lo
	global_load_b64 v[5:6], v[3:4], off
	v_dual_mov_b32 v4, 0 :: v_dual_mov_b32 v3, 0
	s_waitcnt vmcnt(0)
	v_cmpx_lt_i32_e64 v5, v6
	s_cbranch_execz .LBB82_97
; %bb.94:                               ;   in Loop: Header=BB82_93 Depth=1
	v_mov_b32_e32 v4, 0
	v_subrev_nc_u32_e32 v6, s27, v6
	v_subrev_nc_u32_e32 v10, s27, v5
	v_lshl_add_u32 v5, v5, 3, s4
	s_mov_b32 s5, 0
	v_mov_b32_e32 v3, v4
.LBB82_95:                              ;   Parent Loop BB82_93 Depth=1
                                        ; =>  This Inner Loop Header: Depth=2
	ds_load_b64 v[11:12], v5
	v_add_nc_u32_e32 v10, 1, v10
	s_waitcnt lgkmcnt(0)
	v_dual_add_f32 v4, v4, v12 :: v_dual_add_nc_u32 v5, 8, v5
	v_add_f32_e32 v3, v3, v11
	s_delay_alu instid0(VALU_DEP_3) | instskip(SKIP_1) | instid1(SALU_CYCLE_1)
	v_cmp_ge_i32_e32 vcc_lo, v10, v6
	s_or_b32 s5, vcc_lo, s5
	s_and_not1_b32 exec_lo, exec_lo, s5
	s_cbranch_execnz .LBB82_95
; %bb.96:                               ;   in Loop: Header=BB82_93 Depth=1
	s_or_b32 exec_lo, exec_lo, s5
.LBB82_97:                              ;   in Loop: Header=BB82_93 Depth=1
	s_delay_alu instid0(SALU_CYCLE_1)
	s_or_b32 exec_lo, exec_lo, s0
	v_lshlrev_b64 v[5:6], 3, v[1:2]
	s_and_saveexec_b32 s0, s3
	s_cbranch_execz .LBB82_92
; %bb.98:                               ;   in Loop: Header=BB82_93 Depth=1
	s_delay_alu instid0(VALU_DEP_1) | instskip(NEXT) | instid1(VALU_DEP_2)
	v_add_co_u32 v10, vcc_lo, s20, v5
	v_add_co_ci_u32_e32 v11, vcc_lo, s21, v6, vcc_lo
	global_load_b64 v[10:11], v[10:11], off
	s_waitcnt vmcnt(0)
	v_fmac_f32_e32 v3, v8, v10
	v_fmac_f32_e32 v4, v9, v10
	s_delay_alu instid0(VALU_DEP_2) | instskip(NEXT) | instid1(VALU_DEP_2)
	v_fma_f32 v3, -v9, v11, v3
	v_fmac_f32_e32 v4, v8, v11
	s_branch .LBB82_92
.LBB82_99:
	s_or_b32 exec_lo, exec_lo, s1
	s_mov_b32 s0, 0
.LBB82_100:
	s_delay_alu instid0(SALU_CYCLE_1)
	s_and_not1_b32 vcc_lo, exec_lo, s0
	s_cbranch_vccnz .LBB82_125
; %bb.101:
	s_clz_i32_u32 s0, s11
	s_mov_b32 s1, exec_lo
	s_xor_b32 s0, s0, 31
	v_mov_b32_e32 v2, 0
	v_lshrrev_b32_e32 v4, s0, v0
	s_add_i32 s0, s11, -1
	s_delay_alu instid0(VALU_DEP_2) | instid1(SALU_CYCLE_1)
	v_dual_mov_b32 v3, v2 :: v_dual_and_b32 v0, s0, v0
	s_delay_alu instid0(VALU_DEP_2) | instskip(NEXT) | instid1(VALU_DEP_1)
	v_add_nc_u32_e32 v1, s22, v4
	v_cmp_le_i32_e32 vcc_lo, s23, v1
	v_cmpx_gt_i32_e64 s23, v1
	s_cbranch_execz .LBB82_107
; %bb.102:
	v_lshlrev_b32_e32 v2, 2, v4
	v_subrev_nc_u32_e32 v5, s27, v0
	s_mov_b32 s2, exec_lo
	global_load_b64 v[2:3], v2, s[24:25]
	s_waitcnt vmcnt(0)
	v_subrev_nc_u32_e32 v4, s27, v3
	v_mov_b32_e32 v3, 0
	v_dual_mov_b32 v2, 0 :: v_dual_add_nc_u32 v5, v2, v5
	s_delay_alu instid0(VALU_DEP_1)
	v_cmpx_lt_i32_e64 v5, v4
	s_cbranch_execz .LBB82_106
; %bb.103:
	v_dual_mov_b32 v3, 0 :: v_dual_lshlrev_b32 v6, 3, v5
	s_lshl_b32 s4, s11, 3
	s_mov_b32 s3, 0
	s_delay_alu instid0(VALU_DEP_1)
	v_mov_b32_e32 v2, v3
.LBB82_104:                             ; =>This Inner Loop Header: Depth=1
	ds_load_b64 v[10:11], v6
	v_add_nc_u32_e32 v5, s11, v5
	s_waitcnt lgkmcnt(0)
	v_dual_add_f32 v3, v3, v11 :: v_dual_add_nc_u32 v6, s4, v6
	v_add_f32_e32 v2, v2, v10
	s_delay_alu instid0(VALU_DEP_3) | instskip(NEXT) | instid1(VALU_DEP_1)
	v_cmp_ge_i32_e64 s0, v5, v4
	s_or_b32 s3, s0, s3
	s_delay_alu instid0(SALU_CYCLE_1)
	s_and_not1_b32 exec_lo, exec_lo, s3
	s_cbranch_execnz .LBB82_104
; %bb.105:
	s_or_b32 exec_lo, exec_lo, s3
.LBB82_106:
	s_delay_alu instid0(SALU_CYCLE_1)
	s_or_b32 exec_lo, exec_lo, s2
.LBB82_107:
	s_delay_alu instid0(SALU_CYCLE_1)
	s_or_b32 exec_lo, exec_lo, s1
	s_cmpk_lt_i32 s11, 0x81
	s_waitcnt_vscnt null, 0x0
	s_barrier
	buffer_gl0_inv
	ds_store_b64 v7, v[2:3]
	s_waitcnt lgkmcnt(0)
	s_barrier
	buffer_gl0_inv
	s_cbranch_scc1 .LBB82_109
; %bb.108:
	ds_load_b64 v[4:5], v7 offset:1024
	s_waitcnt lgkmcnt(0)
	s_barrier
	buffer_gl0_inv
	v_dual_add_f32 v2, v2, v4 :: v_dual_add_f32 v3, v3, v5
	ds_store_b64 v7, v[2:3]
.LBB82_109:
	s_cmpk_lt_i32 s11, 0x41
	s_waitcnt lgkmcnt(0)
	s_barrier
	buffer_gl0_inv
	s_cbranch_scc1 .LBB82_111
; %bb.110:
	ds_load_b64 v[4:5], v7 offset:512
	s_waitcnt lgkmcnt(0)
	s_barrier
	buffer_gl0_inv
	v_dual_add_f32 v2, v2, v4 :: v_dual_add_f32 v3, v3, v5
	ds_store_b64 v7, v[2:3]
.LBB82_111:
	s_cmp_lt_i32 s11, 33
	s_waitcnt lgkmcnt(0)
	s_barrier
	buffer_gl0_inv
	s_cbranch_scc1 .LBB82_113
; %bb.112:
	ds_load_b64 v[4:5], v7 offset:256
	s_waitcnt lgkmcnt(0)
	s_barrier
	buffer_gl0_inv
	v_dual_add_f32 v2, v2, v4 :: v_dual_add_f32 v3, v3, v5
	ds_store_b64 v7, v[2:3]
.LBB82_113:
	s_cmp_lt_i32 s11, 17
	;; [unrolled: 13-line block ×4, first 2 shown]
	s_waitcnt lgkmcnt(0)
	s_barrier
	buffer_gl0_inv
	s_cbranch_scc1 .LBB82_119
; %bb.118:
	ds_load_b64 v[4:5], v7 offset:32
	s_waitcnt lgkmcnt(0)
	s_barrier
	buffer_gl0_inv
	v_dual_add_f32 v2, v2, v4 :: v_dual_add_f32 v3, v3, v5
	ds_store_b64 v7, v[2:3]
.LBB82_119:
	s_cmp_eq_u32 s11, 2
	s_waitcnt lgkmcnt(0)
	s_barrier
	buffer_gl0_inv
	s_cbranch_scc1 .LBB82_121
; %bb.120:
	ds_load_b64 v[4:5], v7 offset:16
	s_waitcnt lgkmcnt(0)
	s_barrier
	buffer_gl0_inv
	v_dual_add_f32 v2, v2, v4 :: v_dual_add_f32 v3, v3, v5
	ds_store_b64 v7, v[2:3]
.LBB82_121:
	s_waitcnt lgkmcnt(0)
	s_barrier
	buffer_gl0_inv
	ds_load_b64 v[4:5], v7 offset:8
	v_cmp_eq_u32_e64 s0, 0, v0
	s_xor_b32 s1, vcc_lo, -1
	s_waitcnt lgkmcnt(0)
	s_barrier
	buffer_gl0_inv
	s_and_b32 s0, s0, s1
	v_dual_add_f32 v4, v2, v4 :: v_dual_add_f32 v5, v3, v5
	ds_store_b64 v7, v[4:5]
	s_and_b32 exec_lo, exec_lo, s0
	s_cbranch_execz .LBB82_125
; %bb.122:
	v_ashrrev_i32_e32 v2, 31, v1
	v_cmp_neq_f32_e32 vcc_lo, 0, v8
	v_cmp_neq_f32_e64 s0, 0, v9
	s_delay_alu instid0(VALU_DEP_3) | instskip(NEXT) | instid1(VALU_DEP_2)
	v_lshlrev_b64 v[0:1], 3, v[1:2]
	s_or_b32 s1, vcc_lo, s0
	s_delay_alu instid0(SALU_CYCLE_1)
	s_and_saveexec_b32 s0, s1
	s_cbranch_execz .LBB82_124
; %bb.123:
	s_delay_alu instid0(VALU_DEP_1) | instskip(NEXT) | instid1(VALU_DEP_2)
	v_add_co_u32 v2, vcc_lo, s20, v0
	v_add_co_ci_u32_e32 v3, vcc_lo, s21, v1, vcc_lo
	global_load_b64 v[2:3], v[2:3], off
	s_waitcnt vmcnt(0)
	v_fmac_f32_e32 v4, v8, v2
	v_fmac_f32_e32 v5, v9, v2
	s_delay_alu instid0(VALU_DEP_2) | instskip(NEXT) | instid1(VALU_DEP_2)
	v_fma_f32 v4, -v9, v3, v4
	v_fmac_f32_e32 v5, v8, v3
.LBB82_124:
	s_or_b32 exec_lo, exec_lo, s0
	s_delay_alu instid0(VALU_DEP_1)
	v_add_co_u32 v0, vcc_lo, s20, v0
	v_add_co_ci_u32_e32 v1, vcc_lo, s21, v1, vcc_lo
	global_store_b64 v[0:1], v[4:5], off
.LBB82_125:
	s_nop 0
	s_sendmsg sendmsg(MSG_DEALLOC_VGPRS)
	s_endpgm
	.section	.rodata,"a",@progbits
	.p2align	6, 0x0
	.amdhsa_kernel _ZN9rocsparseL22csrmvn_adaptive_kernelIiif21rocsparse_complex_numIfES2_S2_EEvbT_PKS3_PjPKT0_NS_24const_host_device_scalarIT4_EES5_S9_PKT1_PKT2_SC_PT3_21rocsparse_index_base_b
		.amdhsa_group_segment_fixed_size 8192
		.amdhsa_private_segment_fixed_size 0
		.amdhsa_kernarg_size 96
		.amdhsa_user_sgpr_count 15
		.amdhsa_user_sgpr_dispatch_ptr 0
		.amdhsa_user_sgpr_queue_ptr 0
		.amdhsa_user_sgpr_kernarg_segment_ptr 1
		.amdhsa_user_sgpr_dispatch_id 0
		.amdhsa_user_sgpr_private_segment_size 0
		.amdhsa_wavefront_size32 1
		.amdhsa_uses_dynamic_stack 0
		.amdhsa_enable_private_segment 0
		.amdhsa_system_sgpr_workgroup_id_x 1
		.amdhsa_system_sgpr_workgroup_id_y 0
		.amdhsa_system_sgpr_workgroup_id_z 0
		.amdhsa_system_sgpr_workgroup_info 0
		.amdhsa_system_vgpr_workitem_id 0
		.amdhsa_next_free_vgpr 28
		.amdhsa_next_free_sgpr 43
		.amdhsa_reserve_vcc 1
		.amdhsa_float_round_mode_32 0
		.amdhsa_float_round_mode_16_64 0
		.amdhsa_float_denorm_mode_32 3
		.amdhsa_float_denorm_mode_16_64 3
		.amdhsa_dx10_clamp 1
		.amdhsa_ieee_mode 1
		.amdhsa_fp16_overflow 0
		.amdhsa_workgroup_processor_mode 1
		.amdhsa_memory_ordered 1
		.amdhsa_forward_progress 0
		.amdhsa_shared_vgpr_count 0
		.amdhsa_exception_fp_ieee_invalid_op 0
		.amdhsa_exception_fp_denorm_src 0
		.amdhsa_exception_fp_ieee_div_zero 0
		.amdhsa_exception_fp_ieee_overflow 0
		.amdhsa_exception_fp_ieee_underflow 0
		.amdhsa_exception_fp_ieee_inexact 0
		.amdhsa_exception_int_div_zero 0
	.end_amdhsa_kernel
	.section	.text._ZN9rocsparseL22csrmvn_adaptive_kernelIiif21rocsparse_complex_numIfES2_S2_EEvbT_PKS3_PjPKT0_NS_24const_host_device_scalarIT4_EES5_S9_PKT1_PKT2_SC_PT3_21rocsparse_index_base_b,"axG",@progbits,_ZN9rocsparseL22csrmvn_adaptive_kernelIiif21rocsparse_complex_numIfES2_S2_EEvbT_PKS3_PjPKT0_NS_24const_host_device_scalarIT4_EES5_S9_PKT1_PKT2_SC_PT3_21rocsparse_index_base_b,comdat
.Lfunc_end82:
	.size	_ZN9rocsparseL22csrmvn_adaptive_kernelIiif21rocsparse_complex_numIfES2_S2_EEvbT_PKS3_PjPKT0_NS_24const_host_device_scalarIT4_EES5_S9_PKT1_PKT2_SC_PT3_21rocsparse_index_base_b, .Lfunc_end82-_ZN9rocsparseL22csrmvn_adaptive_kernelIiif21rocsparse_complex_numIfES2_S2_EEvbT_PKS3_PjPKT0_NS_24const_host_device_scalarIT4_EES5_S9_PKT1_PKT2_SC_PT3_21rocsparse_index_base_b
                                        ; -- End function
	.section	.AMDGPU.csdata,"",@progbits
; Kernel info:
; codeLenInByte = 5180
; NumSgprs: 45
; NumVgprs: 28
; ScratchSize: 0
; MemoryBound: 0
; FloatMode: 240
; IeeeMode: 1
; LDSByteSize: 8192 bytes/workgroup (compile time only)
; SGPRBlocks: 5
; VGPRBlocks: 3
; NumSGPRsForWavesPerEU: 45
; NumVGPRsForWavesPerEU: 28
; Occupancy: 16
; WaveLimiterHint : 1
; COMPUTE_PGM_RSRC2:SCRATCH_EN: 0
; COMPUTE_PGM_RSRC2:USER_SGPR: 15
; COMPUTE_PGM_RSRC2:TRAP_HANDLER: 0
; COMPUTE_PGM_RSRC2:TGID_X_EN: 1
; COMPUTE_PGM_RSRC2:TGID_Y_EN: 0
; COMPUTE_PGM_RSRC2:TGID_Z_EN: 0
; COMPUTE_PGM_RSRC2:TIDIG_COMP_CNT: 0
	.section	.text._ZN9rocsparseL27csrmvn_symm_adaptive_kernelIiif21rocsparse_complex_numIfES2_S2_EEvbT_S3_PKS3_NS_24const_host_device_scalarIT4_EES5_PKT0_PKT1_PKT2_S8_PT3_21rocsparse_index_base_b,"axG",@progbits,_ZN9rocsparseL27csrmvn_symm_adaptive_kernelIiif21rocsparse_complex_numIfES2_S2_EEvbT_S3_PKS3_NS_24const_host_device_scalarIT4_EES5_PKT0_PKT1_PKT2_S8_PT3_21rocsparse_index_base_b,comdat
	.globl	_ZN9rocsparseL27csrmvn_symm_adaptive_kernelIiif21rocsparse_complex_numIfES2_S2_EEvbT_S3_PKS3_NS_24const_host_device_scalarIT4_EES5_PKT0_PKT1_PKT2_S8_PT3_21rocsparse_index_base_b ; -- Begin function _ZN9rocsparseL27csrmvn_symm_adaptive_kernelIiif21rocsparse_complex_numIfES2_S2_EEvbT_S3_PKS3_NS_24const_host_device_scalarIT4_EES5_PKT0_PKT1_PKT2_S8_PT3_21rocsparse_index_base_b
	.p2align	8
	.type	_ZN9rocsparseL27csrmvn_symm_adaptive_kernelIiif21rocsparse_complex_numIfES2_S2_EEvbT_S3_PKS3_NS_24const_host_device_scalarIT4_EES5_PKT0_PKT1_PKT2_S8_PT3_21rocsparse_index_base_b,@function
_ZN9rocsparseL27csrmvn_symm_adaptive_kernelIiif21rocsparse_complex_numIfES2_S2_EEvbT_S3_PKS3_NS_24const_host_device_scalarIT4_EES5_PKT0_PKT1_PKT2_S8_PT3_21rocsparse_index_base_b: ; @_ZN9rocsparseL27csrmvn_symm_adaptive_kernelIiif21rocsparse_complex_numIfES2_S2_EEvbT_S3_PKS3_NS_24const_host_device_scalarIT4_EES5_PKT0_PKT1_PKT2_S8_PT3_21rocsparse_index_base_b
; %bb.0:
	s_clause 0x2
	s_load_b64 s[20:21], s[0:1], 0x50
	s_load_b64 s[6:7], s[0:1], 0x18
	;; [unrolled: 1-line block ×3, first 2 shown]
	s_mov_b32 s4, s15
	s_waitcnt lgkmcnt(0)
	s_bitcmp1_b32 s21, 0
	v_mov_b32_e32 v8, s6
	s_cselect_b32 s5, -1, 0
	s_delay_alu instid0(SALU_CYCLE_1)
	s_and_b32 vcc_lo, exec_lo, s5
	s_xor_b32 s5, s5, -1
	s_cbranch_vccz .LBB83_11
; %bb.1:
	v_cndmask_b32_e64 v2, 0, 1, s5
	v_mov_b32_e32 v11, s7
	s_and_not1_b32 vcc_lo, exec_lo, s5
	s_cbranch_vccz .LBB83_12
.LBB83_2:
	s_delay_alu instid0(VALU_DEP_2)
	v_cmp_ne_u32_e32 vcc_lo, 1, v2
	v_mov_b32_e32 v1, s2
	s_cbranch_vccz .LBB83_13
.LBB83_3:
	v_cmp_ne_u32_e32 vcc_lo, 1, v2
	v_mov_b32_e32 v2, s3
	s_cbranch_vccnz .LBB83_5
.LBB83_4:
	v_dual_mov_b32 v2, s2 :: v_dual_mov_b32 v3, s3
	flat_load_b32 v2, v[2:3] offset:4
.LBB83_5:
	s_waitcnt vmcnt(0) lgkmcnt(0)
	v_cmp_eq_f32_e32 vcc_lo, 0, v8
	v_cmp_eq_f32_e64 s2, 0, v11
	s_delay_alu instid0(VALU_DEP_1)
	s_and_b32 s5, vcc_lo, s2
	s_mov_b32 s2, -1
	s_and_saveexec_b32 s3, s5
; %bb.6:
	v_and_b32_e32 v2, 0x7fffffff, v2
	v_cmp_neq_f32_e32 vcc_lo, 1.0, v1
	s_delay_alu instid0(VALU_DEP_2) | instskip(NEXT) | instid1(VALU_DEP_1)
	v_cmp_ne_u32_e64 s2, 0, v2
	s_or_b32 s2, vcc_lo, s2
	s_delay_alu instid0(SALU_CYCLE_1)
	s_or_not1_b32 s2, s2, exec_lo
; %bb.7:
	s_or_b32 exec_lo, exec_lo, s3
	s_and_saveexec_b32 s3, s2
	s_cbranch_execz .LBB83_194
; %bb.8:
	s_load_b64 s[2:3], s[0:1], 0x10
	s_mov_b32 s6, 0
	s_ashr_i32 s5, s4, 31
	s_mov_b32 s7, s6
	v_dual_mov_b32 v1, s6 :: v_dual_lshlrev_b32 v10, 3, v0
	v_mov_b32_e32 v2, s7
	s_lshl_b64 s[4:5], s[4:5], 2
	v_subrev_nc_u32_e32 v9, s20, v0
	ds_store_2addr_stride64_b64 v10, v[1:2], v[1:2] offset1:4
	ds_store_2addr_stride64_b64 v10, v[1:2], v[1:2] offset0:8 offset1:12
	s_waitcnt lgkmcnt(0)
	s_barrier
	buffer_gl0_inv
	s_add_u32 s2, s2, s4
	s_addc_u32 s3, s3, s5
	s_load_b64 s[18:19], s[2:3], 0x0
	s_clause 0x1
	s_load_b256 s[8:15], s[0:1], 0x20
	s_load_b64 s[16:17], s[0:1], 0x48
	s_mov_b32 s2, -1
	s_waitcnt lgkmcnt(0)
	s_sub_i32 s21, s19, s18
	s_delay_alu instid0(SALU_CYCLE_1)
	s_cmp_gt_i32 s21, 2
	s_cbranch_scc1 .LBB83_57
; %bb.9:
	s_cmp_gt_i32 s19, s18
	s_cbranch_scc1 .LBB83_14
; %bb.10:
	s_ashr_i32 s3, s18, 31
	s_mov_b32 s2, s18
	s_delay_alu instid0(SALU_CYCLE_1) | instskip(NEXT) | instid1(SALU_CYCLE_1)
	s_lshl_b64 s[2:3], s[2:3], 2
	s_add_u32 s2, s8, s2
	s_addc_u32 s3, s9, s3
	s_load_b32 s26, s[2:3], 0x0
	s_cbranch_execz .LBB83_15
	s_branch .LBB83_44
.LBB83_11:
	v_dual_mov_b32 v1, s6 :: v_dual_mov_b32 v2, s7
	flat_load_b32 v8, v[1:2]
	v_cndmask_b32_e64 v2, 0, 1, s5
	v_mov_b32_e32 v11, s7
	s_and_not1_b32 vcc_lo, exec_lo, s5
	s_cbranch_vccnz .LBB83_2
.LBB83_12:
	v_dual_mov_b32 v3, s6 :: v_dual_mov_b32 v4, s7
	flat_load_b32 v11, v[3:4] offset:4
	v_cmp_ne_u32_e32 vcc_lo, 1, v2
	v_mov_b32_e32 v1, s2
	s_cbranch_vccnz .LBB83_3
.LBB83_13:
	v_dual_mov_b32 v4, s3 :: v_dual_mov_b32 v3, s2
	flat_load_b32 v1, v[3:4]
	v_cmp_ne_u32_e32 vcc_lo, 1, v2
	v_mov_b32_e32 v2, s3
	s_cbranch_vccz .LBB83_4
	s_branch .LBB83_5
.LBB83_14:
                                        ; implicit-def: $sgpr26
	s_and_not1_b32 vcc_lo, exec_lo, s2
	s_cbranch_vccnz .LBB83_44
.LBB83_15:
	s_ashr_i32 s3, s18, 31
	s_mov_b32 s2, s18
	v_cmp_gt_u32_e32 vcc_lo, 0x100, v0
	s_lshl_b64 s[2:3], s[2:3], 2
	v_cmp_gt_u32_e64 s4, 4, v0
	s_add_u32 s2, s8, s2
	s_addc_u32 s3, s9, s3
	v_cmp_eq_u32_e64 s5, 0, v0
	s_waitcnt lgkmcnt(0)
	s_load_b32 s26, s[2:3], 0x0
	v_cmp_gt_u32_e64 s2, 64, v0
	v_cmp_gt_u32_e64 s3, 16, v0
	v_mov_b32_e32 v12, 0
	s_add_u32 s27, s8, 4
	s_addc_u32 s28, s9, 0
	s_mov_b32 s22, s18
	s_waitcnt lgkmcnt(0)
	s_mov_b32 s29, s26
	s_branch .LBB83_17
.LBB83_16:                              ;   in Loop: Header=BB83_17 Depth=1
	s_or_b32 exec_lo, exec_lo, s7
	s_add_i32 s22, s22, 1
	s_delay_alu instid0(SALU_CYCLE_1)
	s_cmp_ge_i32 s22, s19
	s_cbranch_scc1 .LBB83_44
.LBB83_17:                              ; =>This Loop Header: Depth=1
                                        ;     Child Loop BB83_19 Depth 2
                                        ;     Child Loop BB83_33 Depth 2
	;; [unrolled: 1-line block ×5, first 2 shown]
	s_ashr_i32 s23, s22, 31
	s_mov_b32 s24, s29
	s_lshl_b64 s[6:7], s[22:23], 2
	v_dual_mov_b32 v2, 0 :: v_dual_add_nc_u32 v1, s24, v9
	s_add_u32 s6, s27, s6
	s_addc_u32 s7, s28, s7
	v_mov_b32_e32 v3, 0
	s_load_b32 s29, s[6:7], 0x0
	s_mov_b32 s24, exec_lo
	s_waitcnt lgkmcnt(0)
	s_sub_i32 s25, s29, s20
	s_delay_alu instid0(SALU_CYCLE_1)
	v_cmpx_gt_i32_e64 s25, v1
	s_cbranch_execz .LBB83_21
; %bb.18:                               ;   in Loop: Header=BB83_17 Depth=1
	v_ashrrev_i32_e32 v2, 31, v1
	v_mov_b32_e32 v3, 0
	s_mov_b32 s30, 0
	s_delay_alu instid0(VALU_DEP_2) | instskip(NEXT) | instid1(VALU_DEP_2)
	v_lshlrev_b64 v[6:7], 2, v[1:2]
	v_mov_b32_e32 v2, v3
	s_delay_alu instid0(VALU_DEP_2) | instskip(NEXT) | instid1(VALU_DEP_1)
	v_add_co_u32 v4, s6, s10, v6
	v_add_co_ci_u32_e64 v5, s6, s11, v7, s6
	v_add_co_u32 v6, s6, s12, v6
	s_delay_alu instid0(VALU_DEP_1)
	v_add_co_ci_u32_e64 v7, s6, s13, v7, s6
	s_set_inst_prefetch_distance 0x1
	.p2align	6
.LBB83_19:                              ;   Parent Loop BB83_17 Depth=1
                                        ; =>  This Inner Loop Header: Depth=2
	global_load_b32 v13, v[4:5], off
	v_add_nc_u32_e32 v1, 0x100, v1
	s_delay_alu instid0(VALU_DEP_1) | instskip(NEXT) | instid1(VALU_DEP_1)
	v_cmp_le_i32_e64 s7, s25, v1
	s_or_b32 s30, s7, s30
	s_waitcnt vmcnt(0)
	v_subrev_nc_u32_e32 v13, s20, v13
	s_delay_alu instid0(VALU_DEP_1) | instskip(NEXT) | instid1(VALU_DEP_1)
	v_ashrrev_i32_e32 v14, 31, v13
	v_lshlrev_b64 v[13:14], 3, v[13:14]
	s_delay_alu instid0(VALU_DEP_1) | instskip(NEXT) | instid1(VALU_DEP_1)
	v_add_co_u32 v13, s6, s14, v13
	v_add_co_ci_u32_e64 v14, s6, s15, v14, s6
	v_add_co_u32 v4, s6, 0x400, v4
	global_load_b32 v15, v[6:7], off
	global_load_b64 v[13:14], v[13:14], off
	v_add_co_ci_u32_e64 v5, s6, 0, v5, s6
	v_add_co_u32 v6, s6, 0x400, v6
	s_delay_alu instid0(VALU_DEP_1) | instskip(SKIP_2) | instid1(VALU_DEP_1)
	v_add_co_ci_u32_e64 v7, s6, 0, v7, s6
	s_waitcnt vmcnt(0)
	v_fmac_f32_e32 v2, v15, v13
	v_dual_fmac_f32 v3, 0, v13 :: v_dual_fmac_f32 v2, 0x80000000, v14
	s_delay_alu instid0(VALU_DEP_1)
	v_fmac_f32_e32 v3, v15, v14
	s_and_not1_b32 exec_lo, exec_lo, s30
	s_cbranch_execnz .LBB83_19
; %bb.20:                               ;   in Loop: Header=BB83_17 Depth=1
	s_set_inst_prefetch_distance 0x2
	s_or_b32 exec_lo, exec_lo, s30
.LBB83_21:                              ;   in Loop: Header=BB83_17 Depth=1
	s_delay_alu instid0(SALU_CYCLE_1)
	s_or_b32 exec_lo, exec_lo, s24
	ds_store_b64 v10, v[2:3]
	s_waitcnt lgkmcnt(0)
	s_barrier
	buffer_gl0_inv
	s_and_saveexec_b32 s6, vcc_lo
	s_cbranch_execz .LBB83_23
; %bb.22:                               ;   in Loop: Header=BB83_17 Depth=1
	ds_load_2addr_stride64_b64 v[1:4], v10 offset1:4
	ds_load_2addr_stride64_b64 v[13:16], v10 offset0:8 offset1:12
	s_waitcnt lgkmcnt(0)
	v_dual_add_f32 v3, v13, v3 :: v_dual_add_f32 v4, v14, v4
	s_delay_alu instid0(VALU_DEP_1) | instskip(NEXT) | instid1(VALU_DEP_1)
	v_dual_add_f32 v3, v3, v15 :: v_dual_add_f32 v4, v4, v16
	v_dual_add_f32 v1, v3, v1 :: v_dual_add_f32 v2, v4, v2
	ds_store_b64 v10, v[1:2]
.LBB83_23:                              ;   in Loop: Header=BB83_17 Depth=1
	s_or_b32 exec_lo, exec_lo, s6
	s_waitcnt lgkmcnt(0)
	s_barrier
	buffer_gl0_inv
	s_and_saveexec_b32 s6, s2
	s_cbranch_execz .LBB83_25
; %bb.24:                               ;   in Loop: Header=BB83_17 Depth=1
	ds_load_2addr_stride64_b64 v[1:4], v10 offset1:1
	ds_load_2addr_stride64_b64 v[13:16], v10 offset0:2 offset1:3
	s_waitcnt lgkmcnt(0)
	v_dual_add_f32 v3, v13, v3 :: v_dual_add_f32 v4, v14, v4
	s_delay_alu instid0(VALU_DEP_1) | instskip(NEXT) | instid1(VALU_DEP_1)
	v_dual_add_f32 v3, v3, v15 :: v_dual_add_f32 v4, v4, v16
	v_dual_add_f32 v1, v3, v1 :: v_dual_add_f32 v2, v4, v2
	ds_store_b64 v10, v[1:2]
.LBB83_25:                              ;   in Loop: Header=BB83_17 Depth=1
	s_or_b32 exec_lo, exec_lo, s6
	s_waitcnt lgkmcnt(0)
	s_barrier
	buffer_gl0_inv
	s_and_saveexec_b32 s6, s3
	s_cbranch_execz .LBB83_27
; %bb.26:                               ;   in Loop: Header=BB83_17 Depth=1
	ds_load_2addr_b64 v[1:4], v10 offset1:16
	ds_load_2addr_b64 v[13:16], v10 offset0:32 offset1:48
	s_waitcnt lgkmcnt(0)
	v_dual_add_f32 v3, v13, v3 :: v_dual_add_f32 v4, v14, v4
	s_delay_alu instid0(VALU_DEP_1) | instskip(NEXT) | instid1(VALU_DEP_1)
	v_dual_add_f32 v3, v3, v15 :: v_dual_add_f32 v4, v4, v16
	v_dual_add_f32 v1, v3, v1 :: v_dual_add_f32 v2, v4, v2
	ds_store_b64 v10, v[1:2]
.LBB83_27:                              ;   in Loop: Header=BB83_17 Depth=1
	s_or_b32 exec_lo, exec_lo, s6
	s_waitcnt lgkmcnt(0)
	s_barrier
	buffer_gl0_inv
	s_and_saveexec_b32 s6, s4
	s_cbranch_execz .LBB83_29
; %bb.28:                               ;   in Loop: Header=BB83_17 Depth=1
	ds_load_2addr_b64 v[1:4], v10 offset1:4
	ds_load_2addr_b64 v[13:16], v10 offset0:8 offset1:12
	s_waitcnt lgkmcnt(0)
	v_dual_add_f32 v3, v13, v3 :: v_dual_add_f32 v4, v14, v4
	s_delay_alu instid0(VALU_DEP_1) | instskip(NEXT) | instid1(VALU_DEP_1)
	v_dual_add_f32 v3, v3, v15 :: v_dual_add_f32 v4, v4, v16
	v_dual_add_f32 v1, v3, v1 :: v_dual_add_f32 v2, v4, v2
	ds_store_b64 v10, v[1:2]
.LBB83_29:                              ;   in Loop: Header=BB83_17 Depth=1
	s_or_b32 exec_lo, exec_lo, s6
	s_waitcnt lgkmcnt(0)
	s_barrier
	buffer_gl0_inv
	s_and_saveexec_b32 s6, s5
	s_cbranch_execz .LBB83_31
; %bb.30:                               ;   in Loop: Header=BB83_17 Depth=1
	ds_load_b128 v[1:4], v12 offset:16
	ds_load_b64 v[5:6], v12 offset:8
	ds_load_b64 v[13:14], v10
	s_waitcnt lgkmcnt(1)
	v_dual_add_f32 v1, v1, v5 :: v_dual_add_f32 v2, v2, v6
	s_delay_alu instid0(VALU_DEP_1) | instskip(SKIP_1) | instid1(VALU_DEP_1)
	v_dual_add_f32 v1, v1, v3 :: v_dual_add_f32 v2, v2, v4
	s_waitcnt lgkmcnt(0)
	v_dual_add_f32 v1, v1, v13 :: v_dual_add_f32 v2, v2, v14
	ds_store_b64 v10, v[1:2]
.LBB83_31:                              ;   in Loop: Header=BB83_17 Depth=1
	s_or_b32 exec_lo, exec_lo, s6
	s_waitcnt lgkmcnt(0)
	s_barrier
	buffer_gl0_inv
	s_and_saveexec_b32 s7, s5
	s_cbranch_execz .LBB83_16
; %bb.32:                               ;   in Loop: Header=BB83_17 Depth=1
	ds_load_b64 v[1:2], v12
	v_bfrev_b32_e32 v5, 1
	s_mov_b32 s6, exec_lo
	s_waitcnt lgkmcnt(0)
	v_mul_f32_e64 v3, v2, -v11
	s_delay_alu instid0(VALU_DEP_1)
	v_fmac_f32_e32 v3, v8, v1
.LBB83_33:                              ;   Parent Loop BB83_17 Depth=1
                                        ; =>  This Inner Loop Header: Depth=2
	s_ctz_i32_b32 s24, s6
	s_delay_alu instid0(VALU_DEP_1) | instid1(SALU_CYCLE_1)
	v_readlane_b32 s25, v3, s24
	s_lshl_b32 s24, 1, s24
	s_delay_alu instid0(SALU_CYCLE_1) | instskip(NEXT) | instid1(SALU_CYCLE_1)
	s_and_not1_b32 s6, s6, s24
	s_cmp_lg_u32 s6, 0
	s_delay_alu instid0(VALU_DEP_1)
	v_add_f32_e32 v5, s25, v5
	s_cbranch_scc1 .LBB83_33
; %bb.34:                               ;   in Loop: Header=BB83_17 Depth=1
	v_mbcnt_lo_u32_b32 v3, exec_lo, 0
	s_lshl_b64 s[24:25], s[22:23], 3
	s_mov_b32 s23, exec_lo
	s_add_u32 s24, s16, s24
	s_addc_u32 s25, s17, s25
	v_cmpx_eq_u32_e32 0, v3
	s_xor_b32 s23, exec_lo, s23
	s_cbranch_execz .LBB83_38
; %bb.35:                               ;   in Loop: Header=BB83_17 Depth=1
	global_load_b32 v4, v12, s[24:25]
	s_mov_b32 s30, 0
.LBB83_36:                              ;   Parent Loop BB83_17 Depth=1
                                        ; =>  This Inner Loop Header: Depth=2
	s_waitcnt vmcnt(0)
	v_add_f32_e32 v3, v4, v5
	global_atomic_cmpswap_b32 v3, v12, v[3:4], s[24:25] glc
	s_waitcnt vmcnt(0)
	v_cmp_eq_u32_e64 s6, v3, v4
	v_mov_b32_e32 v4, v3
	s_delay_alu instid0(VALU_DEP_2) | instskip(NEXT) | instid1(SALU_CYCLE_1)
	s_or_b32 s30, s6, s30
	s_and_not1_b32 exec_lo, exec_lo, s30
	s_cbranch_execnz .LBB83_36
; %bb.37:                               ;   in Loop: Header=BB83_17 Depth=1
	s_or_b32 exec_lo, exec_lo, s30
.LBB83_38:                              ;   in Loop: Header=BB83_17 Depth=1
	s_delay_alu instid0(SALU_CYCLE_1) | instskip(SKIP_3) | instid1(VALU_DEP_2)
	s_or_b32 exec_lo, exec_lo, s23
	v_mul_f32_e32 v2, v2, v8
	v_bfrev_b32_e32 v3, 1
	s_mov_b32 s6, exec_lo
	v_fmac_f32_e32 v2, v11, v1
.LBB83_39:                              ;   Parent Loop BB83_17 Depth=1
                                        ; =>  This Inner Loop Header: Depth=2
	s_ctz_i32_b32 s23, s6
	s_delay_alu instid0(VALU_DEP_1) | instid1(SALU_CYCLE_1)
	v_readlane_b32 s30, v2, s23
	s_lshl_b32 s23, 1, s23
	s_delay_alu instid0(SALU_CYCLE_1) | instskip(NEXT) | instid1(SALU_CYCLE_1)
	s_and_not1_b32 s6, s6, s23
	s_cmp_lg_u32 s6, 0
	s_delay_alu instid0(VALU_DEP_1)
	v_add_f32_e32 v3, s30, v3
	s_cbranch_scc1 .LBB83_39
; %bb.40:                               ;   in Loop: Header=BB83_17 Depth=1
	v_mbcnt_lo_u32_b32 v1, exec_lo, 0
	s_mov_b32 s23, exec_lo
	s_delay_alu instid0(VALU_DEP_1)
	v_cmpx_eq_u32_e32 0, v1
	s_xor_b32 s23, exec_lo, s23
	s_cbranch_execz .LBB83_16
; %bb.41:                               ;   in Loop: Header=BB83_17 Depth=1
	global_load_b32 v2, v12, s[24:25] offset:4
	s_mov_b32 s23, 0
.LBB83_42:                              ;   Parent Loop BB83_17 Depth=1
                                        ; =>  This Inner Loop Header: Depth=2
	s_waitcnt vmcnt(0)
	v_add_f32_e32 v1, v2, v3
	global_atomic_cmpswap_b32 v1, v12, v[1:2], s[24:25] offset:4 glc
	s_waitcnt vmcnt(0)
	v_cmp_eq_u32_e64 s6, v1, v2
	v_mov_b32_e32 v2, v1
	s_delay_alu instid0(VALU_DEP_2) | instskip(NEXT) | instid1(SALU_CYCLE_1)
	s_or_b32 s23, s6, s23
	s_and_not1_b32 exec_lo, exec_lo, s23
	s_cbranch_execnz .LBB83_42
; %bb.43:                               ;   in Loop: Header=BB83_17 Depth=1
	s_or_b32 exec_lo, exec_lo, s23
	s_branch .LBB83_16
.LBB83_44:
	s_ashr_i32 s3, s19, 31
	s_mov_b32 s2, s19
	s_waitcnt lgkmcnt(0)
	v_add_nc_u32_e32 v1, s26, v9
	s_lshl_b64 s[2:3], s[2:3], 2
	s_mov_b32 s4, exec_lo
	s_add_u32 s2, s8, s2
	s_addc_u32 s3, s9, s3
	s_load_b32 s2, s[2:3], 0x0
	s_waitcnt lgkmcnt(0)
	s_sub_i32 s3, s2, s20
	s_delay_alu instid0(SALU_CYCLE_1)
	v_cmpx_gt_i32_e64 s3, v1
	s_cbranch_execz .LBB83_56
; %bb.45:
	s_add_i32 s5, s19, -1
	v_dual_mul_f32 v12, 0x80000000, v11 :: v_dual_mul_f32 v13, 0, v8
	s_cmp_gt_i32 s5, s18
	s_mov_b32 s7, 0
	s_cselect_b32 s2, -1, 0
	s_add_i32 s6, s19, -2
	s_delay_alu instid0(SALU_CYCLE_1) | instskip(SKIP_1) | instid1(SALU_CYCLE_1)
	s_cmp_lg_u32 s6, s18
	s_cselect_b32 s6, -1, 0
	s_and_b32 s6, s2, s6
	s_branch .LBB83_47
.LBB83_46:                              ;   in Loop: Header=BB83_47 Depth=1
	s_or_b32 exec_lo, exec_lo, s2
	v_add_nc_u32_e32 v1, 0x100, v1
	s_delay_alu instid0(VALU_DEP_1) | instskip(SKIP_1) | instid1(SALU_CYCLE_1)
	v_cmp_le_i32_e32 vcc_lo, s3, v1
	s_or_b32 s7, vcc_lo, s7
	s_and_not1_b32 exec_lo, exec_lo, s7
	s_cbranch_execz .LBB83_56
.LBB83_47:                              ; =>This Loop Header: Depth=1
                                        ;     Child Loop BB83_49 Depth 2
                                        ;     Child Loop BB83_53 Depth 2
	;; [unrolled: 1-line block ×3, first 2 shown]
	v_dual_mov_b32 v6, s18 :: v_dual_mov_b32 v3, s5
	s_and_not1_b32 vcc_lo, exec_lo, s6
	s_cbranch_vccnz .LBB83_51
; %bb.48:                               ;   in Loop: Header=BB83_47 Depth=1
	v_dual_mov_b32 v6, s18 :: v_dual_mov_b32 v3, s5
	s_mov_b32 s22, 0
	.p2align	6
.LBB83_49:                              ;   Parent Loop BB83_47 Depth=1
                                        ; =>  This Inner Loop Header: Depth=2
	s_delay_alu instid0(VALU_DEP_1) | instskip(NEXT) | instid1(VALU_DEP_1)
	v_add_nc_u32_e32 v2, v3, v6
	v_lshrrev_b32_e32 v4, 31, v2
	s_delay_alu instid0(VALU_DEP_1) | instskip(NEXT) | instid1(VALU_DEP_1)
	v_add_nc_u32_e32 v2, v2, v4
	v_ashrrev_i32_e32 v4, 1, v2
	s_delay_alu instid0(VALU_DEP_1) | instskip(NEXT) | instid1(VALU_DEP_1)
	v_ashrrev_i32_e32 v5, 31, v4
	v_lshlrev_b64 v[14:15], 2, v[4:5]
	s_delay_alu instid0(VALU_DEP_1) | instskip(NEXT) | instid1(VALU_DEP_2)
	v_add_co_u32 v14, vcc_lo, s8, v14
	v_add_co_ci_u32_e32 v15, vcc_lo, s9, v15, vcc_lo
	global_load_b32 v2, v[14:15], off
	s_waitcnt vmcnt(0)
	v_subrev_nc_u32_e32 v2, s20, v2
	s_delay_alu instid0(VALU_DEP_1) | instskip(SKIP_1) | instid1(VALU_DEP_1)
	v_cmp_gt_i32_e32 vcc_lo, v2, v1
	v_dual_cndmask_b32 v3, v3, v4 :: v_dual_cndmask_b32 v6, v4, v6
	v_add_nc_u32_e32 v2, -1, v3
	s_delay_alu instid0(VALU_DEP_2) | instskip(NEXT) | instid1(VALU_DEP_2)
	v_cmp_ge_i32_e32 vcc_lo, v6, v3
	v_cmp_eq_u32_e64 s2, v6, v2
	s_delay_alu instid0(VALU_DEP_1) | instskip(NEXT) | instid1(SALU_CYCLE_1)
	s_or_b32 s2, vcc_lo, s2
	s_and_b32 s2, exec_lo, s2
	s_delay_alu instid0(SALU_CYCLE_1) | instskip(NEXT) | instid1(SALU_CYCLE_1)
	s_or_b32 s22, s2, s22
	s_and_not1_b32 exec_lo, exec_lo, s22
	s_cbranch_execnz .LBB83_49
; %bb.50:                               ;   in Loop: Header=BB83_47 Depth=1
	s_or_b32 exec_lo, exec_lo, s22
.LBB83_51:                              ;   in Loop: Header=BB83_47 Depth=1
	s_delay_alu instid0(VALU_DEP_1) | instskip(SKIP_2) | instid1(VALU_DEP_2)
	v_ashrrev_i32_e32 v4, 31, v3
	v_ashrrev_i32_e32 v2, 31, v1
	s_mov_b32 s2, exec_lo
	v_lshlrev_b64 v[4:5], 2, v[3:4]
	s_delay_alu instid0(VALU_DEP_1) | instskip(NEXT) | instid1(VALU_DEP_2)
	v_add_co_u32 v14, vcc_lo, s8, v4
	v_add_co_ci_u32_e32 v15, vcc_lo, s9, v5, vcc_lo
	v_lshlrev_b64 v[4:5], 2, v[1:2]
	global_load_b32 v2, v[14:15], off
	v_add_co_u32 v14, vcc_lo, s10, v4
	v_add_co_ci_u32_e32 v15, vcc_lo, s11, v5, vcc_lo
	global_load_b32 v7, v[14:15], off
	s_waitcnt vmcnt(1)
	v_subrev_nc_u32_e32 v2, s20, v2
	s_delay_alu instid0(VALU_DEP_1) | instskip(SKIP_3) | instid1(VALU_DEP_1)
	v_cmp_gt_i32_e32 vcc_lo, v2, v1
	s_waitcnt vmcnt(0)
	v_subrev_nc_u32_e32 v2, s20, v7
	v_cndmask_b32_e32 v6, v3, v6, vcc_lo
	v_cmpx_ne_u32_e64 v2, v6
	s_cbranch_execz .LBB83_46
; %bb.52:                               ;   in Loop: Header=BB83_47 Depth=1
	v_ashrrev_i32_e32 v7, 31, v6
	v_add_co_u32 v4, vcc_lo, s12, v4
	v_add_co_ci_u32_e32 v5, vcc_lo, s13, v5, vcc_lo
	s_delay_alu instid0(VALU_DEP_3)
	v_lshlrev_b64 v[6:7], 3, v[6:7]
	v_ashrrev_i32_e32 v3, 31, v2
	s_mov_b32 s22, 0
	global_load_b32 v15, v[4:5], off
	v_lshlrev_b64 v[2:3], 3, v[2:3]
	v_add_co_u32 v4, vcc_lo, s14, v6
	v_add_co_ci_u32_e32 v5, vcc_lo, s15, v7, vcc_lo
	s_delay_alu instid0(VALU_DEP_3)
	v_add_co_u32 v2, vcc_lo, s16, v2
	global_load_b64 v[4:5], v[4:5], off
	v_add_co_ci_u32_e32 v3, vcc_lo, s17, v3, vcc_lo
	global_load_b32 v7, v[2:3], off
	s_waitcnt vmcnt(2)
	v_fma_f32 v14, v11, v15, v13
	v_fma_f32 v15, v8, v15, v12
	s_waitcnt vmcnt(1)
	s_delay_alu instid0(VALU_DEP_2) | instskip(NEXT) | instid1(VALU_DEP_1)
	v_mul_f32_e64 v16, v5, -v14
	v_fmac_f32_e32 v16, v15, v4
.LBB83_53:                              ;   Parent Loop BB83_47 Depth=1
                                        ; =>  This Inner Loop Header: Depth=2
	s_waitcnt vmcnt(0)
	s_delay_alu instid0(VALU_DEP_1)
	v_add_f32_e32 v6, v7, v16
	global_atomic_cmpswap_b32 v6, v[2:3], v[6:7], off glc
	s_waitcnt vmcnt(0)
	v_cmp_eq_u32_e32 vcc_lo, v6, v7
	v_mov_b32_e32 v7, v6
	s_or_b32 s22, vcc_lo, s22
	s_delay_alu instid0(SALU_CYCLE_1)
	s_and_not1_b32 exec_lo, exec_lo, s22
	s_cbranch_execnz .LBB83_53
; %bb.54:                               ;   in Loop: Header=BB83_47 Depth=1
	s_or_b32 exec_lo, exec_lo, s22
	global_load_b32 v6, v[2:3], off offset:4
	v_mul_f32_e32 v7, v15, v5
	s_mov_b32 s22, 0
	s_delay_alu instid0(VALU_DEP_1)
	v_fmac_f32_e32 v7, v14, v4
.LBB83_55:                              ;   Parent Loop BB83_47 Depth=1
                                        ; =>  This Inner Loop Header: Depth=2
	s_waitcnt vmcnt(0)
	s_delay_alu instid0(VALU_DEP_1)
	v_add_f32_e32 v5, v6, v7
	global_atomic_cmpswap_b32 v4, v[2:3], v[5:6], off offset:4 glc
	s_waitcnt vmcnt(0)
	v_cmp_eq_u32_e32 vcc_lo, v4, v6
	v_mov_b32_e32 v6, v4
	s_or_b32 s22, vcc_lo, s22
	s_delay_alu instid0(SALU_CYCLE_1)
	s_and_not1_b32 exec_lo, exec_lo, s22
	s_cbranch_execnz .LBB83_55
	s_branch .LBB83_46
.LBB83_56:
	s_or_b32 exec_lo, exec_lo, s4
	s_mov_b32 s2, 0
.LBB83_57:
	s_delay_alu instid0(SALU_CYCLE_1)
	s_and_b32 vcc_lo, exec_lo, s2
	s_cbranch_vccz .LBB83_194
; %bb.58:
	s_ashr_i32 s3, s18, 31
	s_mov_b32 s2, s18
	s_sub_i32 s7, 0, s21
	s_lshl_b64 s[2:3], s[2:3], 2
	v_cvt_f32_u32_e32 v1, s21
	s_add_u32 s2, s8, s2
	s_addc_u32 s3, s9, s3
	s_load_b32 s22, s[2:3], 0x0
	s_delay_alu instid0(VALU_DEP_1)
	v_rcp_iflag_f32_e32 v1, v1
	s_clause 0x1
	s_load_b64 s[4:5], s[0:1], 0x4
	s_load_b32 s1, s[0:1], 0x64
	s_waitcnt_depctr 0xfff
	v_mul_f32_e32 v2, 0x4f7ffffe, v1
	s_delay_alu instid0(VALU_DEP_1) | instskip(SKIP_2) | instid1(VALU_DEP_2)
	v_cvt_u32_f32_e32 v2, v2
	s_waitcnt lgkmcnt(0)
	v_add_nc_u32_e32 v1, s22, v9
	v_readfirstlane_b32 s6, v2
	s_delay_alu instid0(VALU_DEP_2) | instskip(NEXT) | instid1(VALU_DEP_2)
	v_add_nc_u32_e32 v9, 0x300, v1
	s_mul_i32 s7, s7, s6
	s_delay_alu instid0(VALU_DEP_1) | instskip(SKIP_2) | instid1(SALU_CYCLE_1)
	v_cmp_le_i32_e32 vcc_lo, s4, v9
	s_mul_hi_u32 s4, s6, s7
	s_and_saveexec_b32 s0, vcc_lo
	s_xor_b32 s7, exec_lo, s0
	s_cbranch_execz .LBB83_63
; %bb.59:
	s_ashr_i32 s25, s19, 31
	s_mov_b32 s24, s19
	s_delay_alu instid0(SALU_CYCLE_1) | instskip(NEXT) | instid1(SALU_CYCLE_1)
	s_lshl_b64 s[24:25], s[24:25], 2
	s_add_u32 s24, s8, s24
	s_addc_u32 s25, s9, s25
	s_load_b32 s0, s[24:25], 0x0
	s_mov_b32 s24, exec_lo
	s_waitcnt lgkmcnt(0)
	s_sub_i32 s23, s0, s22
	s_delay_alu instid0(SALU_CYCLE_1)
	v_cmpx_gt_i32_e64 s23, v0
	s_cbranch_execz .LBB83_62
; %bb.60:
	v_dual_mul_f32 v2, 0x80000000, v11 :: v_dual_mul_f32 v3, 0, v8
	v_dual_mov_b32 v4, v0 :: v_dual_mov_b32 v5, v10
	s_mov_b32 s25, 0
	s_sub_i32 s26, s22, s20
	.p2align	6
.LBB83_61:                              ; =>This Inner Loop Header: Depth=1
	s_delay_alu instid0(VALU_DEP_1) | instid1(SALU_CYCLE_1)
	v_add_nc_u32_e32 v6, s26, v4
	v_add_nc_u32_e32 v4, 0x100, v4
	s_delay_alu instid0(VALU_DEP_2) | instskip(NEXT) | instid1(VALU_DEP_1)
	v_ashrrev_i32_e32 v7, 31, v6
	v_lshlrev_b64 v[6:7], 2, v[6:7]
	s_delay_alu instid0(VALU_DEP_1) | instskip(NEXT) | instid1(VALU_DEP_1)
	v_add_co_u32 v6, s0, s12, v6
	v_add_co_ci_u32_e64 v7, s0, s13, v7, s0
	v_cmp_le_i32_e64 s0, s23, v4
	global_load_b32 v7, v[6:7], off
	s_or_b32 s25, s0, s25
	s_waitcnt vmcnt(0)
	v_fma_f32 v6, v8, v7, v2
	v_fma_f32 v7, v11, v7, v3
	ds_store_b64 v5, v[6:7]
	v_add_nc_u32_e32 v5, 0x800, v5
	s_and_not1_b32 exec_lo, exec_lo, s25
	s_cbranch_execnz .LBB83_61
.LBB83_62:
	s_or_b32 exec_lo, exec_lo, s24
                                        ; implicit-def: $vgpr11
                                        ; implicit-def: $vgpr8
.LBB83_63:
	s_or_saveexec_b32 s7, s7
	v_ashrrev_i32_e32 v2, 31, v1
	s_and_b32 s1, s1, 0xffff
	s_add_i32 s6, s6, s4
	s_xor_b32 exec_lo, exec_lo, s7
	s_cbranch_execz .LBB83_65
; %bb.64:
	v_lshlrev_b64 v[3:4], 2, v[1:2]
	s_delay_alu instid0(VALU_DEP_1) | instskip(NEXT) | instid1(VALU_DEP_1)
	v_add_co_u32 v3, s0, s12, v3
	v_add_co_ci_u32_e64 v4, s0, s13, v4, s0
	s_clause 0x3
	global_load_b32 v6, v[3:4], off
	global_load_b32 v7, v[3:4], off offset:1024
	global_load_b32 v15, v[3:4], off offset:2048
	;; [unrolled: 1-line block ×3, first 2 shown]
	v_dual_mul_f32 v3, 0x80000000, v11 :: v_dual_mul_f32 v4, 0, v8
	s_waitcnt vmcnt(3)
	s_delay_alu instid0(VALU_DEP_1) | instskip(NEXT) | instid1(VALU_DEP_2)
	v_fma_f32 v5, v8, v6, v3
	v_fma_f32 v6, v11, v6, v4
	s_waitcnt vmcnt(2)
	v_fma_f32 v12, v8, v7, v3
	v_fma_f32 v13, v11, v7, v4
	s_waitcnt vmcnt(1)
	;; [unrolled: 3-line block ×3, first 2 shown]
	v_fmac_f32_e32 v3, v8, v16
	v_fmac_f32_e32 v4, v11, v16
	ds_store_2addr_stride64_b64 v10, v[5:6], v[12:13] offset1:4
	ds_store_2addr_stride64_b64 v10, v[14:15], v[3:4] offset0:8 offset1:12
.LBB83_65:
	s_or_b32 exec_lo, exec_lo, s7
	s_mul_hi_u32 s4, s1, s6
	s_mov_b32 s6, exec_lo
	v_cmpx_gt_i32_e64 s5, v0
	s_cbranch_execz .LBB83_68
; %bb.66:
	v_lshl_add_u32 v3, v0, 3, 0x2000
	v_dual_mov_b32 v4, 0 :: v_dual_mov_b32 v5, v0
	s_mov_b32 s7, 0
.LBB83_67:                              ; =>This Inner Loop Header: Depth=1
	s_delay_alu instid0(VALU_DEP_1) | instskip(SKIP_3) | instid1(VALU_DEP_1)
	v_add_nc_u32_e32 v5, 0x100, v5
	ds_store_2addr_b32 v3, v4, v4 offset1:1
	v_add_nc_u32_e32 v3, 0x800, v3
	v_cmp_le_i32_e64 s0, s5, v5
	s_or_b32 s7, s0, s7
	s_delay_alu instid0(SALU_CYCLE_1)
	s_and_not1_b32 exec_lo, exec_lo, s7
	s_cbranch_execnz .LBB83_67
.LBB83_68:
	s_or_b32 exec_lo, exec_lo, s6
	s_sub_i32 s0, s19, s5
	s_cmp_ge_i32 s19, s5
	s_waitcnt lgkmcnt(0)
	s_cselect_b32 s12, s0, 0
	s_barrier
	buffer_gl0_inv
	s_and_saveexec_b32 s0, vcc_lo
	s_delay_alu instid0(SALU_CYCLE_1)
	s_xor_b32 s6, exec_lo, s0
	s_cbranch_execz .LBB83_89
; %bb.69:
	s_ashr_i32 s25, s19, 31
	s_mov_b32 s24, s19
	s_mov_b32 s13, exec_lo
	s_lshl_b64 s[24:25], s[24:25], 2
	s_delay_alu instid0(SALU_CYCLE_1) | instskip(SKIP_4) | instid1(SALU_CYCLE_1)
	s_add_u32 s24, s8, s24
	s_addc_u32 s25, s9, s25
	s_load_b32 s0, s[24:25], 0x0
	s_waitcnt lgkmcnt(0)
	s_sub_i32 s7, s0, s22
	v_cmpx_gt_i32_e64 s7, v0
	s_cbranch_execz .LBB83_88
; %bb.70:
	s_add_i32 s23, s19, -1
	s_mov_b32 s26, 0
	s_cmp_gt_i32 s23, s18
	s_mov_b32 s27, 0
	s_cselect_b32 s24, -1, 0
	s_add_i32 s25, s19, -2
	s_delay_alu instid0(SALU_CYCLE_1) | instskip(SKIP_1) | instid1(SALU_CYCLE_1)
	s_cmp_lg_u32 s25, s18
	s_cselect_b32 s25, -1, 0
	s_and_b32 s24, s24, s25
	s_sub_i32 s25, s0, s20
	s_branch .LBB83_73
.LBB83_71:                              ;   in Loop: Header=BB83_73 Depth=1
	s_or_b32 exec_lo, exec_lo, s0
.LBB83_72:                              ;   in Loop: Header=BB83_73 Depth=1
	s_delay_alu instid0(SALU_CYCLE_1) | instskip(SKIP_2) | instid1(VALU_DEP_1)
	s_or_b32 exec_lo, exec_lo, s28
	v_ashrrev_i32_e32 v3, 31, v2
	s_addk_i32 s27, 0x100
	v_lshlrev_b64 v[2:3], 3, v[2:3]
	s_delay_alu instid0(VALU_DEP_1) | instskip(NEXT) | instid1(VALU_DEP_2)
	v_add_co_u32 v2, vcc_lo, s14, v2
	v_add_co_ci_u32_e32 v3, vcc_lo, s15, v3, vcc_lo
	global_load_b64 v[2:3], v[2:3], off
	s_waitcnt vmcnt(0)
	v_mul_f32_e32 v6, v3, v12
	s_delay_alu instid0(VALU_DEP_1) | instskip(NEXT) | instid1(VALU_DEP_1)
	v_dual_mul_f32 v7, v3, v4 :: v_dual_fmac_f32 v6, v4, v2
	v_dual_fmac_f32 v7, v5, v2 :: v_dual_add_nc_u32 v8, s27, v0
	s_delay_alu instid0(VALU_DEP_1) | instskip(SKIP_2) | instid1(SALU_CYCLE_1)
	v_cmp_le_i32_e32 vcc_lo, s7, v8
	ds_store_b64 v11, v[6:7]
	s_or_b32 s26, vcc_lo, s26
	s_and_not1_b32 exec_lo, exec_lo, s26
	s_cbranch_execz .LBB83_88
.LBB83_73:                              ; =>This Loop Header: Depth=1
                                        ;     Child Loop BB83_75 Depth 2
                                        ;     Child Loop BB83_82 Depth 2
	;; [unrolled: 1-line block ×3, first 2 shown]
	v_add_nc_u32_e32 v3, s27, v1
	v_mov_b32_e32 v7, s18
	v_mov_b32_e32 v5, s23
	s_and_not1_b32 vcc_lo, exec_lo, s24
	s_cbranch_vccnz .LBB83_77
; %bb.74:                               ;   in Loop: Header=BB83_73 Depth=1
	v_mov_b32_e32 v7, s18
	v_mov_b32_e32 v5, s23
	s_mov_b32 s28, 0
	.p2align	6
.LBB83_75:                              ;   Parent Loop BB83_73 Depth=1
                                        ; =>  This Inner Loop Header: Depth=2
	s_delay_alu instid0(VALU_DEP_1) | instskip(NEXT) | instid1(VALU_DEP_1)
	v_add_nc_u32_e32 v2, v5, v7
	v_lshrrev_b32_e32 v4, 31, v2
	s_delay_alu instid0(VALU_DEP_1) | instskip(NEXT) | instid1(VALU_DEP_1)
	v_add_nc_u32_e32 v2, v2, v4
	v_ashrrev_i32_e32 v8, 1, v2
	s_delay_alu instid0(VALU_DEP_1) | instskip(NEXT) | instid1(VALU_DEP_1)
	v_ashrrev_i32_e32 v9, 31, v8
	v_lshlrev_b64 v[11:12], 2, v[8:9]
	s_delay_alu instid0(VALU_DEP_1) | instskip(NEXT) | instid1(VALU_DEP_2)
	v_add_co_u32 v11, vcc_lo, s8, v11
	v_add_co_ci_u32_e32 v12, vcc_lo, s9, v12, vcc_lo
	global_load_b32 v2, v[11:12], off
	s_waitcnt vmcnt(0)
	v_subrev_nc_u32_e32 v2, s20, v2
	s_delay_alu instid0(VALU_DEP_1) | instskip(SKIP_2) | instid1(VALU_DEP_1)
	v_cmp_gt_i32_e32 vcc_lo, v2, v3
	v_cndmask_b32_e32 v7, v8, v7, vcc_lo
	v_cndmask_b32_e32 v5, v5, v8, vcc_lo
	v_add_nc_u32_e32 v2, -1, v5
	s_delay_alu instid0(VALU_DEP_3) | instskip(NEXT) | instid1(VALU_DEP_2)
	v_cmp_ge_i32_e32 vcc_lo, v7, v5
	v_cmp_eq_u32_e64 s0, v7, v2
	s_delay_alu instid0(VALU_DEP_1) | instskip(NEXT) | instid1(SALU_CYCLE_1)
	s_or_b32 s0, vcc_lo, s0
	s_and_b32 s0, exec_lo, s0
	s_delay_alu instid0(SALU_CYCLE_1) | instskip(NEXT) | instid1(SALU_CYCLE_1)
	s_or_b32 s28, s0, s28
	s_and_not1_b32 exec_lo, exec_lo, s28
	s_cbranch_execnz .LBB83_75
; %bb.76:                               ;   in Loop: Header=BB83_73 Depth=1
	s_or_b32 exec_lo, exec_lo, s28
.LBB83_77:                              ;   in Loop: Header=BB83_73 Depth=1
	s_delay_alu instid0(VALU_DEP_1) | instskip(SKIP_2) | instid1(VALU_DEP_3)
	v_ashrrev_i32_e32 v6, 31, v5
	v_ashrrev_i32_e32 v4, 31, v3
	v_cmp_le_i32_e64 s0, s25, v3
	v_lshlrev_b64 v[8:9], 2, v[5:6]
	s_delay_alu instid0(VALU_DEP_3) | instskip(NEXT) | instid1(VALU_DEP_2)
	v_lshlrev_b64 v[11:12], 2, v[3:4]
	v_add_co_u32 v8, vcc_lo, s8, v8
	s_delay_alu instid0(VALU_DEP_3) | instskip(NEXT) | instid1(VALU_DEP_3)
	v_add_co_ci_u32_e32 v9, vcc_lo, s9, v9, vcc_lo
	v_add_co_u32 v11, vcc_lo, s10, v11
	s_delay_alu instid0(VALU_DEP_4)
	v_add_co_ci_u32_e32 v12, vcc_lo, s11, v12, vcc_lo
	global_load_b32 v2, v[8:9], off
	global_load_b32 v4, v[11:12], off
	v_lshl_add_u32 v11, s27, 3, v10
                                        ; implicit-def: $vgpr12
	s_waitcnt vmcnt(1)
	v_subrev_nc_u32_e32 v6, s20, v2
	s_waitcnt vmcnt(0)
	v_subrev_nc_u32_e32 v2, s20, v4
                                        ; implicit-def: $vgpr4
	s_delay_alu instid0(VALU_DEP_2) | instskip(SKIP_1) | instid1(VALU_DEP_1)
	v_cmp_gt_i32_e32 vcc_lo, v6, v3
	v_cndmask_b32_e32 v6, v5, v7, vcc_lo
	v_cmp_eq_u32_e32 vcc_lo, v2, v6
	s_or_b32 s0, vcc_lo, s0
	s_delay_alu instid0(SALU_CYCLE_1) | instskip(NEXT) | instid1(SALU_CYCLE_1)
	s_and_saveexec_b32 s28, s0
	s_xor_b32 s0, exec_lo, s28
	s_cbranch_execz .LBB83_79
; %bb.78:                               ;   in Loop: Header=BB83_73 Depth=1
	ds_load_b64 v[4:5], v11
                                        ; implicit-def: $vgpr6
	s_waitcnt lgkmcnt(0)
	v_xor_b32_e32 v12, 0x80000000, v5
.LBB83_79:                              ;   in Loop: Header=BB83_73 Depth=1
	s_and_not1_saveexec_b32 s28, s0
	s_cbranch_execz .LBB83_72
; %bb.80:                               ;   in Loop: Header=BB83_73 Depth=1
	v_ashrrev_i32_e32 v7, 31, v6
	v_cmp_le_i32_e64 s0, s19, v2
	s_delay_alu instid0(VALU_DEP_2) | instskip(NEXT) | instid1(VALU_DEP_1)
	v_lshlrev_b64 v[3:4], 3, v[6:7]
	v_add_co_u32 v3, vcc_lo, s14, v3
	s_delay_alu instid0(VALU_DEP_2)
	v_add_co_ci_u32_e32 v4, vcc_lo, s15, v4, vcc_lo
	v_cmp_gt_i32_e32 vcc_lo, s12, v2
	global_load_b64 v[6:7], v[3:4], off
	ds_load_b64 v[4:5], v11
	s_or_b32 s0, vcc_lo, s0
	s_waitcnt lgkmcnt(0)
	v_xor_b32_e32 v12, 0x80000000, v5
	s_waitcnt vmcnt(0)
	v_mul_f32_e64 v14, v7, -v5
	s_delay_alu instid0(VALU_DEP_1) | instskip(NEXT) | instid1(VALU_DEP_1)
	v_dual_mul_f32 v13, v7, v4 :: v_dual_fmac_f32 v14, v4, v6
	v_fmac_f32_e32 v13, v5, v6
	s_and_saveexec_b32 s29, s0
	s_delay_alu instid0(SALU_CYCLE_1)
	s_xor_b32 s0, exec_lo, s29
	s_cbranch_execz .LBB83_86
; %bb.81:                               ;   in Loop: Header=BB83_73 Depth=1
	v_ashrrev_i32_e32 v3, 31, v2
	s_mov_b32 s29, 0
	s_delay_alu instid0(VALU_DEP_1) | instskip(NEXT) | instid1(VALU_DEP_1)
	v_lshlrev_b64 v[6:7], 3, v[2:3]
	v_add_co_u32 v6, vcc_lo, s16, v6
	s_delay_alu instid0(VALU_DEP_2)
	v_add_co_ci_u32_e32 v7, vcc_lo, s17, v7, vcc_lo
	global_load_b32 v9, v[6:7], off
.LBB83_82:                              ;   Parent Loop BB83_73 Depth=1
                                        ; =>  This Inner Loop Header: Depth=2
	s_waitcnt vmcnt(0)
	v_add_f32_e32 v8, v9, v14
	global_atomic_cmpswap_b32 v3, v[6:7], v[8:9], off glc
	s_waitcnt vmcnt(0)
	v_cmp_eq_u32_e32 vcc_lo, v3, v9
	v_mov_b32_e32 v9, v3
	s_or_b32 s29, vcc_lo, s29
	s_delay_alu instid0(SALU_CYCLE_1)
	s_and_not1_b32 exec_lo, exec_lo, s29
	s_cbranch_execnz .LBB83_82
; %bb.83:                               ;   in Loop: Header=BB83_73 Depth=1
	s_or_b32 exec_lo, exec_lo, s29
	global_load_b32 v9, v[6:7], off offset:4
	s_mov_b32 s29, 0
.LBB83_84:                              ;   Parent Loop BB83_73 Depth=1
                                        ; =>  This Inner Loop Header: Depth=2
	s_waitcnt vmcnt(0)
	v_add_f32_e32 v8, v9, v13
	global_atomic_cmpswap_b32 v3, v[6:7], v[8:9], off offset:4 glc
	s_waitcnt vmcnt(0)
	v_cmp_eq_u32_e32 vcc_lo, v3, v9
	v_mov_b32_e32 v9, v3
	s_or_b32 s29, vcc_lo, s29
	s_delay_alu instid0(SALU_CYCLE_1)
	s_and_not1_b32 exec_lo, exec_lo, s29
	s_cbranch_execnz .LBB83_84
; %bb.85:                               ;   in Loop: Header=BB83_73 Depth=1
	s_or_b32 exec_lo, exec_lo, s29
                                        ; implicit-def: $vgpr14
                                        ; implicit-def: $vgpr13
.LBB83_86:                              ;   in Loop: Header=BB83_73 Depth=1
	s_and_not1_saveexec_b32 s0, s0
	s_cbranch_execz .LBB83_71
; %bb.87:                               ;   in Loop: Header=BB83_73 Depth=1
	v_subrev_nc_u32_e32 v3, s12, v2
	s_delay_alu instid0(VALU_DEP_1)
	v_lshl_add_u32 v3, v3, 3, 0x2000
	ds_add_f32 v3, v14
	ds_add_f32 v3, v13 offset:4
	s_branch .LBB83_71
.LBB83_88:
	s_or_b32 exec_lo, exec_lo, s13
                                        ; implicit-def: $vgpr9
                                        ; implicit-def: $vgpr1
.LBB83_89:
	s_and_not1_saveexec_b32 s13, s6
	s_cbranch_execz .LBB83_147
; %bb.90:
	s_add_i32 s23, s19, -1
	v_mov_b32_e32 v6, s18
	s_cmp_le_i32 s23, s18
	v_mov_b32_e32 v4, s23
	s_cselect_b32 s0, -1, 0
	s_add_i32 s6, s19, -2
	s_delay_alu instid0(SALU_CYCLE_1) | instskip(SKIP_1) | instid1(SALU_CYCLE_1)
	s_cmp_eq_u32 s6, s18
	s_cselect_b32 s6, -1, 0
	s_or_b32 s6, s0, s6
	s_delay_alu instid0(SALU_CYCLE_1)
	s_and_b32 vcc_lo, exec_lo, s6
	s_cbranch_vccnz .LBB83_94
; %bb.91:
	v_mov_b32_e32 v6, s18
	v_mov_b32_e32 v4, s23
	s_mov_b32 s7, 0
	.p2align	6
.LBB83_92:                              ; =>This Inner Loop Header: Depth=1
	s_delay_alu instid0(VALU_DEP_1) | instskip(NEXT) | instid1(VALU_DEP_1)
	v_add_nc_u32_e32 v3, v4, v6
	v_lshrrev_b32_e32 v5, 31, v3
	s_delay_alu instid0(VALU_DEP_1) | instskip(NEXT) | instid1(VALU_DEP_1)
	v_add_nc_u32_e32 v3, v3, v5
	v_ashrrev_i32_e32 v7, 1, v3
	s_delay_alu instid0(VALU_DEP_1) | instskip(NEXT) | instid1(VALU_DEP_1)
	v_ashrrev_i32_e32 v8, 31, v7
	v_lshlrev_b64 v[11:12], 2, v[7:8]
	s_delay_alu instid0(VALU_DEP_1) | instskip(NEXT) | instid1(VALU_DEP_2)
	v_add_co_u32 v11, vcc_lo, s8, v11
	v_add_co_ci_u32_e32 v12, vcc_lo, s9, v12, vcc_lo
	global_load_b32 v3, v[11:12], off
	s_waitcnt vmcnt(0)
	v_subrev_nc_u32_e32 v3, s20, v3
	s_delay_alu instid0(VALU_DEP_1) | instskip(SKIP_1) | instid1(VALU_DEP_1)
	v_cmp_gt_i32_e32 vcc_lo, v3, v1
	v_cndmask_b32_e32 v4, v4, v7, vcc_lo
	v_dual_cndmask_b32 v6, v7, v6 :: v_dual_add_nc_u32 v3, -1, v4
	s_delay_alu instid0(VALU_DEP_1) | instskip(NEXT) | instid1(VALU_DEP_2)
	v_cmp_ge_i32_e32 vcc_lo, v6, v4
	v_cmp_eq_u32_e64 s0, v6, v3
	s_delay_alu instid0(VALU_DEP_1) | instskip(NEXT) | instid1(SALU_CYCLE_1)
	s_or_b32 s0, vcc_lo, s0
	s_and_b32 s0, exec_lo, s0
	s_delay_alu instid0(SALU_CYCLE_1) | instskip(NEXT) | instid1(SALU_CYCLE_1)
	s_or_b32 s7, s0, s7
	s_and_not1_b32 exec_lo, exec_lo, s7
	s_cbranch_execnz .LBB83_92
; %bb.93:
	s_or_b32 exec_lo, exec_lo, s7
.LBB83_94:
	v_ashrrev_i32_e32 v5, 31, v4
	v_lshlrev_b64 v[2:3], 2, v[1:2]
	s_xor_b32 s24, s6, -1
	s_ashr_i32 s7, s19, 31
	s_mov_b32 s6, s19
	v_lshlrev_b64 v[7:8], 2, v[4:5]
	s_lshl_b64 s[6:7], s[6:7], 2
	s_delay_alu instid0(SALU_CYCLE_1) | instskip(SKIP_1) | instid1(VALU_DEP_1)
	s_add_u32 s6, s8, s6
	s_addc_u32 s7, s9, s7
	v_add_co_u32 v7, vcc_lo, s8, v7
	s_delay_alu instid0(VALU_DEP_2)
	v_add_co_ci_u32_e32 v8, vcc_lo, s9, v8, vcc_lo
	v_add_co_u32 v2, vcc_lo, s10, v2
	v_add_co_ci_u32_e32 v3, vcc_lo, s11, v3, vcc_lo
	global_load_b32 v5, v[7:8], off
	s_mov_b32 s10, exec_lo
	global_load_b32 v7, v[2:3], off
	s_waitcnt vmcnt(1)
	v_subrev_nc_u32_e32 v5, s20, v5
	s_delay_alu instid0(VALU_DEP_1) | instskip(SKIP_3) | instid1(VALU_DEP_1)
	v_cmp_gt_i32_e32 vcc_lo, v5, v1
	v_cndmask_b32_e32 v5, v4, v6, vcc_lo
	s_waitcnt vmcnt(0)
	v_subrev_nc_u32_e32 v4, s20, v7
	v_cmpx_ne_u32_e64 v4, v5
	s_cbranch_execz .LBB83_104
; %bb.95:
	s_load_b32 s0, s[6:7], 0x0
	s_waitcnt lgkmcnt(0)
	s_sub_i32 s0, s0, s20
	s_delay_alu instid0(SALU_CYCLE_1)
	v_cmp_gt_i32_e32 vcc_lo, s0, v1
	s_and_b32 exec_lo, exec_lo, vcc_lo
	s_cbranch_execz .LBB83_104
; %bb.96:
	v_ashrrev_i32_e32 v6, 31, v5
	ds_load_b64 v[7:8], v10
	v_cmp_le_i32_e64 s0, s19, v4
	v_lshlrev_b64 v[5:6], 3, v[5:6]
	s_delay_alu instid0(VALU_DEP_1) | instskip(NEXT) | instid1(VALU_DEP_2)
	v_add_co_u32 v5, vcc_lo, s14, v5
	v_add_co_ci_u32_e32 v6, vcc_lo, s15, v6, vcc_lo
	v_cmp_gt_i32_e32 vcc_lo, s12, v4
	global_load_b64 v[5:6], v[5:6], off
	s_or_b32 s0, vcc_lo, s0
	s_waitcnt vmcnt(0) lgkmcnt(0)
	v_mul_f32_e64 v12, v6, -v8
	s_delay_alu instid0(VALU_DEP_1) | instskip(NEXT) | instid1(VALU_DEP_1)
	v_dual_mul_f32 v11, v6, v7 :: v_dual_fmac_f32 v12, v7, v5
	v_fmac_f32_e32 v11, v8, v5
	s_and_saveexec_b32 s11, s0
	s_delay_alu instid0(SALU_CYCLE_1)
	s_xor_b32 s0, exec_lo, s11
	s_cbranch_execz .LBB83_102
; %bb.97:
	v_ashrrev_i32_e32 v5, 31, v4
	s_mov_b32 s11, 0
	s_delay_alu instid0(VALU_DEP_1) | instskip(NEXT) | instid1(VALU_DEP_1)
	v_lshlrev_b64 v[5:6], 3, v[4:5]
	v_add_co_u32 v5, vcc_lo, s16, v5
	s_delay_alu instid0(VALU_DEP_2)
	v_add_co_ci_u32_e32 v6, vcc_lo, s17, v6, vcc_lo
	global_load_b32 v8, v[5:6], off
.LBB83_98:                              ; =>This Inner Loop Header: Depth=1
	s_waitcnt vmcnt(0)
	v_add_f32_e32 v7, v8, v12
	global_atomic_cmpswap_b32 v7, v[5:6], v[7:8], off glc
	s_waitcnt vmcnt(0)
	v_cmp_eq_u32_e32 vcc_lo, v7, v8
	v_mov_b32_e32 v8, v7
	s_or_b32 s11, vcc_lo, s11
	s_delay_alu instid0(SALU_CYCLE_1)
	s_and_not1_b32 exec_lo, exec_lo, s11
	s_cbranch_execnz .LBB83_98
; %bb.99:
	s_or_b32 exec_lo, exec_lo, s11
	global_load_b32 v8, v[5:6], off offset:4
	s_mov_b32 s11, 0
.LBB83_100:                             ; =>This Inner Loop Header: Depth=1
	s_waitcnt vmcnt(0)
	v_add_f32_e32 v7, v8, v11
	global_atomic_cmpswap_b32 v7, v[5:6], v[7:8], off offset:4 glc
	s_waitcnt vmcnt(0)
	v_cmp_eq_u32_e32 vcc_lo, v7, v8
	v_mov_b32_e32 v8, v7
	s_or_b32 s11, vcc_lo, s11
	s_delay_alu instid0(SALU_CYCLE_1)
	s_and_not1_b32 exec_lo, exec_lo, s11
	s_cbranch_execnz .LBB83_100
; %bb.101:
	s_or_b32 exec_lo, exec_lo, s11
                                        ; implicit-def: $vgpr12
                                        ; implicit-def: $vgpr11
.LBB83_102:
	s_and_not1_saveexec_b32 s0, s0
	s_cbranch_execz .LBB83_104
; %bb.103:
	v_subrev_nc_u32_e32 v5, s12, v4
	s_delay_alu instid0(VALU_DEP_1)
	v_lshl_add_u32 v5, v5, 3, 0x2000
	ds_add_f32 v5, v12
	ds_add_f32 v5, v11 offset:4
.LBB83_104:
	s_or_b32 exec_lo, exec_lo, s10
	v_ashrrev_i32_e32 v5, 31, v4
	ds_load_b64 v[7:8], v10
	v_cndmask_b32_e64 v11, 0, 1, s24
	v_add_nc_u32_e32 v6, 0x100, v1
	v_lshlrev_b64 v[4:5], 3, v[4:5]
	s_delay_alu instid0(VALU_DEP_1) | instskip(NEXT) | instid1(VALU_DEP_2)
	v_add_co_u32 v4, vcc_lo, s14, v4
	v_add_co_ci_u32_e32 v5, vcc_lo, s15, v5, vcc_lo
	s_and_not1_b32 vcc_lo, exec_lo, s24
	global_load_b64 v[4:5], v[4:5], off
	s_waitcnt vmcnt(0) lgkmcnt(0)
	v_mul_f32_e64 v12, v5, -v8
	s_delay_alu instid0(VALU_DEP_1) | instskip(SKIP_1) | instid1(VALU_DEP_2)
	v_dual_mul_f32 v13, v5, v7 :: v_dual_fmac_f32 v12, v7, v4
	v_mov_b32_e32 v7, s18
	v_dual_fmac_f32 v13, v8, v4 :: v_dual_mov_b32 v4, s23
	ds_store_b64 v10, v[12:13]
	s_cbranch_vccnz .LBB83_108
; %bb.105:
	v_dual_mov_b32 v7, s18 :: v_dual_mov_b32 v4, s23
	s_mov_b32 s10, 0
	.p2align	6
.LBB83_106:                             ; =>This Inner Loop Header: Depth=1
	s_delay_alu instid0(VALU_DEP_1) | instskip(NEXT) | instid1(VALU_DEP_1)
	v_add_nc_u32_e32 v5, v4, v7
	v_lshrrev_b32_e32 v8, 31, v5
	s_delay_alu instid0(VALU_DEP_1) | instskip(NEXT) | instid1(VALU_DEP_1)
	v_add_nc_u32_e32 v5, v5, v8
	v_ashrrev_i32_e32 v12, 1, v5
	s_delay_alu instid0(VALU_DEP_1) | instskip(NEXT) | instid1(VALU_DEP_1)
	v_ashrrev_i32_e32 v13, 31, v12
	v_lshlrev_b64 v[13:14], 2, v[12:13]
	s_delay_alu instid0(VALU_DEP_1) | instskip(NEXT) | instid1(VALU_DEP_2)
	v_add_co_u32 v13, vcc_lo, s8, v13
	v_add_co_ci_u32_e32 v14, vcc_lo, s9, v14, vcc_lo
	global_load_b32 v5, v[13:14], off
	s_waitcnt vmcnt(0)
	v_subrev_nc_u32_e32 v5, s20, v5
	s_delay_alu instid0(VALU_DEP_1) | instskip(SKIP_2) | instid1(VALU_DEP_2)
	v_cmp_gt_i32_e32 vcc_lo, v5, v6
	v_cndmask_b32_e32 v4, v4, v12, vcc_lo
	v_cndmask_b32_e32 v7, v12, v7, vcc_lo
	v_add_nc_u32_e32 v5, -1, v4
	s_delay_alu instid0(VALU_DEP_2) | instskip(NEXT) | instid1(VALU_DEP_2)
	v_cmp_ge_i32_e32 vcc_lo, v7, v4
	v_cmp_eq_u32_e64 s0, v7, v5
	s_delay_alu instid0(VALU_DEP_1) | instskip(NEXT) | instid1(SALU_CYCLE_1)
	s_or_b32 s0, vcc_lo, s0
	s_and_b32 s0, exec_lo, s0
	s_delay_alu instid0(SALU_CYCLE_1) | instskip(NEXT) | instid1(SALU_CYCLE_1)
	s_or_b32 s10, s0, s10
	s_and_not1_b32 exec_lo, exec_lo, s10
	s_cbranch_execnz .LBB83_106
; %bb.107:
	s_or_b32 exec_lo, exec_lo, s10
.LBB83_108:
	v_ashrrev_i32_e32 v5, 31, v4
	s_mov_b32 s10, exec_lo
	s_delay_alu instid0(VALU_DEP_1) | instskip(NEXT) | instid1(VALU_DEP_1)
	v_lshlrev_b64 v[12:13], 2, v[4:5]
	v_add_co_u32 v12, vcc_lo, s8, v12
	s_delay_alu instid0(VALU_DEP_2) | instskip(SKIP_4) | instid1(VALU_DEP_1)
	v_add_co_ci_u32_e32 v13, vcc_lo, s9, v13, vcc_lo
	global_load_b32 v5, v[12:13], off
	global_load_b32 v8, v[2:3], off offset:1024
	s_waitcnt vmcnt(1)
	v_subrev_nc_u32_e32 v5, s20, v5
	v_cmp_gt_i32_e32 vcc_lo, v5, v6
	v_cndmask_b32_e32 v5, v4, v7, vcc_lo
	s_waitcnt vmcnt(0)
	v_subrev_nc_u32_e32 v4, s20, v8
	s_delay_alu instid0(VALU_DEP_1)
	v_cmpx_ne_u32_e64 v4, v5
	s_cbranch_execz .LBB83_118
; %bb.109:
	s_load_b32 s0, s[6:7], 0x0
	s_waitcnt lgkmcnt(0)
	s_sub_i32 s0, s0, s20
	s_delay_alu instid0(SALU_CYCLE_1)
	v_cmp_gt_i32_e32 vcc_lo, s0, v6
	s_and_b32 exec_lo, exec_lo, vcc_lo
	s_cbranch_execz .LBB83_118
; %bb.110:
	v_ashrrev_i32_e32 v6, 31, v5
	ds_load_b64 v[7:8], v10 offset:2048
	v_cmp_le_i32_e64 s0, s19, v4
	v_lshlrev_b64 v[5:6], 3, v[5:6]
	s_delay_alu instid0(VALU_DEP_1) | instskip(NEXT) | instid1(VALU_DEP_2)
	v_add_co_u32 v5, vcc_lo, s14, v5
	v_add_co_ci_u32_e32 v6, vcc_lo, s15, v6, vcc_lo
	v_cmp_gt_i32_e32 vcc_lo, s12, v4
	global_load_b64 v[5:6], v[5:6], off
	s_or_b32 s0, vcc_lo, s0
	s_waitcnt vmcnt(0) lgkmcnt(0)
	v_mul_f32_e64 v13, v6, -v8
	s_delay_alu instid0(VALU_DEP_1) | instskip(NEXT) | instid1(VALU_DEP_1)
	v_dual_mul_f32 v12, v6, v7 :: v_dual_fmac_f32 v13, v7, v5
	v_fmac_f32_e32 v12, v8, v5
	s_and_saveexec_b32 s11, s0
	s_delay_alu instid0(SALU_CYCLE_1)
	s_xor_b32 s0, exec_lo, s11
	s_cbranch_execz .LBB83_116
; %bb.111:
	v_ashrrev_i32_e32 v5, 31, v4
	s_mov_b32 s11, 0
	s_delay_alu instid0(VALU_DEP_1) | instskip(NEXT) | instid1(VALU_DEP_1)
	v_lshlrev_b64 v[5:6], 3, v[4:5]
	v_add_co_u32 v5, vcc_lo, s16, v5
	s_delay_alu instid0(VALU_DEP_2)
	v_add_co_ci_u32_e32 v6, vcc_lo, s17, v6, vcc_lo
	global_load_b32 v8, v[5:6], off
.LBB83_112:                             ; =>This Inner Loop Header: Depth=1
	s_waitcnt vmcnt(0)
	v_add_f32_e32 v7, v8, v13
	global_atomic_cmpswap_b32 v7, v[5:6], v[7:8], off glc
	s_waitcnt vmcnt(0)
	v_cmp_eq_u32_e32 vcc_lo, v7, v8
	v_mov_b32_e32 v8, v7
	s_or_b32 s11, vcc_lo, s11
	s_delay_alu instid0(SALU_CYCLE_1)
	s_and_not1_b32 exec_lo, exec_lo, s11
	s_cbranch_execnz .LBB83_112
; %bb.113:
	s_or_b32 exec_lo, exec_lo, s11
	global_load_b32 v8, v[5:6], off offset:4
	s_mov_b32 s11, 0
.LBB83_114:                             ; =>This Inner Loop Header: Depth=1
	s_waitcnt vmcnt(0)
	v_add_f32_e32 v7, v8, v12
	global_atomic_cmpswap_b32 v7, v[5:6], v[7:8], off offset:4 glc
	s_waitcnt vmcnt(0)
	v_cmp_eq_u32_e32 vcc_lo, v7, v8
	v_mov_b32_e32 v8, v7
	s_or_b32 s11, vcc_lo, s11
	s_delay_alu instid0(SALU_CYCLE_1)
	s_and_not1_b32 exec_lo, exec_lo, s11
	s_cbranch_execnz .LBB83_114
; %bb.115:
	s_or_b32 exec_lo, exec_lo, s11
                                        ; implicit-def: $vgpr13
                                        ; implicit-def: $vgpr12
.LBB83_116:
	s_and_not1_saveexec_b32 s0, s0
	s_cbranch_execz .LBB83_118
; %bb.117:
	v_subrev_nc_u32_e32 v5, s12, v4
	s_delay_alu instid0(VALU_DEP_1)
	v_lshl_add_u32 v5, v5, 3, 0x2000
	ds_add_f32 v5, v13
	ds_add_f32 v5, v12 offset:4
.LBB83_118:
	s_or_b32 exec_lo, exec_lo, s10
	v_ashrrev_i32_e32 v5, 31, v4
	ds_load_b64 v[6:7], v10 offset:2048
	v_add_nc_u32_e32 v1, 0x200, v1
	v_lshlrev_b64 v[4:5], 3, v[4:5]
	s_delay_alu instid0(VALU_DEP_1) | instskip(NEXT) | instid1(VALU_DEP_2)
	v_add_co_u32 v4, vcc_lo, s14, v4
	v_add_co_ci_u32_e32 v5, vcc_lo, s15, v5, vcc_lo
	v_cmp_ne_u32_e32 vcc_lo, 1, v11
	global_load_b64 v[4:5], v[4:5], off
	s_and_b32 vcc_lo, exec_lo, vcc_lo
	s_waitcnt vmcnt(0) lgkmcnt(0)
	v_mul_f32_e64 v12, v5, -v7
	s_delay_alu instid0(VALU_DEP_1) | instskip(NEXT) | instid1(VALU_DEP_1)
	v_dual_mul_f32 v13, v5, v6 :: v_dual_fmac_f32 v12, v6, v4
	v_dual_fmac_f32 v13, v7, v4 :: v_dual_mov_b32 v4, s23
	v_mov_b32_e32 v6, s18
	ds_store_b64 v10, v[12:13] offset:2048
	s_cbranch_vccnz .LBB83_122
; %bb.119:
	v_mov_b32_e32 v6, s18
	v_mov_b32_e32 v4, s23
	s_mov_b32 s10, 0
	.p2align	6
.LBB83_120:                             ; =>This Inner Loop Header: Depth=1
	s_delay_alu instid0(VALU_DEP_1) | instskip(NEXT) | instid1(VALU_DEP_1)
	v_add_nc_u32_e32 v5, v4, v6
	v_lshrrev_b32_e32 v7, 31, v5
	s_delay_alu instid0(VALU_DEP_1) | instskip(NEXT) | instid1(VALU_DEP_1)
	v_add_nc_u32_e32 v5, v5, v7
	v_ashrrev_i32_e32 v7, 1, v5
	s_delay_alu instid0(VALU_DEP_1) | instskip(NEXT) | instid1(VALU_DEP_1)
	v_ashrrev_i32_e32 v8, 31, v7
	v_lshlrev_b64 v[12:13], 2, v[7:8]
	s_delay_alu instid0(VALU_DEP_1) | instskip(NEXT) | instid1(VALU_DEP_2)
	v_add_co_u32 v12, vcc_lo, s8, v12
	v_add_co_ci_u32_e32 v13, vcc_lo, s9, v13, vcc_lo
	global_load_b32 v5, v[12:13], off
	s_waitcnt vmcnt(0)
	v_subrev_nc_u32_e32 v5, s20, v5
	s_delay_alu instid0(VALU_DEP_1) | instskip(SKIP_2) | instid1(VALU_DEP_1)
	v_cmp_gt_i32_e32 vcc_lo, v5, v1
	v_cndmask_b32_e32 v6, v7, v6, vcc_lo
	v_cndmask_b32_e32 v4, v4, v7, vcc_lo
	v_add_nc_u32_e32 v5, -1, v4
	s_delay_alu instid0(VALU_DEP_3) | instskip(NEXT) | instid1(VALU_DEP_2)
	v_cmp_ge_i32_e32 vcc_lo, v6, v4
	v_cmp_eq_u32_e64 s0, v6, v5
	s_delay_alu instid0(VALU_DEP_1) | instskip(NEXT) | instid1(SALU_CYCLE_1)
	s_or_b32 s0, vcc_lo, s0
	s_and_b32 s0, exec_lo, s0
	s_delay_alu instid0(SALU_CYCLE_1) | instskip(NEXT) | instid1(SALU_CYCLE_1)
	s_or_b32 s10, s0, s10
	s_and_not1_b32 exec_lo, exec_lo, s10
	s_cbranch_execnz .LBB83_120
; %bb.121:
	s_or_b32 exec_lo, exec_lo, s10
.LBB83_122:
	v_ashrrev_i32_e32 v5, 31, v4
	s_mov_b32 s10, exec_lo
	s_delay_alu instid0(VALU_DEP_1) | instskip(NEXT) | instid1(VALU_DEP_1)
	v_lshlrev_b64 v[7:8], 2, v[4:5]
	v_add_co_u32 v7, vcc_lo, s8, v7
	s_delay_alu instid0(VALU_DEP_2) | instskip(SKIP_4) | instid1(VALU_DEP_1)
	v_add_co_ci_u32_e32 v8, vcc_lo, s9, v8, vcc_lo
	global_load_b32 v5, v[7:8], off
	global_load_b32 v7, v[2:3], off offset:2048
	s_waitcnt vmcnt(1)
	v_subrev_nc_u32_e32 v5, s20, v5
	v_cmp_gt_i32_e32 vcc_lo, v5, v1
	v_cndmask_b32_e32 v5, v4, v6, vcc_lo
	s_waitcnt vmcnt(0)
	v_subrev_nc_u32_e32 v4, s20, v7
	s_delay_alu instid0(VALU_DEP_1)
	v_cmpx_ne_u32_e64 v4, v5
	s_cbranch_execz .LBB83_132
; %bb.123:
	s_load_b32 s0, s[6:7], 0x0
	s_waitcnt lgkmcnt(0)
	s_sub_i32 s0, s0, s20
	s_delay_alu instid0(SALU_CYCLE_1)
	v_cmp_gt_i32_e32 vcc_lo, s0, v1
	s_and_b32 exec_lo, exec_lo, vcc_lo
	s_cbranch_execz .LBB83_132
; %bb.124:
	v_ashrrev_i32_e32 v6, 31, v5
	ds_load_b64 v[7:8], v10 offset:4096
	v_cmp_le_i32_e64 s0, s19, v4
	v_lshlrev_b64 v[5:6], 3, v[5:6]
	s_delay_alu instid0(VALU_DEP_1) | instskip(NEXT) | instid1(VALU_DEP_2)
	v_add_co_u32 v5, vcc_lo, s14, v5
	v_add_co_ci_u32_e32 v6, vcc_lo, s15, v6, vcc_lo
	v_cmp_gt_i32_e32 vcc_lo, s12, v4
	global_load_b64 v[5:6], v[5:6], off
	s_or_b32 s0, vcc_lo, s0
	s_waitcnt vmcnt(0) lgkmcnt(0)
	v_mul_f32_e64 v12, v6, -v8
	s_delay_alu instid0(VALU_DEP_1) | instskip(NEXT) | instid1(VALU_DEP_1)
	v_dual_mul_f32 v1, v6, v7 :: v_dual_fmac_f32 v12, v7, v5
	v_fmac_f32_e32 v1, v8, v5
	s_and_saveexec_b32 s11, s0
	s_delay_alu instid0(SALU_CYCLE_1)
	s_xor_b32 s0, exec_lo, s11
	s_cbranch_execz .LBB83_130
; %bb.125:
	v_ashrrev_i32_e32 v5, 31, v4
	s_mov_b32 s11, 0
	s_delay_alu instid0(VALU_DEP_1) | instskip(NEXT) | instid1(VALU_DEP_1)
	v_lshlrev_b64 v[5:6], 3, v[4:5]
	v_add_co_u32 v5, vcc_lo, s16, v5
	s_delay_alu instid0(VALU_DEP_2)
	v_add_co_ci_u32_e32 v6, vcc_lo, s17, v6, vcc_lo
	global_load_b32 v8, v[5:6], off
.LBB83_126:                             ; =>This Inner Loop Header: Depth=1
	s_waitcnt vmcnt(0)
	v_add_f32_e32 v7, v8, v12
	global_atomic_cmpswap_b32 v7, v[5:6], v[7:8], off glc
	s_waitcnt vmcnt(0)
	v_cmp_eq_u32_e32 vcc_lo, v7, v8
	v_mov_b32_e32 v8, v7
	s_or_b32 s11, vcc_lo, s11
	s_delay_alu instid0(SALU_CYCLE_1)
	s_and_not1_b32 exec_lo, exec_lo, s11
	s_cbranch_execnz .LBB83_126
; %bb.127:
	s_or_b32 exec_lo, exec_lo, s11
	global_load_b32 v8, v[5:6], off offset:4
	s_mov_b32 s11, 0
.LBB83_128:                             ; =>This Inner Loop Header: Depth=1
	s_waitcnt vmcnt(0)
	v_add_f32_e32 v7, v8, v1
	global_atomic_cmpswap_b32 v7, v[5:6], v[7:8], off offset:4 glc
	s_waitcnt vmcnt(0)
	v_cmp_eq_u32_e32 vcc_lo, v7, v8
	v_mov_b32_e32 v8, v7
	s_or_b32 s11, vcc_lo, s11
	s_delay_alu instid0(SALU_CYCLE_1)
	s_and_not1_b32 exec_lo, exec_lo, s11
	s_cbranch_execnz .LBB83_128
; %bb.129:
	s_or_b32 exec_lo, exec_lo, s11
                                        ; implicit-def: $vgpr12
                                        ; implicit-def: $vgpr1
.LBB83_130:
	s_and_not1_saveexec_b32 s0, s0
	s_cbranch_execz .LBB83_132
; %bb.131:
	v_subrev_nc_u32_e32 v5, s12, v4
	s_delay_alu instid0(VALU_DEP_1)
	v_lshl_add_u32 v5, v5, 3, 0x2000
	ds_add_f32 v5, v12
	ds_add_f32 v5, v1 offset:4
.LBB83_132:
	s_or_b32 exec_lo, exec_lo, s10
	v_ashrrev_i32_e32 v5, 31, v4
	ds_load_b64 v[6:7], v10 offset:4096
	v_mov_b32_e32 v1, s18
	v_lshlrev_b64 v[4:5], 3, v[4:5]
	s_delay_alu instid0(VALU_DEP_1) | instskip(NEXT) | instid1(VALU_DEP_2)
	v_add_co_u32 v4, vcc_lo, s14, v4
	v_add_co_ci_u32_e32 v5, vcc_lo, s15, v5, vcc_lo
	v_cmp_ne_u32_e32 vcc_lo, 1, v11
	global_load_b64 v[4:5], v[4:5], off
	s_and_b32 vcc_lo, exec_lo, vcc_lo
	s_waitcnt vmcnt(0) lgkmcnt(0)
	v_mul_f32_e64 v12, v5, -v7
	s_delay_alu instid0(VALU_DEP_1) | instskip(NEXT) | instid1(VALU_DEP_1)
	v_dual_mul_f32 v13, v5, v6 :: v_dual_fmac_f32 v12, v6, v4
	v_dual_fmac_f32 v13, v7, v4 :: v_dual_mov_b32 v4, s23
	ds_store_b64 v10, v[12:13] offset:4096
	s_cbranch_vccnz .LBB83_136
; %bb.133:
	v_dual_mov_b32 v1, s18 :: v_dual_mov_b32 v4, s23
	s_mov_b32 s10, 0
	.p2align	6
.LBB83_134:                             ; =>This Inner Loop Header: Depth=1
	s_delay_alu instid0(VALU_DEP_1) | instskip(NEXT) | instid1(VALU_DEP_1)
	v_add_nc_u32_e32 v5, v4, v1
	v_lshrrev_b32_e32 v6, 31, v5
	s_delay_alu instid0(VALU_DEP_1) | instskip(NEXT) | instid1(VALU_DEP_1)
	v_add_nc_u32_e32 v5, v5, v6
	v_ashrrev_i32_e32 v5, 1, v5
	s_delay_alu instid0(VALU_DEP_1) | instskip(NEXT) | instid1(VALU_DEP_1)
	v_ashrrev_i32_e32 v6, 31, v5
	v_lshlrev_b64 v[6:7], 2, v[5:6]
	s_delay_alu instid0(VALU_DEP_1) | instskip(NEXT) | instid1(VALU_DEP_2)
	v_add_co_u32 v6, vcc_lo, s8, v6
	v_add_co_ci_u32_e32 v7, vcc_lo, s9, v7, vcc_lo
	global_load_b32 v6, v[6:7], off
	s_waitcnt vmcnt(0)
	v_subrev_nc_u32_e32 v6, s20, v6
	s_delay_alu instid0(VALU_DEP_1) | instskip(SKIP_2) | instid1(VALU_DEP_2)
	v_cmp_gt_i32_e32 vcc_lo, v6, v9
	v_cndmask_b32_e32 v4, v4, v5, vcc_lo
	v_cndmask_b32_e32 v1, v5, v1, vcc_lo
	v_add_nc_u32_e32 v5, -1, v4
	s_delay_alu instid0(VALU_DEP_2) | instskip(NEXT) | instid1(VALU_DEP_2)
	v_cmp_ge_i32_e32 vcc_lo, v1, v4
	v_cmp_eq_u32_e64 s0, v1, v5
	s_delay_alu instid0(VALU_DEP_1) | instskip(NEXT) | instid1(SALU_CYCLE_1)
	s_or_b32 s0, vcc_lo, s0
	s_and_b32 s0, exec_lo, s0
	s_delay_alu instid0(SALU_CYCLE_1) | instskip(NEXT) | instid1(SALU_CYCLE_1)
	s_or_b32 s10, s0, s10
	s_and_not1_b32 exec_lo, exec_lo, s10
	s_cbranch_execnz .LBB83_134
; %bb.135:
	s_or_b32 exec_lo, exec_lo, s10
.LBB83_136:
	v_ashrrev_i32_e32 v5, 31, v4
	s_mov_b32 s10, exec_lo
	s_delay_alu instid0(VALU_DEP_1) | instskip(NEXT) | instid1(VALU_DEP_1)
	v_lshlrev_b64 v[5:6], 2, v[4:5]
	v_add_co_u32 v5, vcc_lo, s8, v5
	s_delay_alu instid0(VALU_DEP_2) | instskip(SKIP_4) | instid1(VALU_DEP_1)
	v_add_co_ci_u32_e32 v6, vcc_lo, s9, v6, vcc_lo
	global_load_b32 v5, v[5:6], off
	global_load_b32 v3, v[2:3], off offset:3072
	s_waitcnt vmcnt(1)
	v_subrev_nc_u32_e32 v2, s20, v5
	v_cmp_gt_i32_e32 vcc_lo, v2, v9
	v_cndmask_b32_e32 v2, v4, v1, vcc_lo
	s_waitcnt vmcnt(0)
	v_subrev_nc_u32_e32 v1, s20, v3
	s_delay_alu instid0(VALU_DEP_1)
	v_cmpx_ne_u32_e64 v1, v2
	s_cbranch_execz .LBB83_146
; %bb.137:
	s_load_b32 s0, s[6:7], 0x0
	s_waitcnt lgkmcnt(0)
	s_sub_i32 s0, s0, s20
	s_delay_alu instid0(SALU_CYCLE_1)
	v_cmp_gt_i32_e32 vcc_lo, s0, v9
	s_and_b32 exec_lo, exec_lo, vcc_lo
	s_cbranch_execz .LBB83_146
; %bb.138:
	v_ashrrev_i32_e32 v3, 31, v2
	ds_load_b64 v[4:5], v10 offset:6144
	v_cmp_le_i32_e64 s0, s19, v1
	v_lshlrev_b64 v[2:3], 3, v[2:3]
	s_delay_alu instid0(VALU_DEP_1) | instskip(NEXT) | instid1(VALU_DEP_2)
	v_add_co_u32 v2, vcc_lo, s14, v2
	v_add_co_ci_u32_e32 v3, vcc_lo, s15, v3, vcc_lo
	v_cmp_gt_i32_e32 vcc_lo, s12, v1
	global_load_b64 v[2:3], v[2:3], off
	s_or_b32 s0, vcc_lo, s0
	s_waitcnt vmcnt(0) lgkmcnt(0)
	v_mul_f32_e64 v7, v3, -v5
	s_delay_alu instid0(VALU_DEP_1) | instskip(NEXT) | instid1(VALU_DEP_1)
	v_dual_mul_f32 v6, v3, v4 :: v_dual_fmac_f32 v7, v4, v2
	v_fmac_f32_e32 v6, v5, v2
	s_and_saveexec_b32 s6, s0
	s_delay_alu instid0(SALU_CYCLE_1)
	s_xor_b32 s0, exec_lo, s6
	s_cbranch_execz .LBB83_144
; %bb.139:
	v_ashrrev_i32_e32 v2, 31, v1
	s_mov_b32 s6, 0
	s_delay_alu instid0(VALU_DEP_1) | instskip(NEXT) | instid1(VALU_DEP_1)
	v_lshlrev_b64 v[2:3], 3, v[1:2]
	v_add_co_u32 v2, vcc_lo, s16, v2
	s_delay_alu instid0(VALU_DEP_2)
	v_add_co_ci_u32_e32 v3, vcc_lo, s17, v3, vcc_lo
	global_load_b32 v5, v[2:3], off
.LBB83_140:                             ; =>This Inner Loop Header: Depth=1
	s_waitcnt vmcnt(0)
	v_add_f32_e32 v4, v5, v7
	global_atomic_cmpswap_b32 v4, v[2:3], v[4:5], off glc
	s_waitcnt vmcnt(0)
	v_cmp_eq_u32_e32 vcc_lo, v4, v5
	v_mov_b32_e32 v5, v4
	s_or_b32 s6, vcc_lo, s6
	s_delay_alu instid0(SALU_CYCLE_1)
	s_and_not1_b32 exec_lo, exec_lo, s6
	s_cbranch_execnz .LBB83_140
; %bb.141:
	s_or_b32 exec_lo, exec_lo, s6
	global_load_b32 v5, v[2:3], off offset:4
	s_mov_b32 s6, 0
.LBB83_142:                             ; =>This Inner Loop Header: Depth=1
	s_waitcnt vmcnt(0)
	v_add_f32_e32 v4, v5, v6
	global_atomic_cmpswap_b32 v4, v[2:3], v[4:5], off offset:4 glc
	s_waitcnt vmcnt(0)
	v_cmp_eq_u32_e32 vcc_lo, v4, v5
	v_mov_b32_e32 v5, v4
	s_or_b32 s6, vcc_lo, s6
	s_delay_alu instid0(SALU_CYCLE_1)
	s_and_not1_b32 exec_lo, exec_lo, s6
	s_cbranch_execnz .LBB83_142
; %bb.143:
	s_or_b32 exec_lo, exec_lo, s6
                                        ; implicit-def: $vgpr7
                                        ; implicit-def: $vgpr6
.LBB83_144:
	s_and_not1_saveexec_b32 s0, s0
	s_cbranch_execz .LBB83_146
; %bb.145:
	v_subrev_nc_u32_e32 v2, s12, v1
	s_delay_alu instid0(VALU_DEP_1)
	v_lshl_add_u32 v2, v2, 3, 0x2000
	ds_add_f32 v2, v7
	ds_add_f32 v2, v6 offset:4
.LBB83_146:
	s_or_b32 exec_lo, exec_lo, s10
	v_ashrrev_i32_e32 v2, 31, v1
	ds_load_b64 v[3:4], v10 offset:6144
	v_lshlrev_b64 v[1:2], 3, v[1:2]
	s_delay_alu instid0(VALU_DEP_1) | instskip(NEXT) | instid1(VALU_DEP_2)
	v_add_co_u32 v1, vcc_lo, s14, v1
	v_add_co_ci_u32_e32 v2, vcc_lo, s15, v2, vcc_lo
	global_load_b64 v[1:2], v[1:2], off
	s_waitcnt vmcnt(0) lgkmcnt(0)
	v_mul_f32_e64 v5, v2, -v4
	s_delay_alu instid0(VALU_DEP_1) | instskip(NEXT) | instid1(VALU_DEP_1)
	v_dual_mul_f32 v6, v2, v3 :: v_dual_fmac_f32 v5, v3, v1
	v_fmac_f32_e32 v6, v4, v1
	ds_store_b64 v10, v[5:6] offset:6144
.LBB83_147:
	s_or_b32 exec_lo, exec_lo, s13
	s_min_i32 s7, s19, s5
	s_mov_b32 s5, exec_lo
	s_sub_i32 s0, s7, s21
	s_waitcnt lgkmcnt(0)
	s_barrier
	buffer_gl0_inv
	v_cmpx_gt_i32_e64 s0, v0
	s_cbranch_execz .LBB83_154
; %bb.148:
	v_mov_b32_e32 v7, v0
	s_mov_b32 s6, 0
	s_set_inst_prefetch_distance 0x1
	.p2align	6
.LBB83_149:                             ; =>This Loop Header: Depth=1
                                        ;     Child Loop BB83_150 Depth 2
                                        ;     Child Loop BB83_152 Depth 2
	s_delay_alu instid0(VALU_DEP_1) | instskip(SKIP_2) | instid1(VALU_DEP_2)
	v_add_nc_u32_e32 v1, s12, v7
	v_lshl_add_u32 v3, v7, 3, 0x2000
	s_mov_b32 s10, 0
	v_ashrrev_i32_e32 v2, 31, v1
	ds_load_2addr_b32 v[3:4], v3 offset1:1
	v_lshlrev_b64 v[1:2], 3, v[1:2]
	s_delay_alu instid0(VALU_DEP_1) | instskip(NEXT) | instid1(VALU_DEP_2)
	v_add_co_u32 v1, vcc_lo, s16, v1
	v_add_co_ci_u32_e32 v2, vcc_lo, s17, v2, vcc_lo
	global_load_b32 v6, v[1:2], off
.LBB83_150:                             ;   Parent Loop BB83_149 Depth=1
                                        ; =>  This Inner Loop Header: Depth=2
	s_waitcnt vmcnt(0) lgkmcnt(0)
	v_add_f32_e32 v5, v6, v3
	global_atomic_cmpswap_b32 v5, v[1:2], v[5:6], off glc
	s_waitcnt vmcnt(0)
	v_cmp_eq_u32_e32 vcc_lo, v5, v6
	v_mov_b32_e32 v6, v5
	s_or_b32 s10, vcc_lo, s10
	s_delay_alu instid0(SALU_CYCLE_1)
	s_and_not1_b32 exec_lo, exec_lo, s10
	s_cbranch_execnz .LBB83_150
; %bb.151:                              ;   in Loop: Header=BB83_149 Depth=1
	s_or_b32 exec_lo, exec_lo, s10
	global_load_b32 v6, v[1:2], off offset:4
	s_mov_b32 s10, 0
.LBB83_152:                             ;   Parent Loop BB83_149 Depth=1
                                        ; =>  This Inner Loop Header: Depth=2
	s_waitcnt vmcnt(0)
	v_add_f32_e32 v5, v6, v4
	global_atomic_cmpswap_b32 v3, v[1:2], v[5:6], off offset:4 glc
	s_waitcnt vmcnt(0)
	v_cmp_eq_u32_e32 vcc_lo, v3, v6
	v_mov_b32_e32 v6, v3
	s_or_b32 s10, vcc_lo, s10
	s_delay_alu instid0(SALU_CYCLE_1)
	s_and_not1_b32 exec_lo, exec_lo, s10
	s_cbranch_execnz .LBB83_152
; %bb.153:                              ;   in Loop: Header=BB83_149 Depth=1
	s_or_b32 exec_lo, exec_lo, s10
	v_add_nc_u32_e32 v7, 0x100, v7
	s_delay_alu instid0(VALU_DEP_1) | instskip(SKIP_1) | instid1(SALU_CYCLE_1)
	v_cmp_le_i32_e32 vcc_lo, s0, v7
	s_or_b32 s6, vcc_lo, s6
	s_and_not1_b32 exec_lo, exec_lo, s6
	s_cbranch_execnz .LBB83_149
.LBB83_154:
	s_set_inst_prefetch_distance 0x2
	s_or_b32 exec_lo, exec_lo, s5
	s_mul_i32 s5, s4, s21
	s_add_i32 s6, s4, 1
	s_sub_i32 s5, s1, s5
	v_add_nc_u32_e32 v1, s18, v0
	s_sub_i32 s10, s5, s21
	s_cmp_ge_u32 s5, s21
	s_cselect_b32 s4, s6, s4
	s_cselect_b32 s5, s10, s5
	s_add_i32 s6, s4, 1
	s_cmp_ge_u32 s5, s21
	s_barrier
	s_cselect_b32 s4, s6, s4
	s_mov_b32 s6, -1
	s_add_i32 s4, s4, -1
	buffer_gl0_inv
	s_ashr_i32 s5, s4, 1
	s_delay_alu instid0(SALU_CYCLE_1) | instskip(NEXT) | instid1(SALU_CYCLE_1)
	s_or_b32 s4, s5, s4
	s_ashr_i32 s5, s4, 2
	s_delay_alu instid0(SALU_CYCLE_1) | instskip(NEXT) | instid1(SALU_CYCLE_1)
	s_or_b32 s4, s5, s4
	;; [unrolled: 3-line block ×5, first 2 shown]
	s_add_i32 s4, s4, 1
	s_delay_alu instid0(SALU_CYCLE_1) | instskip(NEXT) | instid1(SALU_CYCLE_1)
	s_ashr_i32 s5, s4, 1
	s_cmp_gt_i32 s5, 1
	s_cbranch_scc1 .LBB83_167
; %bb.155:
	s_mov_b32 s6, exec_lo
	v_cmpx_gt_i32_e64 s19, v1
	s_cbranch_execz .LBB83_166
; %bb.156:
	s_sub_i32 s7, s7, s19
	v_mov_b32_e32 v2, v1
	s_lshl_b32 s11, s22, 3
	s_lshl_b32 s7, s7, 3
	s_mov_b32 s10, 0
	s_addk_i32 s7, 0x2000
	s_sub_i32 s11, 0, s11
.LBB83_157:                             ; =>This Loop Header: Depth=1
                                        ;     Child Loop BB83_159 Depth 2
                                        ;     Child Loop BB83_162 Depth 2
	;; [unrolled: 1-line block ×3, first 2 shown]
	v_ashrrev_i32_e32 v3, 31, v2
	v_mov_b32_e32 v9, 0
	v_mov_b32_e32 v7, 0
	s_mov_b32 s12, exec_lo
	s_delay_alu instid0(VALU_DEP_3) | instskip(NEXT) | instid1(VALU_DEP_1)
	v_lshlrev_b64 v[4:5], 2, v[2:3]
	v_add_co_u32 v4, vcc_lo, s8, v4
	s_delay_alu instid0(VALU_DEP_2)
	v_add_co_ci_u32_e32 v5, vcc_lo, s9, v5, vcc_lo
	global_load_b64 v[4:5], v[4:5], off
	s_waitcnt vmcnt(0)
	v_cmpx_lt_i32_e64 v4, v5
	s_cbranch_execz .LBB83_161
; %bb.158:                              ;   in Loop: Header=BB83_157 Depth=1
	v_subrev_nc_u32_e32 v5, s22, v5
	v_subrev_nc_u32_e32 v6, s22, v4
	v_lshl_add_u32 v4, v4, 3, s11
	v_mov_b32_e32 v9, 0
	v_mov_b32_e32 v7, 0
	s_mov_b32 s13, 0
.LBB83_159:                             ;   Parent Loop BB83_157 Depth=1
                                        ; =>  This Inner Loop Header: Depth=2
	ds_load_b64 v[11:12], v4
	v_add_nc_u32_e32 v6, 1, v6
	s_waitcnt lgkmcnt(0)
	v_dual_add_f32 v7, v7, v11 :: v_dual_add_nc_u32 v4, 8, v4
	s_delay_alu instid0(VALU_DEP_2) | instskip(SKIP_2) | instid1(SALU_CYCLE_1)
	v_cmp_ge_i32_e32 vcc_lo, v6, v5
	v_add_f32_e32 v9, v9, v12
	s_or_b32 s13, vcc_lo, s13
	s_and_not1_b32 exec_lo, exec_lo, s13
	s_cbranch_execnz .LBB83_159
; %bb.160:                              ;   in Loop: Header=BB83_157 Depth=1
	s_or_b32 exec_lo, exec_lo, s13
.LBB83_161:                             ;   in Loop: Header=BB83_157 Depth=1
	s_delay_alu instid0(SALU_CYCLE_1)
	s_or_b32 exec_lo, exec_lo, s12
	v_lshlrev_b64 v[3:4], 3, v[2:3]
	v_lshl_add_u32 v5, v2, 3, s7
	s_mov_b32 s12, 0
	ds_load_2addr_b32 v[5:6], v5 offset1:1
	v_add_co_u32 v3, vcc_lo, s16, v3
	v_add_co_ci_u32_e32 v4, vcc_lo, s17, v4, vcc_lo
	global_load_b32 v8, v[3:4], off
	s_waitcnt lgkmcnt(0)
	v_add_f32_e32 v5, v7, v5
.LBB83_162:                             ;   Parent Loop BB83_157 Depth=1
                                        ; =>  This Inner Loop Header: Depth=2
	s_waitcnt vmcnt(0)
	s_delay_alu instid0(VALU_DEP_1)
	v_add_f32_e32 v7, v8, v5
	global_atomic_cmpswap_b32 v7, v[3:4], v[7:8], off glc
	s_waitcnt vmcnt(0)
	v_cmp_eq_u32_e32 vcc_lo, v7, v8
	v_mov_b32_e32 v8, v7
	s_or_b32 s12, vcc_lo, s12
	s_delay_alu instid0(SALU_CYCLE_1)
	s_and_not1_b32 exec_lo, exec_lo, s12
	s_cbranch_execnz .LBB83_162
; %bb.163:                              ;   in Loop: Header=BB83_157 Depth=1
	s_or_b32 exec_lo, exec_lo, s12
	global_load_b32 v7, v[3:4], off offset:4
	v_add_f32_e32 v5, v9, v6
	s_mov_b32 s12, 0
.LBB83_164:                             ;   Parent Loop BB83_157 Depth=1
                                        ; =>  This Inner Loop Header: Depth=2
	s_waitcnt vmcnt(0)
	s_delay_alu instid0(VALU_DEP_1)
	v_add_f32_e32 v6, v7, v5
	global_atomic_cmpswap_b32 v6, v[3:4], v[6:7], off offset:4 glc
	s_waitcnt vmcnt(0)
	v_cmp_eq_u32_e32 vcc_lo, v6, v7
	v_mov_b32_e32 v7, v6
	s_or_b32 s12, vcc_lo, s12
	s_delay_alu instid0(SALU_CYCLE_1)
	s_and_not1_b32 exec_lo, exec_lo, s12
	s_cbranch_execnz .LBB83_164
; %bb.165:                              ;   in Loop: Header=BB83_157 Depth=1
	s_or_b32 exec_lo, exec_lo, s12
	v_add_nc_u32_e32 v2, s1, v2
	s_delay_alu instid0(VALU_DEP_1) | instskip(SKIP_1) | instid1(SALU_CYCLE_1)
	v_cmp_le_i32_e32 vcc_lo, s19, v2
	s_or_b32 s10, vcc_lo, s10
	s_and_not1_b32 exec_lo, exec_lo, s10
	s_cbranch_execnz .LBB83_157
.LBB83_166:
	s_or_b32 exec_lo, exec_lo, s6
	s_mov_b32 s6, 0
.LBB83_167:
	s_delay_alu instid0(SALU_CYCLE_1)
	s_and_not1_b32 vcc_lo, exec_lo, s6
	s_cbranch_vccnz .LBB83_194
; %bb.168:
	v_cvt_f32_u32_e32 v2, s5
	s_sub_i32 s1, 0, s5
	s_delay_alu instid0(VALU_DEP_1) | instskip(SKIP_2) | instid1(VALU_DEP_1)
	v_rcp_iflag_f32_e32 v2, v2
	s_waitcnt_depctr 0xfff
	v_mul_f32_e32 v2, 0x4f7ffffe, v2
	v_cvt_u32_f32_e32 v2, v2
	s_delay_alu instid0(VALU_DEP_1) | instskip(SKIP_1) | instid1(VALU_DEP_1)
	v_mul_lo_u32 v3, s1, v2
	s_mov_b32 s1, exec_lo
	v_mul_hi_u32 v3, v2, v3
	s_delay_alu instid0(VALU_DEP_1) | instskip(NEXT) | instid1(VALU_DEP_1)
	v_add_nc_u32_e32 v2, v2, v3
	v_mul_hi_u32 v2, v0, v2
	s_delay_alu instid0(VALU_DEP_1) | instskip(SKIP_1) | instid1(VALU_DEP_2)
	v_mul_lo_u32 v3, v2, s5
	v_add_nc_u32_e32 v4, 1, v2
	v_sub_nc_u32_e32 v3, v0, v3
	s_delay_alu instid0(VALU_DEP_1) | instskip(SKIP_1) | instid1(VALU_DEP_2)
	v_subrev_nc_u32_e32 v5, s5, v3
	v_cmp_le_u32_e32 vcc_lo, s5, v3
	v_dual_cndmask_b32 v2, v2, v4 :: v_dual_cndmask_b32 v3, v3, v5
	s_delay_alu instid0(VALU_DEP_1) | instskip(NEXT) | instid1(VALU_DEP_2)
	v_add_nc_u32_e32 v4, 1, v2
	v_cmp_le_u32_e32 vcc_lo, s5, v3
	s_delay_alu instid0(VALU_DEP_2) | instskip(NEXT) | instid1(VALU_DEP_1)
	v_cndmask_b32_e32 v2, v2, v4, vcc_lo
	v_dual_mov_b32 v4, 0 :: v_dual_lshlrev_b32 v3, 2, v2
	global_load_b64 v[5:6], v3, s[2:3]
	v_mov_b32_e32 v3, 0
	v_cmpx_gt_i32_e64 s21, v2
	s_cbranch_execz .LBB83_182
; %bb.169:
	s_abs_i32 s2, s5
	s_waitcnt vmcnt(0)
	v_subrev_nc_u32_e32 v7, s22, v6
	v_cvt_f32_u32_e32 v2, s2
	s_sub_i32 s3, 0, s2
	s_delay_alu instid0(VALU_DEP_1) | instskip(SKIP_2) | instid1(VALU_DEP_1)
	v_rcp_iflag_f32_e32 v2, v2
	s_waitcnt_depctr 0xfff
	v_mul_f32_e32 v2, 0x4f7ffffe, v2
	v_cvt_u32_f32_e32 v3, v2
	v_subrev_nc_u32_e32 v2, s22, v5
	s_delay_alu instid0(VALU_DEP_2) | instskip(NEXT) | instid1(VALU_DEP_2)
	v_mul_lo_u32 v4, s3, v3
	v_sub_nc_u32_e32 v6, v7, v2
	s_ashr_i32 s3, s5, 31
	s_delay_alu instid0(VALU_DEP_1) | instskip(NEXT) | instid1(VALU_DEP_3)
	v_sub_nc_u32_e32 v8, 0, v6
	v_mul_hi_u32 v4, v3, v4
	s_delay_alu instid0(VALU_DEP_2) | instskip(SKIP_1) | instid1(VALU_DEP_3)
	v_max_i32_e32 v8, v6, v8
	v_ashrrev_i32_e32 v6, 31, v6
	v_add_nc_u32_e32 v9, v3, v4
	s_delay_alu instid0(VALU_DEP_2) | instskip(NEXT) | instid1(VALU_DEP_2)
	v_xor_b32_e32 v6, s3, v6
	v_mad_u64_u32 v[3:4], null, v8, v9, 0
	s_delay_alu instid0(VALU_DEP_1) | instskip(NEXT) | instid1(VALU_DEP_1)
	v_mul_lo_u32 v3, v4, s2
	v_sub_nc_u32_e32 v3, v8, v3
	s_delay_alu instid0(VALU_DEP_1) | instskip(SKIP_1) | instid1(VALU_DEP_2)
	v_subrev_nc_u32_e32 v9, s2, v3
	v_cmp_le_u32_e32 vcc_lo, s2, v3
	v_dual_cndmask_b32 v3, v3, v9 :: v_dual_add_nc_u32 v8, 1, v4
	s_delay_alu instid0(VALU_DEP_1) | instskip(NEXT) | instid1(VALU_DEP_2)
	v_cndmask_b32_e32 v4, v4, v8, vcc_lo
	v_cmp_le_u32_e32 vcc_lo, s2, v3
	s_delay_alu instid0(VALU_DEP_2) | instskip(SKIP_1) | instid1(VALU_DEP_1)
	v_add_nc_u32_e32 v8, 1, v4
	s_add_i32 s2, s5, -1
	v_dual_cndmask_b32 v3, v4, v8 :: v_dual_mov_b32 v4, 0
	v_and_b32_e32 v8, s2, v0
	s_mov_b32 s2, exec_lo
	s_delay_alu instid0(VALU_DEP_2) | instskip(NEXT) | instid1(VALU_DEP_1)
	v_xor_b32_e32 v3, v3, v6
	v_sub_nc_u32_e32 v9, v3, v6
	v_mov_b32_e32 v3, 0
	s_delay_alu instid0(VALU_DEP_2)
	v_cmpx_lt_i32_e32 0, v9
	s_cbranch_execz .LBB83_179
; %bb.170:
	v_dual_mov_b32 v3, 0 :: v_dual_mov_b32 v6, 0
	v_mov_b32_e32 v4, 0
	s_mov_b32 s3, exec_lo
	v_cmpx_lt_u32_e32 7, v9
	s_cbranch_execz .LBB83_174
; %bb.171:
	v_dual_mov_b32 v4, 0 :: v_dual_add_nc_u32 v3, v5, v8
	v_and_b32_e32 v6, 0x7ffffff8, v9
	s_lshl_b32 s6, s5, 6
	s_lshl_b32 s8, s5, 3
	s_delay_alu instid0(VALU_DEP_2) | instskip(SKIP_2) | instid1(VALU_DEP_1)
	v_subrev_nc_u32_e32 v3, s22, v3
	s_mov_b32 s7, 0
	s_mov_b32 s9, 0
	v_lshlrev_b32_e32 v11, 3, v3
	v_mov_b32_e32 v3, v4
	s_set_inst_prefetch_distance 0x1
	.p2align	6
.LBB83_172:                             ; =>This Inner Loop Header: Depth=1
	ds_load_b64 v[12:13], v11
	v_add_nc_u32_e32 v14, s8, v11
	s_add_i32 s9, s9, 8
	s_delay_alu instid0(SALU_CYCLE_1) | instskip(NEXT) | instid1(VALU_DEP_2)
	v_cmp_eq_u32_e32 vcc_lo, s9, v6
	v_add_nc_u32_e32 v16, s8, v14
	ds_load_b64 v[14:15], v14
	s_or_b32 s7, vcc_lo, s7
	v_add_nc_u32_e32 v18, s8, v16
	s_delay_alu instid0(VALU_DEP_1)
	v_add_nc_u32_e32 v20, s8, v18
	ds_load_b64 v[18:19], v18
	v_add_nc_u32_e32 v11, s6, v11
	s_waitcnt lgkmcnt(2)
	v_add_f32_e32 v13, v4, v13
	ds_load_b64 v[16:17], v16
	v_add_f32_e32 v3, v3, v12
	v_add_nc_u32_e32 v12, s8, v20
	ds_load_b64 v[20:21], v20
	s_waitcnt lgkmcnt(3)
	v_add_f32_e32 v14, v3, v14
	v_add_nc_u32_e32 v22, s8, v12
	ds_load_b64 v[3:4], v12
	v_add_f32_e32 v15, v13, v15
	ds_load_2addr_b32 v[12:13], v22 offset1:1
	s_waitcnt lgkmcnt(3)
	v_add_f32_e32 v14, v14, v16
	v_dual_add_f32 v17, v15, v17 :: v_dual_add_nc_u32 v16, s8, v22
	s_delay_alu instid0(VALU_DEP_2) | instskip(SKIP_4) | instid1(VALU_DEP_1)
	v_add_f32_e32 v18, v14, v18
	ds_load_2addr_b32 v[14:15], v16 offset1:1
	s_waitcnt lgkmcnt(3)
	v_dual_add_f32 v16, v17, v19 :: v_dual_add_f32 v17, v18, v20
	s_waitcnt lgkmcnt(2)
	v_dual_add_f32 v16, v16, v21 :: v_dual_add_f32 v3, v17, v3
	s_delay_alu instid0(VALU_DEP_1) | instskip(SKIP_1) | instid1(VALU_DEP_1)
	v_add_f32_e32 v4, v16, v4
	s_waitcnt lgkmcnt(1)
	v_dual_add_f32 v3, v3, v12 :: v_dual_add_f32 v4, v4, v13
	s_waitcnt lgkmcnt(0)
	s_delay_alu instid0(VALU_DEP_1)
	v_dual_add_f32 v3, v3, v14 :: v_dual_add_f32 v4, v4, v15
	s_and_not1_b32 exec_lo, exec_lo, s7
	s_cbranch_execnz .LBB83_172
; %bb.173:
	s_set_inst_prefetch_distance 0x2
	s_or_b32 exec_lo, exec_lo, s7
.LBB83_174:
	s_delay_alu instid0(SALU_CYCLE_1) | instskip(SKIP_3) | instid1(VALU_DEP_1)
	s_or_b32 exec_lo, exec_lo, s3
	v_and_b32_e32 v11, 7, v9
	s_mov_b32 s6, 0
	s_mov_b32 s3, exec_lo
	v_cmpx_ne_u32_e32 0, v11
	s_cbranch_execz .LBB83_178
; %bb.175:
	v_mul_lo_u32 v6, v6, s5
	s_lshl_b32 s7, s5, 3
	s_delay_alu instid0(VALU_DEP_1) | instskip(NEXT) | instid1(VALU_DEP_1)
	v_add3_u32 v5, v5, v8, v6
	v_subrev_nc_u32_e32 v5, s22, v5
	s_delay_alu instid0(VALU_DEP_1)
	v_lshlrev_b32_e32 v5, 3, v5
.LBB83_176:                             ; =>This Inner Loop Header: Depth=1
	ds_load_b64 v[12:13], v5
	v_add_nc_u32_e32 v11, -1, v11
	v_add_nc_u32_e32 v5, s7, v5
	s_waitcnt lgkmcnt(0)
	v_add_f32_e32 v4, v4, v13
	s_delay_alu instid0(VALU_DEP_3) | instskip(SKIP_2) | instid1(SALU_CYCLE_1)
	v_cmp_eq_u32_e32 vcc_lo, 0, v11
	v_add_f32_e32 v3, v3, v12
	s_or_b32 s6, vcc_lo, s6
	s_and_not1_b32 exec_lo, exec_lo, s6
	s_cbranch_execnz .LBB83_176
; %bb.177:
	s_or_b32 exec_lo, exec_lo, s6
.LBB83_178:
	s_delay_alu instid0(SALU_CYCLE_1)
	s_or_b32 exec_lo, exec_lo, s3
.LBB83_179:
	s_delay_alu instid0(SALU_CYCLE_1) | instskip(NEXT) | instid1(VALU_DEP_2)
	s_or_b32 exec_lo, exec_lo, s2
	v_mad_u64_u32 v[5:6], null, v9, s5, v[2:3]
	s_mov_b32 s2, exec_lo
	s_delay_alu instid0(VALU_DEP_1) | instskip(NEXT) | instid1(VALU_DEP_1)
	v_sub_nc_u32_e32 v2, v7, v5
	v_cmpx_lt_i32_e64 v8, v2
	s_cbranch_execz .LBB83_181
; %bb.180:
	v_add_lshl_u32 v2, v5, v8, 3
	ds_load_b64 v[5:6], v2
	s_waitcnt lgkmcnt(0)
	v_dual_add_f32 v3, v3, v5 :: v_dual_add_f32 v4, v4, v6
.LBB83_181:
	s_or_b32 exec_lo, exec_lo, s2
.LBB83_182:
	s_delay_alu instid0(SALU_CYCLE_1)
	s_or_b32 exec_lo, exec_lo, s1
	v_cmp_gt_i32_e32 vcc_lo, s21, v0
	s_waitcnt vmcnt(0)
	s_barrier
	buffer_gl0_inv
	ds_store_b64 v10, v[3:4]
	s_waitcnt lgkmcnt(0)
	s_barrier
	buffer_gl0_inv
	s_and_b32 exec_lo, exec_lo, vcc_lo
	s_cbranch_execz .LBB83_194
; %bb.183:
	v_mul_lo_u32 v2, s5, v0
	v_mov_b32_e32 v5, 0
	s_cmp_lt_u32 s5, 8
	s_cbranch_scc1 .LBB83_186
; %bb.184:
	s_delay_alu instid0(VALU_DEP_2)
	v_lshlrev_b32_e32 v3, 3, v2
	v_mov_b32_e32 v7, 0
	v_mov_b32_e32 v5, 0
	s_and_b32 s1, s5, 0x7ffffff8
	s_mov_b32 s2, 0
	.p2align	6
.LBB83_185:                             ; =>This Inner Loop Header: Depth=1
	ds_load_2addr_b64 v[8:11], v3 offset1:1
	ds_load_2addr_b64 v[12:15], v3 offset0:2 offset1:3
	ds_load_2addr_b64 v[16:19], v3 offset0:4 offset1:5
	s_add_i32 s2, s2, 8
	s_delay_alu instid0(SALU_CYCLE_1) | instskip(SKIP_2) | instid1(VALU_DEP_1)
	s_cmp_eq_u32 s1, s2
	s_waitcnt lgkmcnt(2)
	v_dual_add_f32 v4, v5, v8 :: v_dual_add_f32 v5, v7, v9
	v_dual_add_f32 v8, v4, v10 :: v_dual_add_f32 v9, v5, v11
	ds_load_2addr_b64 v[4:7], v3 offset0:6 offset1:7
	s_waitcnt lgkmcnt(2)
	v_dual_add_f32 v8, v8, v12 :: v_dual_add_nc_u32 v3, 64, v3
	s_delay_alu instid0(VALU_DEP_1) | instskip(SKIP_1) | instid1(VALU_DEP_1)
	v_dual_add_f32 v9, v9, v13 :: v_dual_add_f32 v8, v8, v14
	s_waitcnt lgkmcnt(1)
	v_dual_add_f32 v9, v9, v15 :: v_dual_add_f32 v8, v8, v16
	s_delay_alu instid0(VALU_DEP_1) | instskip(SKIP_1) | instid1(VALU_DEP_1)
	v_dual_add_f32 v9, v9, v17 :: v_dual_add_f32 v8, v8, v18
	s_waitcnt lgkmcnt(0)
	v_dual_add_f32 v9, v9, v19 :: v_dual_add_f32 v4, v8, v4
	s_delay_alu instid0(VALU_DEP_1) | instskip(NEXT) | instid1(VALU_DEP_1)
	v_dual_add_f32 v8, v9, v5 :: v_dual_add_f32 v5, v4, v6
	v_add_f32_e32 v7, v8, v7
	s_cbranch_scc0 .LBB83_185
	s_branch .LBB83_187
.LBB83_186:
	v_mov_b32_e32 v7, 0
	s_mov_b32 s1, 0
.LBB83_187:
	s_bfe_u32 s2, s4, 0x30001
	s_delay_alu instid0(SALU_CYCLE_1)
	s_cmp_eq_u32 s2, 0
	s_cbranch_scc1 .LBB83_190
; %bb.188:
	v_add_lshl_u32 v2, s1, v2, 3
.LBB83_189:                             ; =>This Inner Loop Header: Depth=1
	ds_load_b64 v[3:4], v2
	v_add_nc_u32_e32 v2, 8, v2
	s_add_i32 s2, s2, -1
	s_delay_alu instid0(SALU_CYCLE_1)
	s_cmp_lg_u32 s2, 0
	s_waitcnt lgkmcnt(0)
	v_add_f32_e32 v5, v5, v3
	v_add_f32_e32 v7, v7, v4
	s_cbranch_scc1 .LBB83_189
.LBB83_190:
	v_ashrrev_i32_e32 v2, 31, v1
	v_lshlrev_b32_e32 v0, 3, v0
	s_lshl_b32 s0, s0, 3
	s_delay_alu instid0(VALU_DEP_2) | instskip(NEXT) | instid1(VALU_DEP_2)
	v_lshlrev_b64 v[1:2], 3, v[1:2]
	v_add3_u32 v0, 0x2000, s0, v0
	s_mov_b32 s0, 0
	ds_load_2addr_b32 v[3:4], v0 offset1:1
	v_add_co_u32 v1, vcc_lo, s16, v1
	v_add_co_ci_u32_e32 v2, vcc_lo, s17, v2, vcc_lo
	global_load_b32 v6, v[1:2], off
	s_waitcnt lgkmcnt(0)
	v_add_f32_e32 v0, v5, v3
.LBB83_191:                             ; =>This Inner Loop Header: Depth=1
	s_waitcnt vmcnt(0)
	s_delay_alu instid0(VALU_DEP_1)
	v_add_f32_e32 v5, v6, v0
	global_atomic_cmpswap_b32 v3, v[1:2], v[5:6], off glc
	s_waitcnt vmcnt(0)
	v_cmp_eq_u32_e32 vcc_lo, v3, v6
	v_mov_b32_e32 v6, v3
	s_or_b32 s0, vcc_lo, s0
	s_delay_alu instid0(SALU_CYCLE_1)
	s_and_not1_b32 exec_lo, exec_lo, s0
	s_cbranch_execnz .LBB83_191
; %bb.192:
	s_or_b32 exec_lo, exec_lo, s0
	global_load_b32 v5, v[1:2], off offset:4
	v_add_f32_e32 v0, v7, v4
	s_mov_b32 s0, 0
.LBB83_193:                             ; =>This Inner Loop Header: Depth=1
	s_waitcnt vmcnt(0)
	s_delay_alu instid0(VALU_DEP_1)
	v_add_f32_e32 v4, v5, v0
	global_atomic_cmpswap_b32 v3, v[1:2], v[4:5], off offset:4 glc
	s_waitcnt vmcnt(0)
	v_cmp_eq_u32_e32 vcc_lo, v3, v5
	v_mov_b32_e32 v5, v3
	s_or_b32 s0, vcc_lo, s0
	s_delay_alu instid0(SALU_CYCLE_1)
	s_and_not1_b32 exec_lo, exec_lo, s0
	s_cbranch_execnz .LBB83_193
.LBB83_194:
	s_endpgm
	.section	.rodata,"a",@progbits
	.p2align	6, 0x0
	.amdhsa_kernel _ZN9rocsparseL27csrmvn_symm_adaptive_kernelIiif21rocsparse_complex_numIfES2_S2_EEvbT_S3_PKS3_NS_24const_host_device_scalarIT4_EES5_PKT0_PKT1_PKT2_S8_PT3_21rocsparse_index_base_b
		.amdhsa_group_segment_fixed_size 8192
		.amdhsa_private_segment_fixed_size 0
		.amdhsa_kernarg_size 344
		.amdhsa_user_sgpr_count 15
		.amdhsa_user_sgpr_dispatch_ptr 0
		.amdhsa_user_sgpr_queue_ptr 0
		.amdhsa_user_sgpr_kernarg_segment_ptr 1
		.amdhsa_user_sgpr_dispatch_id 0
		.amdhsa_user_sgpr_private_segment_size 0
		.amdhsa_wavefront_size32 1
		.amdhsa_uses_dynamic_stack 0
		.amdhsa_enable_private_segment 0
		.amdhsa_system_sgpr_workgroup_id_x 1
		.amdhsa_system_sgpr_workgroup_id_y 0
		.amdhsa_system_sgpr_workgroup_id_z 0
		.amdhsa_system_sgpr_workgroup_info 0
		.amdhsa_system_vgpr_workitem_id 0
		.amdhsa_next_free_vgpr 23
		.amdhsa_next_free_sgpr 31
		.amdhsa_reserve_vcc 1
		.amdhsa_float_round_mode_32 0
		.amdhsa_float_round_mode_16_64 0
		.amdhsa_float_denorm_mode_32 3
		.amdhsa_float_denorm_mode_16_64 3
		.amdhsa_dx10_clamp 1
		.amdhsa_ieee_mode 1
		.amdhsa_fp16_overflow 0
		.amdhsa_workgroup_processor_mode 1
		.amdhsa_memory_ordered 1
		.amdhsa_forward_progress 0
		.amdhsa_shared_vgpr_count 0
		.amdhsa_exception_fp_ieee_invalid_op 0
		.amdhsa_exception_fp_denorm_src 0
		.amdhsa_exception_fp_ieee_div_zero 0
		.amdhsa_exception_fp_ieee_overflow 0
		.amdhsa_exception_fp_ieee_underflow 0
		.amdhsa_exception_fp_ieee_inexact 0
		.amdhsa_exception_int_div_zero 0
	.end_amdhsa_kernel
	.section	.text._ZN9rocsparseL27csrmvn_symm_adaptive_kernelIiif21rocsparse_complex_numIfES2_S2_EEvbT_S3_PKS3_NS_24const_host_device_scalarIT4_EES5_PKT0_PKT1_PKT2_S8_PT3_21rocsparse_index_base_b,"axG",@progbits,_ZN9rocsparseL27csrmvn_symm_adaptive_kernelIiif21rocsparse_complex_numIfES2_S2_EEvbT_S3_PKS3_NS_24const_host_device_scalarIT4_EES5_PKT0_PKT1_PKT2_S8_PT3_21rocsparse_index_base_b,comdat
.Lfunc_end83:
	.size	_ZN9rocsparseL27csrmvn_symm_adaptive_kernelIiif21rocsparse_complex_numIfES2_S2_EEvbT_S3_PKS3_NS_24const_host_device_scalarIT4_EES5_PKT0_PKT1_PKT2_S8_PT3_21rocsparse_index_base_b, .Lfunc_end83-_ZN9rocsparseL27csrmvn_symm_adaptive_kernelIiif21rocsparse_complex_numIfES2_S2_EEvbT_S3_PKS3_NS_24const_host_device_scalarIT4_EES5_PKT0_PKT1_PKT2_S8_PT3_21rocsparse_index_base_b
                                        ; -- End function
	.section	.AMDGPU.csdata,"",@progbits
; Kernel info:
; codeLenInByte = 9112
; NumSgprs: 33
; NumVgprs: 23
; ScratchSize: 0
; MemoryBound: 0
; FloatMode: 240
; IeeeMode: 1
; LDSByteSize: 8192 bytes/workgroup (compile time only)
; SGPRBlocks: 4
; VGPRBlocks: 2
; NumSGPRsForWavesPerEU: 33
; NumVGPRsForWavesPerEU: 23
; Occupancy: 16
; WaveLimiterHint : 1
; COMPUTE_PGM_RSRC2:SCRATCH_EN: 0
; COMPUTE_PGM_RSRC2:USER_SGPR: 15
; COMPUTE_PGM_RSRC2:TRAP_HANDLER: 0
; COMPUTE_PGM_RSRC2:TGID_X_EN: 1
; COMPUTE_PGM_RSRC2:TGID_Y_EN: 0
; COMPUTE_PGM_RSRC2:TGID_Z_EN: 0
; COMPUTE_PGM_RSRC2:TIDIG_COMP_CNT: 0
	.section	.text._ZL33csrmvn_symm_large_adaptive_kernelIiif21rocsparse_complex_numIfES1_S1_EvbT_PKS2_N9rocsparse24const_host_device_scalarIT4_EES4_PKT0_PKT1_PKT2_S8_PT3_21rocsparse_index_base_b,"axG",@progbits,_ZL33csrmvn_symm_large_adaptive_kernelIiif21rocsparse_complex_numIfES1_S1_EvbT_PKS2_N9rocsparse24const_host_device_scalarIT4_EES4_PKT0_PKT1_PKT2_S8_PT3_21rocsparse_index_base_b,comdat
	.globl	_ZL33csrmvn_symm_large_adaptive_kernelIiif21rocsparse_complex_numIfES1_S1_EvbT_PKS2_N9rocsparse24const_host_device_scalarIT4_EES4_PKT0_PKT1_PKT2_S8_PT3_21rocsparse_index_base_b ; -- Begin function _ZL33csrmvn_symm_large_adaptive_kernelIiif21rocsparse_complex_numIfES1_S1_EvbT_PKS2_N9rocsparse24const_host_device_scalarIT4_EES4_PKT0_PKT1_PKT2_S8_PT3_21rocsparse_index_base_b
	.p2align	8
	.type	_ZL33csrmvn_symm_large_adaptive_kernelIiif21rocsparse_complex_numIfES1_S1_EvbT_PKS2_N9rocsparse24const_host_device_scalarIT4_EES4_PKT0_PKT1_PKT2_S8_PT3_21rocsparse_index_base_b,@function
_ZL33csrmvn_symm_large_adaptive_kernelIiif21rocsparse_complex_numIfES1_S1_EvbT_PKS2_N9rocsparse24const_host_device_scalarIT4_EES4_PKT0_PKT1_PKT2_S8_PT3_21rocsparse_index_base_b: ; @_ZL33csrmvn_symm_large_adaptive_kernelIiif21rocsparse_complex_numIfES1_S1_EvbT_PKS2_N9rocsparse24const_host_device_scalarIT4_EES4_PKT0_PKT1_PKT2_S8_PT3_21rocsparse_index_base_b
; %bb.0:
	s_clause 0x2
	s_load_b64 s[6:7], s[0:1], 0x48
	s_load_b64 s[8:9], s[0:1], 0x10
	;; [unrolled: 1-line block ×3, first 2 shown]
	s_mov_b32 s4, s15
	s_waitcnt lgkmcnt(0)
	s_bitcmp1_b32 s7, 0
	v_mov_b32_e32 v7, s8
	s_cselect_b32 s5, -1, 0
	s_delay_alu instid0(SALU_CYCLE_1)
	s_and_b32 vcc_lo, exec_lo, s5
	s_xor_b32 s5, s5, -1
	s_cbranch_vccz .LBB84_10
; %bb.1:
	v_cndmask_b32_e64 v2, 0, 1, s5
	v_mov_b32_e32 v8, s9
	s_and_not1_b32 vcc_lo, exec_lo, s5
	s_cbranch_vccz .LBB84_11
.LBB84_2:
	s_delay_alu instid0(VALU_DEP_2)
	v_cmp_ne_u32_e32 vcc_lo, 1, v2
	v_mov_b32_e32 v1, s2
	s_cbranch_vccz .LBB84_12
.LBB84_3:
	v_cmp_ne_u32_e32 vcc_lo, 1, v2
	v_mov_b32_e32 v2, s3
	s_cbranch_vccnz .LBB84_5
.LBB84_4:
	v_dual_mov_b32 v2, s2 :: v_dual_mov_b32 v3, s3
	flat_load_b32 v2, v[2:3] offset:4
.LBB84_5:
	s_waitcnt vmcnt(0) lgkmcnt(0)
	v_cmp_eq_f32_e32 vcc_lo, 0, v7
	v_cmp_eq_f32_e64 s2, 0, v8
	s_delay_alu instid0(VALU_DEP_1)
	s_and_b32 s5, vcc_lo, s2
	s_mov_b32 s2, -1
	s_and_saveexec_b32 s3, s5
; %bb.6:
	v_and_b32_e32 v2, 0x7fffffff, v2
	v_cmp_neq_f32_e32 vcc_lo, 1.0, v1
	s_delay_alu instid0(VALU_DEP_2) | instskip(NEXT) | instid1(VALU_DEP_1)
	v_cmp_ne_u32_e64 s2, 0, v2
	s_or_b32 s2, vcc_lo, s2
	s_delay_alu instid0(SALU_CYCLE_1)
	s_or_not1_b32 s2, s2, exec_lo
; %bb.7:
	s_or_b32 exec_lo, exec_lo, s3
	s_and_saveexec_b32 s3, s2
	s_cbranch_execz .LBB84_55
; %bb.8:
	s_load_b64 s[8:9], s[0:1], 0x8
	s_mov_b32 s2, 0
	s_ashr_i32 s5, s4, 31
	s_mov_b32 s3, s2
	v_mov_b32_e32 v1, s2
	v_dual_mov_b32 v2, s3 :: v_dual_lshlrev_b32 v9, 3, v0
	s_lshl_b64 s[4:5], s[4:5], 2
	ds_store_2addr_stride64_b64 v9, v[1:2], v[1:2] offset1:4
	ds_store_2addr_stride64_b64 v9, v[1:2], v[1:2] offset0:8 offset1:12
	s_waitcnt lgkmcnt(0)
	s_barrier
	buffer_gl0_inv
	s_add_u32 s4, s8, s4
	s_addc_u32 s5, s9, s5
	s_load_b64 s[16:17], s[4:5], 0x0
	s_clause 0x1
	s_load_b256 s[8:15], s[0:1], 0x18
	s_load_b64 s[18:19], s[0:1], 0x40
	s_waitcnt lgkmcnt(0)
	s_cmp_lt_i32 s16, s17
	s_cbranch_scc1 .LBB84_13
; %bb.9:
	s_ashr_i32 s1, s16, 31
	s_mov_b32 s0, s16
	s_delay_alu instid0(SALU_CYCLE_1) | instskip(NEXT) | instid1(SALU_CYCLE_1)
	s_lshl_b64 s[0:1], s[0:1], 2
	s_add_u32 s0, s8, s0
	s_addc_u32 s1, s9, s1
	s_load_b32 s7, s[0:1], 0x0
	v_subrev_nc_u32_e32 v10, s6, v0
	s_and_not1_b32 vcc_lo, exec_lo, s2
	s_cbranch_vccz .LBB84_14
	s_branch .LBB84_43
.LBB84_10:
	v_dual_mov_b32 v1, s8 :: v_dual_mov_b32 v2, s9
	flat_load_b32 v7, v[1:2]
	v_cndmask_b32_e64 v2, 0, 1, s5
	v_mov_b32_e32 v8, s9
	s_and_not1_b32 vcc_lo, exec_lo, s5
	s_cbranch_vccnz .LBB84_2
.LBB84_11:
	v_dual_mov_b32 v3, s8 :: v_dual_mov_b32 v4, s9
	flat_load_b32 v8, v[3:4] offset:4
	v_cmp_ne_u32_e32 vcc_lo, 1, v2
	v_mov_b32_e32 v1, s2
	s_cbranch_vccnz .LBB84_3
.LBB84_12:
	v_dual_mov_b32 v4, s3 :: v_dual_mov_b32 v3, s2
	flat_load_b32 v1, v[3:4]
	v_cmp_ne_u32_e32 vcc_lo, 1, v2
	v_mov_b32_e32 v2, s3
	s_cbranch_vccz .LBB84_4
	s_branch .LBB84_5
.LBB84_13:
                                        ; implicit-def: $sgpr7
	v_subrev_nc_u32_e32 v10, s6, v0
.LBB84_14:
	s_ashr_i32 s1, s16, 31
	s_mov_b32 s0, s16
	v_cmp_gt_u32_e32 vcc_lo, 0x100, v0
	s_lshl_b64 s[0:1], s[0:1], 2
	v_cmp_gt_u32_e64 s2, 4, v0
	s_add_u32 s0, s8, s0
	s_addc_u32 s1, s9, s1
	v_cmp_eq_u32_e64 s3, 0, v0
	s_waitcnt lgkmcnt(0)
	s_load_b32 s7, s[0:1], 0x0
	v_cmp_gt_u32_e64 s0, 64, v0
	v_cmp_gt_u32_e64 s1, 16, v0
	v_mov_b32_e32 v11, 0
	s_add_u32 s24, s8, 4
	s_addc_u32 s25, s9, 0
	s_mov_b32 s20, s16
	s_waitcnt lgkmcnt(0)
	s_mov_b32 s26, s7
	s_branch .LBB84_16
.LBB84_15:                              ;   in Loop: Header=BB84_16 Depth=1
	s_or_b32 exec_lo, exec_lo, s5
	s_add_i32 s20, s20, 1
	s_delay_alu instid0(SALU_CYCLE_1)
	s_cmp_ge_i32 s20, s17
	s_cbranch_scc1 .LBB84_43
.LBB84_16:                              ; =>This Loop Header: Depth=1
                                        ;     Child Loop BB84_18 Depth 2
                                        ;     Child Loop BB84_32 Depth 2
	;; [unrolled: 1-line block ×5, first 2 shown]
	s_ashr_i32 s21, s20, 31
	s_mov_b32 s22, s26
	s_lshl_b64 s[4:5], s[20:21], 2
	v_dual_mov_b32 v1, 0 :: v_dual_add_nc_u32 v0, s22, v10
	s_add_u32 s4, s24, s4
	s_addc_u32 s5, s25, s5
	v_mov_b32_e32 v2, 0
	s_load_b32 s26, s[4:5], 0x0
	s_mov_b32 s22, exec_lo
	s_waitcnt lgkmcnt(0)
	s_sub_i32 s23, s26, s6
	s_delay_alu instid0(SALU_CYCLE_1)
	v_cmpx_gt_i32_e64 s23, v0
	s_cbranch_execz .LBB84_20
; %bb.17:                               ;   in Loop: Header=BB84_16 Depth=1
	v_ashrrev_i32_e32 v1, 31, v0
	v_mov_b32_e32 v2, 0
	s_mov_b32 s27, 0
	s_delay_alu instid0(VALU_DEP_2) | instskip(NEXT) | instid1(VALU_DEP_2)
	v_lshlrev_b64 v[5:6], 2, v[0:1]
	v_mov_b32_e32 v1, v2
	s_delay_alu instid0(VALU_DEP_2) | instskip(NEXT) | instid1(VALU_DEP_1)
	v_add_co_u32 v3, s4, s10, v5
	v_add_co_ci_u32_e64 v4, s4, s11, v6, s4
	v_add_co_u32 v5, s4, s12, v5
	s_delay_alu instid0(VALU_DEP_1)
	v_add_co_ci_u32_e64 v6, s4, s13, v6, s4
	s_set_inst_prefetch_distance 0x1
	.p2align	6
.LBB84_18:                              ;   Parent Loop BB84_16 Depth=1
                                        ; =>  This Inner Loop Header: Depth=2
	global_load_b32 v12, v[3:4], off
	v_add_nc_u32_e32 v0, 0x100, v0
	s_delay_alu instid0(VALU_DEP_1) | instskip(NEXT) | instid1(VALU_DEP_1)
	v_cmp_le_i32_e64 s5, s23, v0
	s_or_b32 s27, s5, s27
	s_waitcnt vmcnt(0)
	v_subrev_nc_u32_e32 v12, s6, v12
	s_delay_alu instid0(VALU_DEP_1) | instskip(NEXT) | instid1(VALU_DEP_1)
	v_ashrrev_i32_e32 v13, 31, v12
	v_lshlrev_b64 v[12:13], 3, v[12:13]
	s_delay_alu instid0(VALU_DEP_1) | instskip(NEXT) | instid1(VALU_DEP_1)
	v_add_co_u32 v12, s4, s14, v12
	v_add_co_ci_u32_e64 v13, s4, s15, v13, s4
	v_add_co_u32 v3, s4, 0x400, v3
	global_load_b32 v14, v[5:6], off
	global_load_b64 v[12:13], v[12:13], off
	v_add_co_ci_u32_e64 v4, s4, 0, v4, s4
	v_add_co_u32 v5, s4, 0x400, v5
	s_delay_alu instid0(VALU_DEP_1) | instskip(SKIP_2) | instid1(VALU_DEP_1)
	v_add_co_ci_u32_e64 v6, s4, 0, v6, s4
	s_waitcnt vmcnt(0)
	v_fmac_f32_e32 v1, v14, v12
	v_dual_fmac_f32 v2, 0, v12 :: v_dual_fmac_f32 v1, 0x80000000, v13
	s_delay_alu instid0(VALU_DEP_1)
	v_fmac_f32_e32 v2, v14, v13
	s_and_not1_b32 exec_lo, exec_lo, s27
	s_cbranch_execnz .LBB84_18
; %bb.19:                               ;   in Loop: Header=BB84_16 Depth=1
	s_set_inst_prefetch_distance 0x2
	s_or_b32 exec_lo, exec_lo, s27
.LBB84_20:                              ;   in Loop: Header=BB84_16 Depth=1
	s_delay_alu instid0(SALU_CYCLE_1)
	s_or_b32 exec_lo, exec_lo, s22
	ds_store_b64 v9, v[1:2]
	s_waitcnt lgkmcnt(0)
	s_barrier
	buffer_gl0_inv
	s_and_saveexec_b32 s4, vcc_lo
	s_cbranch_execz .LBB84_22
; %bb.21:                               ;   in Loop: Header=BB84_16 Depth=1
	ds_load_2addr_stride64_b64 v[0:3], v9 offset1:4
	ds_load_2addr_stride64_b64 v[12:15], v9 offset0:8 offset1:12
	s_waitcnt lgkmcnt(0)
	v_dual_add_f32 v2, v12, v2 :: v_dual_add_f32 v3, v13, v3
	s_delay_alu instid0(VALU_DEP_1) | instskip(NEXT) | instid1(VALU_DEP_1)
	v_dual_add_f32 v2, v2, v14 :: v_dual_add_f32 v3, v3, v15
	v_dual_add_f32 v0, v2, v0 :: v_dual_add_f32 v1, v3, v1
	ds_store_b64 v9, v[0:1]
.LBB84_22:                              ;   in Loop: Header=BB84_16 Depth=1
	s_or_b32 exec_lo, exec_lo, s4
	s_waitcnt lgkmcnt(0)
	s_barrier
	buffer_gl0_inv
	s_and_saveexec_b32 s4, s0
	s_cbranch_execz .LBB84_24
; %bb.23:                               ;   in Loop: Header=BB84_16 Depth=1
	ds_load_2addr_stride64_b64 v[0:3], v9 offset1:1
	ds_load_2addr_stride64_b64 v[12:15], v9 offset0:2 offset1:3
	s_waitcnt lgkmcnt(0)
	v_dual_add_f32 v2, v12, v2 :: v_dual_add_f32 v3, v13, v3
	s_delay_alu instid0(VALU_DEP_1) | instskip(NEXT) | instid1(VALU_DEP_1)
	v_dual_add_f32 v2, v2, v14 :: v_dual_add_f32 v3, v3, v15
	v_dual_add_f32 v0, v2, v0 :: v_dual_add_f32 v1, v3, v1
	ds_store_b64 v9, v[0:1]
.LBB84_24:                              ;   in Loop: Header=BB84_16 Depth=1
	s_or_b32 exec_lo, exec_lo, s4
	s_waitcnt lgkmcnt(0)
	s_barrier
	buffer_gl0_inv
	s_and_saveexec_b32 s4, s1
	s_cbranch_execz .LBB84_26
; %bb.25:                               ;   in Loop: Header=BB84_16 Depth=1
	ds_load_2addr_b64 v[0:3], v9 offset1:16
	ds_load_2addr_b64 v[12:15], v9 offset0:32 offset1:48
	s_waitcnt lgkmcnt(0)
	v_dual_add_f32 v2, v12, v2 :: v_dual_add_f32 v3, v13, v3
	s_delay_alu instid0(VALU_DEP_1) | instskip(NEXT) | instid1(VALU_DEP_1)
	v_dual_add_f32 v2, v2, v14 :: v_dual_add_f32 v3, v3, v15
	v_dual_add_f32 v0, v2, v0 :: v_dual_add_f32 v1, v3, v1
	ds_store_b64 v9, v[0:1]
.LBB84_26:                              ;   in Loop: Header=BB84_16 Depth=1
	s_or_b32 exec_lo, exec_lo, s4
	s_waitcnt lgkmcnt(0)
	s_barrier
	buffer_gl0_inv
	s_and_saveexec_b32 s4, s2
	s_cbranch_execz .LBB84_28
; %bb.27:                               ;   in Loop: Header=BB84_16 Depth=1
	ds_load_2addr_b64 v[0:3], v9 offset1:4
	ds_load_2addr_b64 v[12:15], v9 offset0:8 offset1:12
	s_waitcnt lgkmcnt(0)
	v_dual_add_f32 v2, v12, v2 :: v_dual_add_f32 v3, v13, v3
	s_delay_alu instid0(VALU_DEP_1) | instskip(NEXT) | instid1(VALU_DEP_1)
	v_dual_add_f32 v2, v2, v14 :: v_dual_add_f32 v3, v3, v15
	v_dual_add_f32 v0, v2, v0 :: v_dual_add_f32 v1, v3, v1
	ds_store_b64 v9, v[0:1]
.LBB84_28:                              ;   in Loop: Header=BB84_16 Depth=1
	s_or_b32 exec_lo, exec_lo, s4
	s_waitcnt lgkmcnt(0)
	s_barrier
	buffer_gl0_inv
	s_and_saveexec_b32 s4, s3
	s_cbranch_execz .LBB84_30
; %bb.29:                               ;   in Loop: Header=BB84_16 Depth=1
	ds_load_b128 v[0:3], v11 offset:16
	ds_load_b64 v[4:5], v11 offset:8
	ds_load_b64 v[12:13], v9
	s_waitcnt lgkmcnt(1)
	v_dual_add_f32 v0, v0, v4 :: v_dual_add_f32 v1, v1, v5
	s_delay_alu instid0(VALU_DEP_1) | instskip(SKIP_1) | instid1(VALU_DEP_1)
	v_dual_add_f32 v0, v0, v2 :: v_dual_add_f32 v1, v1, v3
	s_waitcnt lgkmcnt(0)
	v_dual_add_f32 v0, v0, v12 :: v_dual_add_f32 v1, v1, v13
	ds_store_b64 v9, v[0:1]
.LBB84_30:                              ;   in Loop: Header=BB84_16 Depth=1
	s_or_b32 exec_lo, exec_lo, s4
	s_waitcnt lgkmcnt(0)
	s_barrier
	buffer_gl0_inv
	s_and_saveexec_b32 s5, s3
	s_cbranch_execz .LBB84_15
; %bb.31:                               ;   in Loop: Header=BB84_16 Depth=1
	ds_load_b64 v[0:1], v11
	v_bfrev_b32_e32 v4, 1
	s_mov_b32 s4, exec_lo
	s_waitcnt lgkmcnt(0)
	v_mul_f32_e64 v2, v1, -v8
	s_delay_alu instid0(VALU_DEP_1)
	v_fmac_f32_e32 v2, v7, v0
.LBB84_32:                              ;   Parent Loop BB84_16 Depth=1
                                        ; =>  This Inner Loop Header: Depth=2
	s_ctz_i32_b32 s22, s4
	s_delay_alu instid0(VALU_DEP_1) | instid1(SALU_CYCLE_1)
	v_readlane_b32 s23, v2, s22
	s_lshl_b32 s22, 1, s22
	s_delay_alu instid0(SALU_CYCLE_1) | instskip(NEXT) | instid1(SALU_CYCLE_1)
	s_and_not1_b32 s4, s4, s22
	s_cmp_lg_u32 s4, 0
	s_delay_alu instid0(VALU_DEP_1)
	v_add_f32_e32 v4, s23, v4
	s_cbranch_scc1 .LBB84_32
; %bb.33:                               ;   in Loop: Header=BB84_16 Depth=1
	v_mbcnt_lo_u32_b32 v2, exec_lo, 0
	s_lshl_b64 s[22:23], s[20:21], 3
	s_mov_b32 s21, exec_lo
	s_add_u32 s22, s18, s22
	s_addc_u32 s23, s19, s23
	v_cmpx_eq_u32_e32 0, v2
	s_xor_b32 s21, exec_lo, s21
	s_cbranch_execz .LBB84_37
; %bb.34:                               ;   in Loop: Header=BB84_16 Depth=1
	global_load_b32 v3, v11, s[22:23]
	s_mov_b32 s27, 0
.LBB84_35:                              ;   Parent Loop BB84_16 Depth=1
                                        ; =>  This Inner Loop Header: Depth=2
	s_waitcnt vmcnt(0)
	v_add_f32_e32 v2, v3, v4
	global_atomic_cmpswap_b32 v2, v11, v[2:3], s[22:23] glc
	s_waitcnt vmcnt(0)
	v_cmp_eq_u32_e64 s4, v2, v3
	v_mov_b32_e32 v3, v2
	s_delay_alu instid0(VALU_DEP_2) | instskip(NEXT) | instid1(SALU_CYCLE_1)
	s_or_b32 s27, s4, s27
	s_and_not1_b32 exec_lo, exec_lo, s27
	s_cbranch_execnz .LBB84_35
; %bb.36:                               ;   in Loop: Header=BB84_16 Depth=1
	s_or_b32 exec_lo, exec_lo, s27
.LBB84_37:                              ;   in Loop: Header=BB84_16 Depth=1
	s_delay_alu instid0(SALU_CYCLE_1) | instskip(SKIP_3) | instid1(VALU_DEP_2)
	s_or_b32 exec_lo, exec_lo, s21
	v_mul_f32_e32 v1, v1, v7
	v_bfrev_b32_e32 v2, 1
	s_mov_b32 s4, exec_lo
	v_fmac_f32_e32 v1, v8, v0
.LBB84_38:                              ;   Parent Loop BB84_16 Depth=1
                                        ; =>  This Inner Loop Header: Depth=2
	s_ctz_i32_b32 s21, s4
	s_delay_alu instid0(VALU_DEP_1) | instid1(SALU_CYCLE_1)
	v_readlane_b32 s27, v1, s21
	s_lshl_b32 s21, 1, s21
	s_delay_alu instid0(SALU_CYCLE_1) | instskip(NEXT) | instid1(SALU_CYCLE_1)
	s_and_not1_b32 s4, s4, s21
	s_cmp_lg_u32 s4, 0
	s_delay_alu instid0(VALU_DEP_1)
	v_add_f32_e32 v2, s27, v2
	s_cbranch_scc1 .LBB84_38
; %bb.39:                               ;   in Loop: Header=BB84_16 Depth=1
	v_mbcnt_lo_u32_b32 v0, exec_lo, 0
	s_mov_b32 s21, exec_lo
	s_delay_alu instid0(VALU_DEP_1)
	v_cmpx_eq_u32_e32 0, v0
	s_xor_b32 s21, exec_lo, s21
	s_cbranch_execz .LBB84_15
; %bb.40:                               ;   in Loop: Header=BB84_16 Depth=1
	global_load_b32 v1, v11, s[22:23] offset:4
	s_mov_b32 s21, 0
.LBB84_41:                              ;   Parent Loop BB84_16 Depth=1
                                        ; =>  This Inner Loop Header: Depth=2
	s_waitcnt vmcnt(0)
	v_add_f32_e32 v0, v1, v2
	global_atomic_cmpswap_b32 v0, v11, v[0:1], s[22:23] offset:4 glc
	s_waitcnt vmcnt(0)
	v_cmp_eq_u32_e64 s4, v0, v1
	v_mov_b32_e32 v1, v0
	s_delay_alu instid0(VALU_DEP_2) | instskip(NEXT) | instid1(SALU_CYCLE_1)
	s_or_b32 s21, s4, s21
	s_and_not1_b32 exec_lo, exec_lo, s21
	s_cbranch_execnz .LBB84_41
; %bb.42:                               ;   in Loop: Header=BB84_16 Depth=1
	s_or_b32 exec_lo, exec_lo, s21
	s_branch .LBB84_15
.LBB84_43:
	s_ashr_i32 s1, s17, 31
	s_mov_b32 s0, s17
	s_waitcnt lgkmcnt(0)
	v_add_nc_u32_e32 v0, s7, v10
	s_lshl_b64 s[0:1], s[0:1], 2
	s_delay_alu instid0(SALU_CYCLE_1) | instskip(SKIP_4) | instid1(SALU_CYCLE_1)
	s_add_u32 s0, s8, s0
	s_addc_u32 s1, s9, s1
	s_load_b32 s0, s[0:1], 0x0
	s_waitcnt lgkmcnt(0)
	s_sub_i32 s1, s0, s6
	v_cmp_gt_i32_e32 vcc_lo, s1, v0
	s_and_b32 exec_lo, exec_lo, vcc_lo
	s_cbranch_execz .LBB84_55
; %bb.44:
	s_add_i32 s2, s17, -1
	v_dual_mul_f32 v9, 0x80000000, v8 :: v_dual_mul_f32 v10, 0, v7
	s_cmp_gt_i32 s2, s16
	s_mov_b32 s4, 0
	s_cselect_b32 s0, -1, 0
	s_add_i32 s3, s17, -2
	s_delay_alu instid0(SALU_CYCLE_1) | instskip(SKIP_1) | instid1(SALU_CYCLE_1)
	s_cmp_lg_u32 s3, s16
	s_cselect_b32 s3, -1, 0
	s_and_b32 s3, s0, s3
	s_branch .LBB84_46
.LBB84_45:                              ;   in Loop: Header=BB84_46 Depth=1
	s_or_b32 exec_lo, exec_lo, s0
	v_add_nc_u32_e32 v0, 0x100, v0
	s_delay_alu instid0(VALU_DEP_1) | instskip(SKIP_1) | instid1(SALU_CYCLE_1)
	v_cmp_le_i32_e32 vcc_lo, s1, v0
	s_or_b32 s4, vcc_lo, s4
	s_and_not1_b32 exec_lo, exec_lo, s4
	s_cbranch_execz .LBB84_55
.LBB84_46:                              ; =>This Loop Header: Depth=1
                                        ;     Child Loop BB84_48 Depth 2
                                        ;     Child Loop BB84_52 Depth 2
	;; [unrolled: 1-line block ×3, first 2 shown]
	v_dual_mov_b32 v5, s16 :: v_dual_mov_b32 v2, s2
	s_and_not1_b32 vcc_lo, exec_lo, s3
	s_cbranch_vccnz .LBB84_50
; %bb.47:                               ;   in Loop: Header=BB84_46 Depth=1
	v_dual_mov_b32 v5, s16 :: v_dual_mov_b32 v2, s2
	s_mov_b32 s5, 0
	.p2align	6
.LBB84_48:                              ;   Parent Loop BB84_46 Depth=1
                                        ; =>  This Inner Loop Header: Depth=2
	s_delay_alu instid0(VALU_DEP_1) | instskip(NEXT) | instid1(VALU_DEP_1)
	v_add_nc_u32_e32 v1, v2, v5
	v_lshrrev_b32_e32 v3, 31, v1
	s_delay_alu instid0(VALU_DEP_1) | instskip(NEXT) | instid1(VALU_DEP_1)
	v_add_nc_u32_e32 v1, v1, v3
	v_ashrrev_i32_e32 v3, 1, v1
	s_delay_alu instid0(VALU_DEP_1) | instskip(NEXT) | instid1(VALU_DEP_1)
	v_ashrrev_i32_e32 v4, 31, v3
	v_lshlrev_b64 v[11:12], 2, v[3:4]
	s_delay_alu instid0(VALU_DEP_1) | instskip(NEXT) | instid1(VALU_DEP_2)
	v_add_co_u32 v11, vcc_lo, s8, v11
	v_add_co_ci_u32_e32 v12, vcc_lo, s9, v12, vcc_lo
	global_load_b32 v1, v[11:12], off
	s_waitcnt vmcnt(0)
	v_subrev_nc_u32_e32 v1, s6, v1
	s_delay_alu instid0(VALU_DEP_1) | instskip(SKIP_1) | instid1(VALU_DEP_1)
	v_cmp_gt_i32_e32 vcc_lo, v1, v0
	v_dual_cndmask_b32 v2, v2, v3 :: v_dual_cndmask_b32 v5, v3, v5
	v_add_nc_u32_e32 v1, -1, v2
	s_delay_alu instid0(VALU_DEP_2) | instskip(NEXT) | instid1(VALU_DEP_2)
	v_cmp_ge_i32_e32 vcc_lo, v5, v2
	v_cmp_eq_u32_e64 s0, v5, v1
	s_delay_alu instid0(VALU_DEP_1) | instskip(NEXT) | instid1(SALU_CYCLE_1)
	s_or_b32 s0, vcc_lo, s0
	s_and_b32 s0, exec_lo, s0
	s_delay_alu instid0(SALU_CYCLE_1) | instskip(NEXT) | instid1(SALU_CYCLE_1)
	s_or_b32 s5, s0, s5
	s_and_not1_b32 exec_lo, exec_lo, s5
	s_cbranch_execnz .LBB84_48
; %bb.49:                               ;   in Loop: Header=BB84_46 Depth=1
	s_or_b32 exec_lo, exec_lo, s5
.LBB84_50:                              ;   in Loop: Header=BB84_46 Depth=1
	s_delay_alu instid0(VALU_DEP_1) | instskip(SKIP_2) | instid1(VALU_DEP_2)
	v_ashrrev_i32_e32 v3, 31, v2
	v_ashrrev_i32_e32 v1, 31, v0
	s_mov_b32 s0, exec_lo
	v_lshlrev_b64 v[3:4], 2, v[2:3]
	s_delay_alu instid0(VALU_DEP_1) | instskip(NEXT) | instid1(VALU_DEP_2)
	v_add_co_u32 v11, vcc_lo, s8, v3
	v_add_co_ci_u32_e32 v12, vcc_lo, s9, v4, vcc_lo
	v_lshlrev_b64 v[3:4], 2, v[0:1]
	global_load_b32 v1, v[11:12], off
	v_add_co_u32 v11, vcc_lo, s10, v3
	v_add_co_ci_u32_e32 v12, vcc_lo, s11, v4, vcc_lo
	global_load_b32 v6, v[11:12], off
	s_waitcnt vmcnt(1)
	v_subrev_nc_u32_e32 v1, s6, v1
	s_delay_alu instid0(VALU_DEP_1) | instskip(SKIP_3) | instid1(VALU_DEP_1)
	v_cmp_gt_i32_e32 vcc_lo, v1, v0
	s_waitcnt vmcnt(0)
	v_subrev_nc_u32_e32 v1, s6, v6
	v_cndmask_b32_e32 v5, v2, v5, vcc_lo
	v_cmpx_ne_u32_e64 v1, v5
	s_cbranch_execz .LBB84_45
; %bb.51:                               ;   in Loop: Header=BB84_46 Depth=1
	v_ashrrev_i32_e32 v6, 31, v5
	v_add_co_u32 v3, vcc_lo, s12, v3
	v_add_co_ci_u32_e32 v4, vcc_lo, s13, v4, vcc_lo
	s_delay_alu instid0(VALU_DEP_3)
	v_lshlrev_b64 v[5:6], 3, v[5:6]
	v_ashrrev_i32_e32 v2, 31, v1
	s_mov_b32 s5, 0
	global_load_b32 v12, v[3:4], off
	v_lshlrev_b64 v[1:2], 3, v[1:2]
	v_add_co_u32 v3, vcc_lo, s14, v5
	v_add_co_ci_u32_e32 v4, vcc_lo, s15, v6, vcc_lo
	s_delay_alu instid0(VALU_DEP_3)
	v_add_co_u32 v1, vcc_lo, s18, v1
	global_load_b64 v[3:4], v[3:4], off
	v_add_co_ci_u32_e32 v2, vcc_lo, s19, v2, vcc_lo
	global_load_b32 v6, v[1:2], off
	s_waitcnt vmcnt(2)
	v_fma_f32 v11, v8, v12, v10
	v_fma_f32 v12, v7, v12, v9
	s_waitcnt vmcnt(1)
	s_delay_alu instid0(VALU_DEP_2) | instskip(NEXT) | instid1(VALU_DEP_1)
	v_mul_f32_e64 v13, v4, -v11
	v_fmac_f32_e32 v13, v12, v3
.LBB84_52:                              ;   Parent Loop BB84_46 Depth=1
                                        ; =>  This Inner Loop Header: Depth=2
	s_waitcnt vmcnt(0)
	s_delay_alu instid0(VALU_DEP_1)
	v_add_f32_e32 v5, v6, v13
	global_atomic_cmpswap_b32 v5, v[1:2], v[5:6], off glc
	s_waitcnt vmcnt(0)
	v_cmp_eq_u32_e32 vcc_lo, v5, v6
	v_mov_b32_e32 v6, v5
	s_or_b32 s5, vcc_lo, s5
	s_delay_alu instid0(SALU_CYCLE_1)
	s_and_not1_b32 exec_lo, exec_lo, s5
	s_cbranch_execnz .LBB84_52
; %bb.53:                               ;   in Loop: Header=BB84_46 Depth=1
	s_or_b32 exec_lo, exec_lo, s5
	global_load_b32 v5, v[1:2], off offset:4
	v_mul_f32_e32 v6, v12, v4
	s_mov_b32 s5, 0
	s_delay_alu instid0(VALU_DEP_1)
	v_fmac_f32_e32 v6, v11, v3
.LBB84_54:                              ;   Parent Loop BB84_46 Depth=1
                                        ; =>  This Inner Loop Header: Depth=2
	s_waitcnt vmcnt(0)
	s_delay_alu instid0(VALU_DEP_1)
	v_add_f32_e32 v4, v5, v6
	global_atomic_cmpswap_b32 v3, v[1:2], v[4:5], off offset:4 glc
	s_waitcnt vmcnt(0)
	v_cmp_eq_u32_e32 vcc_lo, v3, v5
	v_mov_b32_e32 v5, v3
	s_or_b32 s5, vcc_lo, s5
	s_delay_alu instid0(SALU_CYCLE_1)
	s_and_not1_b32 exec_lo, exec_lo, s5
	s_cbranch_execnz .LBB84_54
	s_branch .LBB84_45
.LBB84_55:
	s_endpgm
	.section	.rodata,"a",@progbits
	.p2align	6, 0x0
	.amdhsa_kernel _ZL33csrmvn_symm_large_adaptive_kernelIiif21rocsparse_complex_numIfES1_S1_EvbT_PKS2_N9rocsparse24const_host_device_scalarIT4_EES4_PKT0_PKT1_PKT2_S8_PT3_21rocsparse_index_base_b
		.amdhsa_group_segment_fixed_size 8192
		.amdhsa_private_segment_fixed_size 0
		.amdhsa_kernarg_size 80
		.amdhsa_user_sgpr_count 15
		.amdhsa_user_sgpr_dispatch_ptr 0
		.amdhsa_user_sgpr_queue_ptr 0
		.amdhsa_user_sgpr_kernarg_segment_ptr 1
		.amdhsa_user_sgpr_dispatch_id 0
		.amdhsa_user_sgpr_private_segment_size 0
		.amdhsa_wavefront_size32 1
		.amdhsa_uses_dynamic_stack 0
		.amdhsa_enable_private_segment 0
		.amdhsa_system_sgpr_workgroup_id_x 1
		.amdhsa_system_sgpr_workgroup_id_y 0
		.amdhsa_system_sgpr_workgroup_id_z 0
		.amdhsa_system_sgpr_workgroup_info 0
		.amdhsa_system_vgpr_workitem_id 0
		.amdhsa_next_free_vgpr 16
		.amdhsa_next_free_sgpr 28
		.amdhsa_reserve_vcc 1
		.amdhsa_float_round_mode_32 0
		.amdhsa_float_round_mode_16_64 0
		.amdhsa_float_denorm_mode_32 3
		.amdhsa_float_denorm_mode_16_64 3
		.amdhsa_dx10_clamp 1
		.amdhsa_ieee_mode 1
		.amdhsa_fp16_overflow 0
		.amdhsa_workgroup_processor_mode 1
		.amdhsa_memory_ordered 1
		.amdhsa_forward_progress 0
		.amdhsa_shared_vgpr_count 0
		.amdhsa_exception_fp_ieee_invalid_op 0
		.amdhsa_exception_fp_denorm_src 0
		.amdhsa_exception_fp_ieee_div_zero 0
		.amdhsa_exception_fp_ieee_overflow 0
		.amdhsa_exception_fp_ieee_underflow 0
		.amdhsa_exception_fp_ieee_inexact 0
		.amdhsa_exception_int_div_zero 0
	.end_amdhsa_kernel
	.section	.text._ZL33csrmvn_symm_large_adaptive_kernelIiif21rocsparse_complex_numIfES1_S1_EvbT_PKS2_N9rocsparse24const_host_device_scalarIT4_EES4_PKT0_PKT1_PKT2_S8_PT3_21rocsparse_index_base_b,"axG",@progbits,_ZL33csrmvn_symm_large_adaptive_kernelIiif21rocsparse_complex_numIfES1_S1_EvbT_PKS2_N9rocsparse24const_host_device_scalarIT4_EES4_PKT0_PKT1_PKT2_S8_PT3_21rocsparse_index_base_b,comdat
.Lfunc_end84:
	.size	_ZL33csrmvn_symm_large_adaptive_kernelIiif21rocsparse_complex_numIfES1_S1_EvbT_PKS2_N9rocsparse24const_host_device_scalarIT4_EES4_PKT0_PKT1_PKT2_S8_PT3_21rocsparse_index_base_b, .Lfunc_end84-_ZL33csrmvn_symm_large_adaptive_kernelIiif21rocsparse_complex_numIfES1_S1_EvbT_PKS2_N9rocsparse24const_host_device_scalarIT4_EES4_PKT0_PKT1_PKT2_S8_PT3_21rocsparse_index_base_b
                                        ; -- End function
	.section	.AMDGPU.csdata,"",@progbits
; Kernel info:
; codeLenInByte = 2424
; NumSgprs: 30
; NumVgprs: 16
; ScratchSize: 0
; MemoryBound: 0
; FloatMode: 240
; IeeeMode: 1
; LDSByteSize: 8192 bytes/workgroup (compile time only)
; SGPRBlocks: 3
; VGPRBlocks: 1
; NumSGPRsForWavesPerEU: 30
; NumVGPRsForWavesPerEU: 16
; Occupancy: 16
; WaveLimiterHint : 1
; COMPUTE_PGM_RSRC2:SCRATCH_EN: 0
; COMPUTE_PGM_RSRC2:USER_SGPR: 15
; COMPUTE_PGM_RSRC2:TRAP_HANDLER: 0
; COMPUTE_PGM_RSRC2:TGID_X_EN: 1
; COMPUTE_PGM_RSRC2:TGID_Y_EN: 0
; COMPUTE_PGM_RSRC2:TGID_Z_EN: 0
; COMPUTE_PGM_RSRC2:TIDIG_COMP_CNT: 0
	.section	.text._ZN9rocsparseL22csrmvn_adaptive_kernelIlif21rocsparse_complex_numIfES2_S2_EEvbT_PKS3_PjPKT0_NS_24const_host_device_scalarIT4_EES5_S9_PKT1_PKT2_SC_PT3_21rocsparse_index_base_b,"axG",@progbits,_ZN9rocsparseL22csrmvn_adaptive_kernelIlif21rocsparse_complex_numIfES2_S2_EEvbT_PKS3_PjPKT0_NS_24const_host_device_scalarIT4_EES5_S9_PKT1_PKT2_SC_PT3_21rocsparse_index_base_b,comdat
	.globl	_ZN9rocsparseL22csrmvn_adaptive_kernelIlif21rocsparse_complex_numIfES2_S2_EEvbT_PKS3_PjPKT0_NS_24const_host_device_scalarIT4_EES5_S9_PKT1_PKT2_SC_PT3_21rocsparse_index_base_b ; -- Begin function _ZN9rocsparseL22csrmvn_adaptive_kernelIlif21rocsparse_complex_numIfES2_S2_EEvbT_PKS3_PjPKT0_NS_24const_host_device_scalarIT4_EES5_S9_PKT1_PKT2_SC_PT3_21rocsparse_index_base_b
	.p2align	8
	.type	_ZN9rocsparseL22csrmvn_adaptive_kernelIlif21rocsparse_complex_numIfES2_S2_EEvbT_PKS3_PjPKT0_NS_24const_host_device_scalarIT4_EES5_S9_PKT1_PKT2_SC_PT3_21rocsparse_index_base_b,@function
_ZN9rocsparseL22csrmvn_adaptive_kernelIlif21rocsparse_complex_numIfES2_S2_EEvbT_PKS3_PjPKT0_NS_24const_host_device_scalarIT4_EES5_S9_PKT1_PKT2_SC_PT3_21rocsparse_index_base_b: ; @_ZN9rocsparseL22csrmvn_adaptive_kernelIlif21rocsparse_complex_numIfES2_S2_EEvbT_PKS3_PjPKT0_NS_24const_host_device_scalarIT4_EES5_S9_PKT1_PKT2_SC_PT3_21rocsparse_index_base_b
; %bb.0:
	s_clause 0x2
	s_load_b64 s[30:31], s[0:1], 0x60
	s_load_b64 s[4:5], s[0:1], 0x28
	;; [unrolled: 1-line block ×3, first 2 shown]
	s_mov_b32 s36, s15
	s_waitcnt lgkmcnt(0)
	s_bitcmp1_b32 s31, 0
	v_mov_b32_e32 v11, s4
	s_cselect_b32 s6, -1, 0
	s_delay_alu instid0(SALU_CYCLE_1)
	s_and_b32 vcc_lo, exec_lo, s6
	s_xor_b32 s6, s6, -1
	s_cbranch_vccz .LBB85_37
; %bb.1:
	v_cndmask_b32_e64 v1, 0, 1, s6
	v_mov_b32_e32 v12, s5
	s_and_not1_b32 vcc_lo, exec_lo, s6
	s_cbranch_vccz .LBB85_38
.LBB85_2:
	s_delay_alu instid0(VALU_DEP_2)
	v_cmp_ne_u32_e32 vcc_lo, 1, v1
	v_mov_b32_e32 v9, s2
	s_cbranch_vccz .LBB85_39
.LBB85_3:
	v_cmp_ne_u32_e32 vcc_lo, 1, v1
	v_mov_b32_e32 v10, s3
	s_cbranch_vccnz .LBB85_5
.LBB85_4:
	v_dual_mov_b32 v1, s2 :: v_dual_mov_b32 v2, s3
	flat_load_b32 v10, v[1:2] offset:4
.LBB85_5:
	s_waitcnt vmcnt(0) lgkmcnt(0)
	v_cmp_eq_f32_e32 vcc_lo, 0, v11
	v_cmp_eq_f32_e64 s2, 0, v12
	s_delay_alu instid0(VALU_DEP_1)
	s_and_b32 s4, vcc_lo, s2
	s_mov_b32 s2, -1
	s_and_saveexec_b32 s3, s4
; %bb.6:
	v_cmp_neq_f32_e32 vcc_lo, 1.0, v9
	v_cmp_neq_f32_e64 s2, 0, v10
	s_delay_alu instid0(VALU_DEP_1) | instskip(NEXT) | instid1(SALU_CYCLE_1)
	s_or_b32 s2, vcc_lo, s2
	s_or_not1_b32 s2, s2, exec_lo
; %bb.7:
	s_or_b32 exec_lo, exec_lo, s3
	s_and_saveexec_b32 s3, s2
	s_cbranch_execz .LBB85_125
; %bb.8:
	s_clause 0x2
	s_load_b64 s[2:3], s[0:1], 0x10
	s_load_b64 s[6:7], s[0:1], 0x20
	;; [unrolled: 1-line block ×3, first 2 shown]
	s_ashr_i32 s37, s36, 31
	s_delay_alu instid0(SALU_CYCLE_1)
	s_lshl_b64 s[4:5], s[36:37], 3
	s_waitcnt lgkmcnt(0)
	s_add_u32 s2, s2, s4
	s_addc_u32 s3, s3, s5
	s_lshl_b64 s[38:39], s[36:37], 2
	s_load_b128 s[20:23], s[2:3], 0x0
	s_load_b256 s[12:19], s[0:1], 0x30
	s_mov_b32 s3, -1
	s_waitcnt lgkmcnt(0)
	s_sub_i32 s2, s22, s20
	s_add_u32 s4, s6, s38
	s_addc_u32 s5, s7, s39
	s_lshl_b64 s[34:35], s[20:21], 3
	s_delay_alu instid0(SALU_CYCLE_1)
	s_add_u32 s26, s12, s34
	s_addc_u32 s27, s13, s35
	s_load_b32 s31, s[4:5], 0x0
	s_load_b64 s[28:29], s[26:27], 0x0
	s_cmp_lt_i32 s2, 2
	s_cbranch_scc0 .LBB85_81
; %bb.9:
	s_cmp_lg_u32 s2, 1
	s_cselect_b32 s2, -1, 0
	s_waitcnt lgkmcnt(0)
	s_cmp_lg_u32 s31, 0
	s_cselect_b32 s3, -1, 0
	s_delay_alu instid0(SALU_CYCLE_1) | instskip(NEXT) | instid1(SALU_CYCLE_1)
	s_or_b32 s2, s2, s3
	s_and_b32 vcc_lo, exec_lo, s2
	s_mov_b32 s2, -1
	s_cbranch_vccnz .LBB85_41
; %bb.10:
	v_cmp_le_i64_e64 s2, s[22:23], s[20:21]
	s_delay_alu instid0(VALU_DEP_1)
	s_and_b32 vcc_lo, exec_lo, s2
	s_cbranch_vccnz .LBB85_40
; %bb.11:
	v_cmp_neq_f32_e32 vcc_lo, 0, v9
	v_cmp_neq_f32_e64 s10, 0, v10
	v_sub_co_u32 v13, s2, v0, s30
	s_delay_alu instid0(VALU_DEP_1)
	v_sub_co_ci_u32_e64 v14, null, 0, 0, s2
	v_dual_mul_f32 v15, 0x80000000, v12 :: v_dual_mul_f32 v16, 0, v11
	v_dual_mov_b32 v18, 0 :: v_dual_lshlrev_b32 v17, 3, v0
	v_cmp_gt_u32_e64 s2, 0x80, v0
	v_cmp_gt_u32_e64 s3, 64, v0
	;; [unrolled: 1-line block ×7, first 2 shown]
	v_cmp_eq_u32_e64 s9, 0, v0
	s_or_b32 s11, vcc_lo, s10
	s_add_u32 s33, s12, 8
	s_addc_u32 s37, s13, 0
	s_mov_b64 s[42:43], s[28:29]
	s_mov_b64 s[40:41], s[20:21]
	s_branch .LBB85_14
.LBB85_12:                              ;   in Loop: Header=BB85_14 Depth=1
	s_or_b32 exec_lo, exec_lo, s46
	s_add_u32 s44, s24, s44
	s_addc_u32 s45, s25, s45
	s_waitcnt lgkmcnt(0)
	global_store_b64 v18, v[1:2], s[44:45]
.LBB85_13:                              ;   in Loop: Header=BB85_14 Depth=1
	s_or_b32 exec_lo, exec_lo, s10
	s_add_u32 s40, s40, 1
	s_addc_u32 s41, s41, 0
	s_delay_alu instid0(SALU_CYCLE_1) | instskip(NEXT) | instid1(VALU_DEP_1)
	v_cmp_ge_i64_e64 s10, s[40:41], s[22:23]
	s_and_b32 vcc_lo, exec_lo, s10
	s_cbranch_vccnz .LBB85_40
.LBB85_14:                              ; =>This Loop Header: Depth=1
                                        ;     Child Loop BB85_16 Depth 2
	s_lshl_b64 s[44:45], s[40:41], 3
	s_mov_b64 s[48:49], s[42:43]
	s_add_u32 s46, s33, s44
	s_addc_u32 s47, s37, s45
	v_add_co_u32 v1, vcc_lo, s48, v13
	s_load_b64 s[42:43], s[46:47], 0x0
	v_add_co_ci_u32_e32 v2, vcc_lo, s49, v14, vcc_lo
	v_dual_mov_b32 v4, 0 :: v_dual_mov_b32 v3, 0
	s_mov_b32 s48, exec_lo
	s_waitcnt lgkmcnt(0)
	s_sub_u32 s46, s42, s30
	s_subb_u32 s47, s43, 0
	s_delay_alu instid0(SALU_CYCLE_1)
	v_cmpx_gt_i64_e64 s[46:47], v[1:2]
	s_cbranch_execz .LBB85_18
; %bb.15:                               ;   in Loop: Header=BB85_14 Depth=1
	v_lshlrev_b64 v[7:8], 2, v[1:2]
	v_mov_b32_e32 v4, 0
	s_mov_b32 s49, 0
	s_delay_alu instid0(VALU_DEP_1) | instskip(NEXT) | instid1(VALU_DEP_3)
	v_mov_b32_e32 v3, v4
	v_add_co_u32 v5, vcc_lo, s16, v7
	s_delay_alu instid0(VALU_DEP_4)
	v_add_co_ci_u32_e32 v6, vcc_lo, s17, v8, vcc_lo
	v_add_co_u32 v7, vcc_lo, s14, v7
	v_add_co_ci_u32_e32 v8, vcc_lo, s15, v8, vcc_lo
	s_set_inst_prefetch_distance 0x1
	.p2align	6
.LBB85_16:                              ;   Parent Loop BB85_14 Depth=1
                                        ; =>  This Inner Loop Header: Depth=2
	global_load_b32 v19, v[7:8], off
	global_load_b32 v21, v[5:6], off
	s_waitcnt vmcnt(1)
	v_subrev_nc_u32_e32 v19, s30, v19
	s_waitcnt vmcnt(0)
	v_fma_f32 v22, v11, v21, v15
	v_fma_f32 v21, v12, v21, v16
	s_delay_alu instid0(VALU_DEP_3) | instskip(NEXT) | instid1(VALU_DEP_1)
	v_ashrrev_i32_e32 v20, 31, v19
	v_lshlrev_b64 v[19:20], 3, v[19:20]
	s_delay_alu instid0(VALU_DEP_1) | instskip(NEXT) | instid1(VALU_DEP_2)
	v_add_co_u32 v19, vcc_lo, s18, v19
	v_add_co_ci_u32_e32 v20, vcc_lo, s19, v20, vcc_lo
	v_add_co_u32 v1, vcc_lo, 0x100, v1
	v_add_co_ci_u32_e32 v2, vcc_lo, 0, v2, vcc_lo
	global_load_b64 v[19:20], v[19:20], off
	v_add_co_u32 v5, vcc_lo, 0x400, v5
	v_add_co_ci_u32_e32 v6, vcc_lo, 0, v6, vcc_lo
	v_cmp_le_i64_e64 s10, s[46:47], v[1:2]
	v_add_co_u32 v7, vcc_lo, 0x400, v7
	v_add_co_ci_u32_e32 v8, vcc_lo, 0, v8, vcc_lo
	s_delay_alu instid0(VALU_DEP_3) | instskip(SKIP_3) | instid1(VALU_DEP_2)
	s_or_b32 s49, s10, s49
	s_waitcnt vmcnt(0)
	v_fmac_f32_e32 v3, v22, v19
	v_fmac_f32_e32 v4, v21, v19
	v_fma_f32 v3, -v21, v20, v3
	s_delay_alu instid0(VALU_DEP_2)
	v_fmac_f32_e32 v4, v22, v20
	s_and_not1_b32 exec_lo, exec_lo, s49
	s_cbranch_execnz .LBB85_16
; %bb.17:                               ;   in Loop: Header=BB85_14 Depth=1
	s_set_inst_prefetch_distance 0x2
	s_or_b32 exec_lo, exec_lo, s49
.LBB85_18:                              ;   in Loop: Header=BB85_14 Depth=1
	s_delay_alu instid0(SALU_CYCLE_1)
	s_or_b32 exec_lo, exec_lo, s48
	ds_store_b64 v17, v[3:4]
	s_waitcnt lgkmcnt(0)
	s_waitcnt_vscnt null, 0x0
	s_barrier
	buffer_gl0_inv
	s_and_saveexec_b32 s10, s2
	s_cbranch_execz .LBB85_20
; %bb.19:                               ;   in Loop: Header=BB85_14 Depth=1
	ds_load_2addr_stride64_b64 v[1:4], v17 offset1:2
	s_waitcnt lgkmcnt(0)
	v_dual_add_f32 v1, v3, v1 :: v_dual_add_f32 v2, v4, v2
	ds_store_b64 v17, v[1:2]
.LBB85_20:                              ;   in Loop: Header=BB85_14 Depth=1
	s_or_b32 exec_lo, exec_lo, s10
	s_waitcnt lgkmcnt(0)
	s_barrier
	buffer_gl0_inv
	s_and_saveexec_b32 s10, s3
	s_cbranch_execz .LBB85_22
; %bb.21:                               ;   in Loop: Header=BB85_14 Depth=1
	ds_load_2addr_stride64_b64 v[1:4], v17 offset1:1
	s_waitcnt lgkmcnt(0)
	v_dual_add_f32 v1, v3, v1 :: v_dual_add_f32 v2, v4, v2
	ds_store_b64 v17, v[1:2]
.LBB85_22:                              ;   in Loop: Header=BB85_14 Depth=1
	s_or_b32 exec_lo, exec_lo, s10
	s_waitcnt lgkmcnt(0)
	s_barrier
	buffer_gl0_inv
	s_and_saveexec_b32 s10, s4
	s_cbranch_execz .LBB85_24
; %bb.23:                               ;   in Loop: Header=BB85_14 Depth=1
	ds_load_2addr_b64 v[1:4], v17 offset1:32
	s_waitcnt lgkmcnt(0)
	v_dual_add_f32 v1, v3, v1 :: v_dual_add_f32 v2, v4, v2
	ds_store_b64 v17, v[1:2]
.LBB85_24:                              ;   in Loop: Header=BB85_14 Depth=1
	s_or_b32 exec_lo, exec_lo, s10
	s_waitcnt lgkmcnt(0)
	s_barrier
	buffer_gl0_inv
	s_and_saveexec_b32 s10, s5
	s_cbranch_execz .LBB85_26
; %bb.25:                               ;   in Loop: Header=BB85_14 Depth=1
	ds_load_2addr_b64 v[1:4], v17 offset1:16
	s_waitcnt lgkmcnt(0)
	v_dual_add_f32 v1, v3, v1 :: v_dual_add_f32 v2, v4, v2
	ds_store_b64 v17, v[1:2]
.LBB85_26:                              ;   in Loop: Header=BB85_14 Depth=1
	;; [unrolled: 12-line block ×6, first 2 shown]
	s_or_b32 exec_lo, exec_lo, s10
	s_waitcnt lgkmcnt(0)
	s_barrier
	buffer_gl0_inv
	s_and_saveexec_b32 s10, s9
	s_cbranch_execz .LBB85_13
; %bb.35:                               ;   in Loop: Header=BB85_14 Depth=1
	ds_load_b64 v[1:2], v18
	s_and_saveexec_b32 s46, s11
	s_cbranch_execz .LBB85_12
; %bb.36:                               ;   in Loop: Header=BB85_14 Depth=1
	s_add_u32 s48, s24, s44
	s_addc_u32 s49, s25, s45
	global_load_b64 v[3:4], v18, s[48:49]
	s_waitcnt vmcnt(0) lgkmcnt(0)
	v_fma_f32 v1, v9, v3, v1
	v_fmac_f32_e32 v2, v10, v3
	s_delay_alu instid0(VALU_DEP_2) | instskip(NEXT) | instid1(VALU_DEP_2)
	v_fma_f32 v1, -v10, v4, v1
	v_fmac_f32_e32 v2, v9, v4
	s_branch .LBB85_12
.LBB85_37:
	v_dual_mov_b32 v1, s4 :: v_dual_mov_b32 v2, s5
	flat_load_b32 v11, v[1:2]
	v_cndmask_b32_e64 v1, 0, 1, s6
	v_mov_b32_e32 v12, s5
	s_and_not1_b32 vcc_lo, exec_lo, s6
	s_cbranch_vccnz .LBB85_2
.LBB85_38:
	v_dual_mov_b32 v2, s4 :: v_dual_mov_b32 v3, s5
	flat_load_b32 v12, v[2:3] offset:4
	v_cmp_ne_u32_e32 vcc_lo, 1, v1
	v_mov_b32_e32 v9, s2
	s_cbranch_vccnz .LBB85_3
.LBB85_39:
	v_dual_mov_b32 v2, s2 :: v_dual_mov_b32 v3, s3
	flat_load_b32 v9, v[2:3]
	v_cmp_ne_u32_e32 vcc_lo, 1, v1
	v_mov_b32_e32 v10, s3
	s_cbranch_vccz .LBB85_4
	s_branch .LBB85_5
.LBB85_40:
	s_mov_b32 s2, 0
.LBB85_41:
	s_delay_alu instid0(SALU_CYCLE_1)
	s_and_not1_b32 vcc_lo, exec_lo, s2
	s_cbranch_vccnz .LBB85_80
; %bb.42:
	s_load_b64 s[6:7], s[0:1], 0x18
	s_sub_i32 s8, s36, s31
	v_or_b32_e32 v1, s31, v0
	v_mov_b32_e32 v2, 0
	s_delay_alu instid0(VALU_DEP_2)
	v_cmp_eq_u32_e32 vcc_lo, 0, v1
	v_mov_b32_e32 v1, 0
	s_waitcnt lgkmcnt(0)
	s_add_u32 s4, s6, s38
	s_addc_u32 s5, s7, s39
	s_load_b32 s33, s[4:5], 0x0
	s_and_saveexec_b32 s2, vcc_lo
	s_cbranch_execz .LBB85_46
; %bb.43:
	v_dual_mov_b32 v5, 0 :: v_dual_add_f32 v6, -1.0, v9
	s_add_u32 s10, s24, s34
	s_addc_u32 s11, s25, s35
	s_mov_b32 s3, exec_lo
	global_load_b64 v[3:4], v5, s[10:11]
	v_mbcnt_lo_u32_b32 v7, s3, 0
	s_mov_b32 s10, exec_lo
	s_waitcnt vmcnt(0) expcnt(0) lgkmcnt(0)
	s_waitcnt_vscnt null, 0x0
	v_mul_f32_e64 v1, v4, -v10
	v_mul_f32_e32 v2, v6, v4
	v_cmpx_eq_u32_e32 0, v7
	s_cbranch_execz .LBB85_45
; %bb.44:
	s_ashr_i32 s9, s8, 31
	s_delay_alu instid0(SALU_CYCLE_1) | instskip(NEXT) | instid1(SALU_CYCLE_1)
	s_lshl_b64 s[36:37], s[8:9], 2
	s_add_u32 s36, s6, s36
	s_addc_u32 s37, s7, s37
	s_bcnt1_i32_b32 s3, s3
	s_delay_alu instid0(SALU_CYCLE_1) | instskip(NEXT) | instid1(SALU_CYCLE_1)
	s_and_b32 s3, s3, 1
	v_mov_b32_e32 v4, s3
	global_atomic_xor_b32 v5, v4, s[36:37]
.LBB85_45:
	s_or_b32 exec_lo, exec_lo, s10
	v_fmac_f32_e32 v1, v6, v3
	v_fmac_f32_e32 v2, v10, v3
.LBB85_46:
	s_or_b32 exec_lo, exec_lo, s2
	s_load_b64 s[2:3], s[26:27], 0x8
	s_mul_i32 s10, s31, 0xc00
	s_sub_u32 s11, s28, s30
	s_subb_u32 s36, s29, 0
	s_mul_hi_i32 s9, s31, 0xc00
	s_add_u32 s10, s11, s10
	s_addc_u32 s11, s36, s9
	v_add_co_u32 v3, s9, s10, v0
	s_delay_alu instid0(VALU_DEP_1) | instskip(SKIP_4) | instid1(SALU_CYCLE_1)
	v_add_co_ci_u32_e64 v4, null, s11, 0, s9
	s_mov_b32 s9, exec_lo
	s_waitcnt lgkmcnt(0)
	s_sub_u32 s2, s2, s30
	s_subb_u32 s3, s3, 0
	v_cmpx_gt_i64_e64 s[2:3], v[3:4]
	s_cbranch_execz .LBB85_50
; %bb.47:
	v_lshlrev_b64 v[7:8], 2, v[3:4]
	s_add_u32 s10, s10, 0xc00
	s_addc_u32 s11, s11, 0
	v_dual_mul_f32 v13, 0x80000000, v12 :: v_dual_mul_f32 v14, 0, v11
	v_cmp_lt_i64_e64 s36, s[10:11], s[2:3]
	s_delay_alu instid0(VALU_DEP_3)
	v_add_co_u32 v5, vcc_lo, s16, v7
	v_add_co_ci_u32_e32 v6, vcc_lo, s17, v8, vcc_lo
	v_add_co_u32 v7, vcc_lo, s14, v7
	v_add_co_ci_u32_e32 v8, vcc_lo, s15, v8, vcc_lo
	s_and_b32 s36, s36, exec_lo
	s_cselect_b32 s11, s11, s3
	s_cselect_b32 s10, s10, s2
	s_mov_b32 s3, 0
	s_set_inst_prefetch_distance 0x1
	.p2align	6
.LBB85_48:                              ; =>This Inner Loop Header: Depth=1
	global_load_b32 v15, v[7:8], off
	global_load_b32 v17, v[5:6], off
	s_waitcnt vmcnt(1)
	v_subrev_nc_u32_e32 v15, s30, v15
	s_waitcnt vmcnt(0)
	v_fma_f32 v18, v11, v17, v13
	v_fma_f32 v17, v12, v17, v14
	s_delay_alu instid0(VALU_DEP_3) | instskip(NEXT) | instid1(VALU_DEP_1)
	v_ashrrev_i32_e32 v16, 31, v15
	v_lshlrev_b64 v[15:16], 3, v[15:16]
	s_delay_alu instid0(VALU_DEP_1) | instskip(NEXT) | instid1(VALU_DEP_2)
	v_add_co_u32 v15, vcc_lo, s18, v15
	v_add_co_ci_u32_e32 v16, vcc_lo, s19, v16, vcc_lo
	v_add_co_u32 v3, vcc_lo, 0x100, v3
	v_add_co_ci_u32_e32 v4, vcc_lo, 0, v4, vcc_lo
	global_load_b64 v[15:16], v[15:16], off
	v_add_co_u32 v5, vcc_lo, 0x400, v5
	v_add_co_ci_u32_e32 v6, vcc_lo, 0, v6, vcc_lo
	v_cmp_le_i64_e64 s2, s[10:11], v[3:4]
	v_add_co_u32 v7, vcc_lo, 0x400, v7
	v_add_co_ci_u32_e32 v8, vcc_lo, 0, v8, vcc_lo
	s_delay_alu instid0(VALU_DEP_3) | instskip(SKIP_3) | instid1(VALU_DEP_2)
	s_or_b32 s3, s2, s3
	s_waitcnt vmcnt(0)
	v_fmac_f32_e32 v1, v18, v15
	v_fmac_f32_e32 v2, v17, v15
	v_fma_f32 v1, -v17, v16, v1
	s_delay_alu instid0(VALU_DEP_2)
	v_fmac_f32_e32 v2, v18, v16
	s_and_not1_b32 exec_lo, exec_lo, s3
	s_cbranch_execnz .LBB85_48
; %bb.49:
	s_set_inst_prefetch_distance 0x2
	s_or_b32 exec_lo, exec_lo, s3
.LBB85_50:
	s_delay_alu instid0(SALU_CYCLE_1)
	s_or_b32 exec_lo, exec_lo, s9
	v_lshlrev_b32_e32 v3, 3, v0
	s_mov_b32 s2, exec_lo
	ds_store_b64 v3, v[1:2]
	s_waitcnt lgkmcnt(0)
	s_waitcnt_vscnt null, 0x0
	s_barrier
	buffer_gl0_inv
	v_cmpx_gt_u32_e32 0x80, v0
	s_cbranch_execz .LBB85_52
; %bb.51:
	ds_load_2addr_stride64_b64 v[4:7], v3 offset1:2
	s_waitcnt lgkmcnt(0)
	v_dual_add_f32 v1, v6, v4 :: v_dual_add_f32 v2, v7, v5
	ds_store_b64 v3, v[1:2]
.LBB85_52:
	s_or_b32 exec_lo, exec_lo, s2
	s_delay_alu instid0(SALU_CYCLE_1)
	s_mov_b32 s2, exec_lo
	s_waitcnt lgkmcnt(0)
	s_barrier
	buffer_gl0_inv
	v_cmpx_gt_u32_e32 64, v0
	s_cbranch_execz .LBB85_54
; %bb.53:
	ds_load_2addr_stride64_b64 v[4:7], v3 offset1:1
	s_waitcnt lgkmcnt(0)
	v_dual_add_f32 v1, v6, v4 :: v_dual_add_f32 v2, v7, v5
	ds_store_b64 v3, v[1:2]
.LBB85_54:
	s_or_b32 exec_lo, exec_lo, s2
	s_delay_alu instid0(SALU_CYCLE_1)
	s_mov_b32 s2, exec_lo
	s_waitcnt lgkmcnt(0)
	s_barrier
	buffer_gl0_inv
	v_cmpx_gt_u32_e32 32, v0
	s_cbranch_execz .LBB85_56
; %bb.55:
	ds_load_2addr_b64 v[4:7], v3 offset1:32
	s_waitcnt lgkmcnt(0)
	v_dual_add_f32 v1, v6, v4 :: v_dual_add_f32 v2, v7, v5
	ds_store_b64 v3, v[1:2]
.LBB85_56:
	s_or_b32 exec_lo, exec_lo, s2
	s_delay_alu instid0(SALU_CYCLE_1)
	s_mov_b32 s2, exec_lo
	s_waitcnt lgkmcnt(0)
	s_barrier
	buffer_gl0_inv
	v_cmpx_gt_u32_e32 16, v0
	s_cbranch_execz .LBB85_58
; %bb.57:
	ds_load_2addr_b64 v[4:7], v3 offset1:16
	s_waitcnt lgkmcnt(0)
	v_dual_add_f32 v1, v6, v4 :: v_dual_add_f32 v2, v7, v5
	ds_store_b64 v3, v[1:2]
.LBB85_58:
	;; [unrolled: 14-line block ×5, first 2 shown]
	s_or_b32 exec_lo, exec_lo, s2
	v_cmp_eq_u32_e32 vcc_lo, 0, v0
	s_waitcnt lgkmcnt(0)
	s_barrier
	buffer_gl0_inv
	s_and_saveexec_b32 s2, vcc_lo
	s_cbranch_execz .LBB85_66
; %bb.65:
	v_mov_b32_e32 v5, 0
	ds_load_2addr_b64 v[1:4], v5 offset1:1
	s_waitcnt lgkmcnt(0)
	v_dual_add_f32 v2, v4, v2 :: v_dual_add_f32 v1, v3, v1
	ds_store_b64 v5, v[1:2]
.LBB85_66:
	s_or_b32 exec_lo, exec_lo, s2
	s_waitcnt lgkmcnt(0)
	s_barrier
	buffer_gl0_inv
	s_and_saveexec_b32 s10, vcc_lo
	s_cbranch_execz .LBB85_79
; %bb.67:
	s_cmp_eq_u32 s31, 0
	s_cbranch_scc1 .LBB85_73
; %bb.68:
	s_ashr_i32 s9, s8, 31
	v_mov_b32_e32 v1, 0
	s_lshl_b64 s[2:3], s[8:9], 2
	s_delay_alu instid0(SALU_CYCLE_1)
	s_add_u32 s2, s6, s2
	s_addc_u32 s3, s7, s3
	s_branch .LBB85_70
.LBB85_69:                              ;   in Loop: Header=BB85_70 Depth=1
	s_or_b32 exec_lo, exec_lo, s6
	s_waitcnt vmcnt(0)
	v_readfirstlane_b32 s6, v2
	s_delay_alu instid0(VALU_DEP_1)
	s_cmp_eq_u32 s6, s33
	s_cbranch_scc0 .LBB85_72
.LBB85_70:                              ; =>This Inner Loop Header: Depth=1
	v_mbcnt_lo_u32_b32 v2, exec_lo, 0
	s_delay_alu instid0(VALU_DEP_1)
	v_cmp_eq_u32_e32 vcc_lo, 0, v2
                                        ; implicit-def: $vgpr2
	s_and_saveexec_b32 s6, vcc_lo
	s_cbranch_execz .LBB85_69
; %bb.71:                               ;   in Loop: Header=BB85_70 Depth=1
	global_load_b32 v2, v1, s[2:3] glc
	s_branch .LBB85_69
.LBB85_72:
	v_mov_b32_e32 v1, 0
	global_load_b32 v2, v1, s[4:5]
	s_waitcnt vmcnt(0)
	v_xor_b32_e32 v2, 1, v2
	global_store_b32 v1, v2, s[4:5]
.LBB85_73:
	v_mov_b32_e32 v5, 0
	s_mov_b32 s5, exec_lo
	s_add_u32 s2, s24, s34
	v_mbcnt_lo_u32_b32 v3, s5, 0
	s_addc_u32 s3, s25, s35
	ds_load_b64 v[1:2], v5
	s_mov_b32 s4, exec_lo
	v_cmpx_eq_u32_e32 0, v3
	s_cbranch_execz .LBB85_76
; %bb.74:
	global_load_b32 v4, v5, s[2:3]
	s_bcnt1_i32_b32 s5, s5
	s_delay_alu instid0(SALU_CYCLE_1) | instskip(SKIP_2) | instid1(VALU_DEP_1)
	v_cvt_f32_ubyte0_e32 v3, s5
	s_mov_b32 s5, 0
	s_waitcnt lgkmcnt(0)
	v_mul_f32_e32 v1, v1, v3
.LBB85_75:                              ; =>This Inner Loop Header: Depth=1
	s_waitcnt vmcnt(0)
	s_delay_alu instid0(VALU_DEP_1)
	v_add_f32_e32 v3, v4, v1
	global_atomic_cmpswap_b32 v3, v5, v[3:4], s[2:3] glc
	s_waitcnt vmcnt(0)
	v_cmp_eq_u32_e32 vcc_lo, v3, v4
	v_mov_b32_e32 v4, v3
	s_or_b32 s5, vcc_lo, s5
	s_delay_alu instid0(SALU_CYCLE_1)
	s_and_not1_b32 exec_lo, exec_lo, s5
	s_cbranch_execnz .LBB85_75
.LBB85_76:
	s_or_b32 exec_lo, exec_lo, s4
	s_delay_alu instid0(SALU_CYCLE_1) | instskip(SKIP_3) | instid1(VALU_DEP_1)
	s_mov_b32 s5, exec_lo
	s_mov_b32 s4, 0
	s_waitcnt lgkmcnt(0)
	v_mbcnt_lo_u32_b32 v1, s5, 0
	v_cmp_eq_u32_e32 vcc_lo, 0, v1
	s_and_b32 s6, exec_lo, vcc_lo
	s_delay_alu instid0(SALU_CYCLE_1)
	s_mov_b32 exec_lo, s6
	s_cbranch_execz .LBB85_79
; %bb.77:
	s_bcnt1_i32_b32 s5, s5
	s_delay_alu instid0(SALU_CYCLE_1) | instskip(NEXT) | instid1(VALU_DEP_1)
	v_cvt_f32_ubyte0_e32 v4, s5
	v_dual_mov_b32 v1, 0 :: v_dual_mul_f32 v4, v2, v4
	global_load_b32 v3, v1, s[2:3] offset:4
.LBB85_78:                              ; =>This Inner Loop Header: Depth=1
	s_waitcnt vmcnt(0)
	v_add_f32_e32 v2, v3, v4
	global_atomic_cmpswap_b32 v2, v1, v[2:3], s[2:3] offset:4 glc
	s_waitcnt vmcnt(0)
	v_cmp_eq_u32_e32 vcc_lo, v2, v3
	v_mov_b32_e32 v3, v2
	s_or_b32 s4, vcc_lo, s4
	s_delay_alu instid0(SALU_CYCLE_1)
	s_and_not1_b32 exec_lo, exec_lo, s4
	s_cbranch_execnz .LBB85_78
.LBB85_79:
	s_or_b32 exec_lo, exec_lo, s10
.LBB85_80:
	s_mov_b32 s3, 0
.LBB85_81:
	s_delay_alu instid0(SALU_CYCLE_1)
	s_and_not1_b32 vcc_lo, exec_lo, s3
	s_cbranch_vccnz .LBB85_125
; %bb.82:
	s_load_b64 s[0:1], s[0:1], 0x8
	v_sub_co_u32 v1, s2, v0, s30
	s_delay_alu instid0(VALU_DEP_1) | instskip(SKIP_1) | instid1(VALU_DEP_2)
	v_sub_co_ci_u32_e64 v2, null, 0, 0, s2
	s_waitcnt lgkmcnt(0)
	v_add_co_u32 v1, vcc_lo, s28, v1
	s_delay_alu instid0(VALU_DEP_2) | instskip(NEXT) | instid1(VALU_DEP_2)
	v_add_co_ci_u32_e32 v2, vcc_lo, s29, v2, vcc_lo
	v_add_co_u32 v3, vcc_lo, 0x300, v1
	s_delay_alu instid0(VALU_DEP_2) | instskip(NEXT) | instid1(VALU_DEP_1)
	v_add_co_ci_u32_e32 v4, vcc_lo, 0, v2, vcc_lo
	v_cmp_le_i64_e32 vcc_lo, s[0:1], v[3:4]
	s_and_saveexec_b32 s0, vcc_lo
	s_delay_alu instid0(SALU_CYCLE_1)
	s_xor_b32 s1, exec_lo, s0
	s_cbranch_execz .LBB85_87
; %bb.83:
	s_lshl_b64 s[2:3], s[22:23], 3
	s_mov_b32 s4, exec_lo
	s_add_u32 s2, s12, s2
	s_addc_u32 s3, s13, s3
	s_load_b64 s[2:3], s[2:3], 0x0
	s_waitcnt lgkmcnt(0)
	s_sub_u32 s2, s2, s30
	s_subb_u32 s3, s3, 0
	s_delay_alu instid0(SALU_CYCLE_1)
	v_cmpx_gt_i64_e64 s[2:3], v[1:2]
	s_cbranch_execz .LBB85_86
; %bb.84:
	v_lshlrev_b64 v[5:6], 2, v[1:2]
	v_dual_mul_f32 v7, 0x80000000, v12 :: v_dual_mul_f32 v8, 0, v11
	v_lshlrev_b32_e32 v13, 3, v0
	s_mov_b32 s5, 0
	s_delay_alu instid0(VALU_DEP_3) | instskip(NEXT) | instid1(VALU_DEP_4)
	v_add_co_u32 v3, vcc_lo, s16, v5
	v_add_co_ci_u32_e32 v4, vcc_lo, s17, v6, vcc_lo
	v_add_co_u32 v5, vcc_lo, s14, v5
	v_add_co_ci_u32_e32 v6, vcc_lo, s15, v6, vcc_lo
	s_set_inst_prefetch_distance 0x1
	.p2align	6
.LBB85_85:                              ; =>This Inner Loop Header: Depth=1
	global_load_b32 v14, v[5:6], off
	global_load_b32 v16, v[3:4], off
	s_waitcnt vmcnt(1)
	v_subrev_nc_u32_e32 v14, s30, v14
	s_waitcnt vmcnt(0)
	v_fma_f32 v18, v12, v16, v8
	v_fma_f32 v19, v11, v16, v7
	s_delay_alu instid0(VALU_DEP_3) | instskip(NEXT) | instid1(VALU_DEP_1)
	v_ashrrev_i32_e32 v15, 31, v14
	v_lshlrev_b64 v[14:15], 3, v[14:15]
	s_delay_alu instid0(VALU_DEP_1) | instskip(NEXT) | instid1(VALU_DEP_2)
	v_add_co_u32 v14, vcc_lo, s18, v14
	v_add_co_ci_u32_e32 v15, vcc_lo, s19, v15, vcc_lo
	v_add_co_u32 v1, vcc_lo, 0x100, v1
	v_add_co_ci_u32_e32 v2, vcc_lo, 0, v2, vcc_lo
	global_load_b64 v[14:15], v[14:15], off
	v_add_co_u32 v3, vcc_lo, 0x400, v3
	v_add_co_ci_u32_e32 v4, vcc_lo, 0, v4, vcc_lo
	v_cmp_le_i64_e64 s0, s[2:3], v[1:2]
	v_add_co_u32 v5, vcc_lo, 0x400, v5
	v_add_co_ci_u32_e32 v6, vcc_lo, 0, v6, vcc_lo
	s_delay_alu instid0(VALU_DEP_3) | instskip(SKIP_3) | instid1(VALU_DEP_2)
	s_or_b32 s5, s0, s5
	s_waitcnt vmcnt(0)
	v_mul_f32_e64 v16, v15, -v18
	v_mul_f32_e32 v17, v19, v15
	v_fmac_f32_e32 v16, v19, v14
	s_delay_alu instid0(VALU_DEP_2)
	v_fmac_f32_e32 v17, v18, v14
	ds_store_b64 v13, v[16:17]
	v_add_nc_u32_e32 v13, 0x800, v13
	s_and_not1_b32 exec_lo, exec_lo, s5
	s_cbranch_execnz .LBB85_85
.LBB85_86:
	s_set_inst_prefetch_distance 0x2
	s_or_b32 exec_lo, exec_lo, s4
                                        ; implicit-def: $vgpr12
                                        ; implicit-def: $vgpr11
                                        ; implicit-def: $vgpr1_vgpr2
.LBB85_87:
	s_or_saveexec_b32 s0, s1
	v_lshlrev_b32_e32 v13, 3, v0
	s_xor_b32 exec_lo, exec_lo, s0
	s_cbranch_execz .LBB85_89
; %bb.88:
	v_lshlrev_b64 v[1:2], 2, v[1:2]
	v_dual_mul_f32 v20, 0x80000000, v12 :: v_dual_mul_f32 v21, 0, v11
	s_delay_alu instid0(VALU_DEP_2) | instskip(NEXT) | instid1(VALU_DEP_3)
	v_add_co_u32 v3, vcc_lo, s14, v1
	v_add_co_ci_u32_e32 v4, vcc_lo, s15, v2, vcc_lo
	v_add_co_u32 v1, vcc_lo, s16, v1
	v_add_co_ci_u32_e32 v2, vcc_lo, s17, v2, vcc_lo
	s_clause 0x3
	global_load_b32 v5, v[3:4], off
	global_load_b32 v6, v[3:4], off offset:1024
	global_load_b32 v7, v[3:4], off offset:2048
	;; [unrolled: 1-line block ×3, first 2 shown]
	s_clause 0x3
	global_load_b32 v16, v[1:2], off
	global_load_b32 v17, v[1:2], off offset:1024
	global_load_b32 v18, v[1:2], off offset:2048
	;; [unrolled: 1-line block ×3, first 2 shown]
	s_waitcnt vmcnt(7)
	v_subrev_nc_u32_e32 v3, s30, v5
	s_waitcnt vmcnt(6)
	v_subrev_nc_u32_e32 v5, s30, v6
	;; [unrolled: 2-line block ×4, first 2 shown]
	s_waitcnt vmcnt(3)
	v_fma_f32 v22, v11, v16, v20
	v_ashrrev_i32_e32 v4, 31, v3
	v_ashrrev_i32_e32 v6, 31, v5
	;; [unrolled: 1-line block ×4, first 2 shown]
	v_fma_f32 v23, v12, v16, v21
	v_lshlrev_b64 v[3:4], 3, v[3:4]
	v_lshlrev_b64 v[1:2], 3, v[5:6]
	;; [unrolled: 1-line block ×4, first 2 shown]
	s_waitcnt vmcnt(2)
	v_fma_f32 v24, v11, v17, v20
	v_fma_f32 v25, v12, v17, v21
	v_add_co_u32 v3, vcc_lo, s18, v3
	v_add_co_ci_u32_e32 v4, vcc_lo, s19, v4, vcc_lo
	v_add_co_u32 v1, vcc_lo, s18, v1
	v_add_co_ci_u32_e32 v2, vcc_lo, s19, v2, vcc_lo
	;; [unrolled: 2-line block ×4, first 2 shown]
	s_clause 0x3
	global_load_b64 v[3:4], v[3:4], off
	global_load_b64 v[1:2], v[1:2], off
	;; [unrolled: 1-line block ×4, first 2 shown]
	s_waitcnt vmcnt(5)
	v_fma_f32 v26, v11, v18, v20
	v_fma_f32 v27, v12, v18, v21
	s_waitcnt vmcnt(4)
	v_fmac_f32_e32 v20, v11, v19
	v_fmac_f32_e32 v21, v12, v19
	s_waitcnt vmcnt(2)
	v_mul_f32_e64 v14, v2, -v25
	v_mul_f32_e32 v12, v22, v4
	v_mul_f32_e64 v11, v4, -v23
	v_mul_f32_e32 v15, v24, v2
	s_waitcnt vmcnt(1)
	v_mul_f32_e64 v16, v6, -v27
	v_dual_mul_f32 v17, v26, v6 :: v_dual_fmac_f32 v12, v23, v3
	s_waitcnt vmcnt(0)
	v_mul_f32_e64 v18, v8, -v21
	s_delay_alu instid0(VALU_DEP_3) | instskip(SKIP_1) | instid1(VALU_DEP_3)
	v_dual_mul_f32 v19, v20, v8 :: v_dual_fmac_f32 v16, v26, v5
	v_dual_fmac_f32 v11, v22, v3 :: v_dual_fmac_f32 v14, v24, v1
	v_dual_fmac_f32 v15, v25, v1 :: v_dual_fmac_f32 v18, v20, v7
	v_fmac_f32_e32 v17, v27, v5
	s_delay_alu instid0(VALU_DEP_4)
	v_fmac_f32_e32 v19, v21, v7
	ds_store_2addr_stride64_b64 v13, v[11:12], v[14:15] offset1:4
	ds_store_2addr_stride64_b64 v13, v[16:17], v[18:19] offset0:8 offset1:12
.LBB85_89:
	s_or_b32 exec_lo, exec_lo, s0
	s_cmp_lt_i32 s31, 2
	s_mov_b32 s0, -1
	s_waitcnt lgkmcnt(0)
	s_waitcnt_vscnt null, 0x0
	s_barrier
	buffer_gl0_inv
	s_cbranch_scc0 .LBB85_100
; %bb.90:
	v_add_co_u32 v5, s0, s20, v0
	s_delay_alu instid0(VALU_DEP_1) | instskip(SKIP_1) | instid1(VALU_DEP_1)
	v_add_co_ci_u32_e64 v6, null, s21, 0, s0
	s_mov_b32 s1, exec_lo
	v_cmpx_gt_i64_e64 s[22:23], v[5:6]
	s_cbranch_execz .LBB85_99
; %bb.91:
	v_cmp_neq_f32_e32 vcc_lo, 0, v9
	v_cmp_neq_f32_e64 s0, 0, v10
	s_lshl_b32 s4, s28, 3
	s_mov_b32 s2, 0
	s_sub_i32 s4, 0, s4
	s_delay_alu instid0(VALU_DEP_1)
	s_or_b32 s3, vcc_lo, s0
	s_branch .LBB85_93
.LBB85_92:                              ;   in Loop: Header=BB85_93 Depth=1
	s_or_b32 exec_lo, exec_lo, s0
	v_add_co_u32 v5, vcc_lo, 0x100, v5
	v_add_co_ci_u32_e32 v6, vcc_lo, 0, v6, vcc_lo
	v_add_co_u32 v7, s0, s24, v7
	s_delay_alu instid0(VALU_DEP_1) | instskip(NEXT) | instid1(VALU_DEP_3)
	v_add_co_ci_u32_e64 v8, s0, s25, v8, s0
	v_cmp_le_i64_e32 vcc_lo, s[22:23], v[5:6]
	global_store_b64 v[7:8], v[2:3], off
	s_or_b32 s2, vcc_lo, s2
	s_delay_alu instid0(SALU_CYCLE_1)
	s_and_not1_b32 exec_lo, exec_lo, s2
	s_cbranch_execz .LBB85_99
.LBB85_93:                              ; =>This Loop Header: Depth=1
                                        ;     Child Loop BB85_95 Depth 2
	v_lshlrev_b64 v[7:8], 3, v[5:6]
	s_mov_b32 s0, exec_lo
	s_delay_alu instid0(VALU_DEP_1) | instskip(NEXT) | instid1(VALU_DEP_2)
	v_add_co_u32 v1, vcc_lo, s12, v7
	v_add_co_ci_u32_e32 v2, vcc_lo, s13, v8, vcc_lo
	global_load_b128 v[1:4], v[1:2], off
	s_waitcnt vmcnt(0)
	v_mov_b32_e32 v2, 0
	v_subrev_nc_u32_e32 v4, s28, v1
	v_subrev_nc_u32_e32 v11, s28, v3
	v_mov_b32_e32 v3, 0
	s_delay_alu instid0(VALU_DEP_2)
	v_cmpx_lt_i32_e64 v4, v11
	s_cbranch_execz .LBB85_97
; %bb.94:                               ;   in Loop: Header=BB85_93 Depth=1
	v_mov_b32_e32 v3, 0
	v_lshl_add_u32 v1, v1, 3, s4
	s_mov_b32 s5, 0
	s_delay_alu instid0(VALU_DEP_2)
	v_mov_b32_e32 v2, v3
.LBB85_95:                              ;   Parent Loop BB85_93 Depth=1
                                        ; =>  This Inner Loop Header: Depth=2
	ds_load_b64 v[14:15], v1
	v_add_nc_u32_e32 v4, 1, v4
	s_waitcnt lgkmcnt(0)
	v_dual_add_f32 v2, v2, v14 :: v_dual_add_nc_u32 v1, 8, v1
	v_add_f32_e32 v3, v3, v15
	s_delay_alu instid0(VALU_DEP_3) | instskip(SKIP_1) | instid1(SALU_CYCLE_1)
	v_cmp_ge_i32_e32 vcc_lo, v4, v11
	s_or_b32 s5, vcc_lo, s5
	s_and_not1_b32 exec_lo, exec_lo, s5
	s_cbranch_execnz .LBB85_95
; %bb.96:                               ;   in Loop: Header=BB85_93 Depth=1
	s_or_b32 exec_lo, exec_lo, s5
.LBB85_97:                              ;   in Loop: Header=BB85_93 Depth=1
	s_delay_alu instid0(SALU_CYCLE_1)
	s_or_b32 exec_lo, exec_lo, s0
	s_and_saveexec_b32 s0, s3
	s_cbranch_execz .LBB85_92
; %bb.98:                               ;   in Loop: Header=BB85_93 Depth=1
	v_add_co_u32 v11, vcc_lo, s24, v7
	v_add_co_ci_u32_e32 v12, vcc_lo, s25, v8, vcc_lo
	global_load_b64 v[11:12], v[11:12], off
	s_waitcnt vmcnt(0)
	v_fmac_f32_e32 v2, v9, v11
	v_fmac_f32_e32 v3, v10, v11
	s_delay_alu instid0(VALU_DEP_2) | instskip(NEXT) | instid1(VALU_DEP_2)
	v_fma_f32 v2, -v10, v12, v2
	v_fmac_f32_e32 v3, v9, v12
	s_branch .LBB85_92
.LBB85_99:
	s_or_b32 exec_lo, exec_lo, s1
	s_mov_b32 s0, 0
.LBB85_100:
	s_delay_alu instid0(SALU_CYCLE_1)
	s_and_not1_b32 vcc_lo, exec_lo, s0
	s_cbranch_vccnz .LBB85_125
; %bb.101:
	s_clz_i32_u32 s0, s31
	s_mov_b32 s1, exec_lo
	s_xor_b32 s0, s0, 31
	s_delay_alu instid0(SALU_CYCLE_1) | instskip(NEXT) | instid1(VALU_DEP_1)
	v_lshrrev_b32_e32 v5, s0, v0
	v_add_co_u32 v1, s0, s20, v5
	s_delay_alu instid0(VALU_DEP_1) | instskip(SKIP_1) | instid1(SALU_CYCLE_1)
	v_add_co_ci_u32_e64 v2, null, s21, 0, s0
	s_add_i32 s0, s31, -1
	v_dual_mov_b32 v3, 0 :: v_dual_and_b32 v0, s0, v0
	s_delay_alu instid0(VALU_DEP_2) | instskip(NEXT) | instid1(VALU_DEP_2)
	v_cmp_le_i64_e32 vcc_lo, s[22:23], v[1:2]
	v_mov_b32_e32 v4, v3
	v_cmpx_gt_i64_e64 s[22:23], v[1:2]
	s_cbranch_execz .LBB85_107
; %bb.102:
	v_lshlrev_b32_e32 v3, 3, v5
	s_mov_b32 s2, exec_lo
	s_clause 0x1
	global_load_b32 v4, v3, s[26:27]
	global_load_b32 v3, v3, s[26:27] offset:8
	s_waitcnt vmcnt(1)
	v_subrev_nc_u32_e32 v4, s28, v4
	s_waitcnt vmcnt(0)
	v_subrev_nc_u32_e32 v5, s28, v3
	s_delay_alu instid0(VALU_DEP_2) | instskip(SKIP_1) | instid1(VALU_DEP_2)
	v_dual_mov_b32 v3, 0 :: v_dual_add_nc_u32 v6, v0, v4
	v_mov_b32_e32 v4, 0
	v_cmpx_lt_i32_e64 v6, v5
	s_cbranch_execz .LBB85_106
; %bb.103:
	v_dual_mov_b32 v4, 0 :: v_dual_lshlrev_b32 v7, 3, v6
	s_lshl_b32 s4, s31, 3
	s_mov_b32 s3, 0
	s_delay_alu instid0(VALU_DEP_1)
	v_mov_b32_e32 v3, v4
.LBB85_104:                             ; =>This Inner Loop Header: Depth=1
	ds_load_b64 v[11:12], v7
	v_add_nc_u32_e32 v6, s31, v6
	s_waitcnt lgkmcnt(0)
	v_dual_add_f32 v4, v4, v12 :: v_dual_add_nc_u32 v7, s4, v7
	v_add_f32_e32 v3, v3, v11
	s_delay_alu instid0(VALU_DEP_3) | instskip(NEXT) | instid1(VALU_DEP_1)
	v_cmp_ge_i32_e64 s0, v6, v5
	s_or_b32 s3, s0, s3
	s_delay_alu instid0(SALU_CYCLE_1)
	s_and_not1_b32 exec_lo, exec_lo, s3
	s_cbranch_execnz .LBB85_104
; %bb.105:
	s_or_b32 exec_lo, exec_lo, s3
.LBB85_106:
	s_delay_alu instid0(SALU_CYCLE_1)
	s_or_b32 exec_lo, exec_lo, s2
.LBB85_107:
	s_delay_alu instid0(SALU_CYCLE_1)
	s_or_b32 exec_lo, exec_lo, s1
	s_cmpk_lt_i32 s31, 0x81
	s_waitcnt_vscnt null, 0x0
	s_barrier
	buffer_gl0_inv
	ds_store_b64 v13, v[3:4]
	s_waitcnt lgkmcnt(0)
	s_barrier
	buffer_gl0_inv
	s_cbranch_scc1 .LBB85_109
; %bb.108:
	ds_load_b64 v[5:6], v13 offset:1024
	s_waitcnt lgkmcnt(0)
	s_barrier
	buffer_gl0_inv
	v_dual_add_f32 v3, v3, v5 :: v_dual_add_f32 v4, v4, v6
	ds_store_b64 v13, v[3:4]
.LBB85_109:
	s_cmpk_lt_i32 s31, 0x41
	s_waitcnt lgkmcnt(0)
	s_barrier
	buffer_gl0_inv
	s_cbranch_scc1 .LBB85_111
; %bb.110:
	ds_load_b64 v[5:6], v13 offset:512
	s_waitcnt lgkmcnt(0)
	s_barrier
	buffer_gl0_inv
	v_dual_add_f32 v3, v3, v5 :: v_dual_add_f32 v4, v4, v6
	ds_store_b64 v13, v[3:4]
.LBB85_111:
	s_cmp_lt_i32 s31, 33
	s_waitcnt lgkmcnt(0)
	s_barrier
	buffer_gl0_inv
	s_cbranch_scc1 .LBB85_113
; %bb.112:
	ds_load_b64 v[5:6], v13 offset:256
	s_waitcnt lgkmcnt(0)
	s_barrier
	buffer_gl0_inv
	v_dual_add_f32 v3, v3, v5 :: v_dual_add_f32 v4, v4, v6
	ds_store_b64 v13, v[3:4]
.LBB85_113:
	s_cmp_lt_i32 s31, 17
	;; [unrolled: 13-line block ×4, first 2 shown]
	s_waitcnt lgkmcnt(0)
	s_barrier
	buffer_gl0_inv
	s_cbranch_scc1 .LBB85_119
; %bb.118:
	ds_load_b64 v[5:6], v13 offset:32
	s_waitcnt lgkmcnt(0)
	s_barrier
	buffer_gl0_inv
	v_dual_add_f32 v3, v3, v5 :: v_dual_add_f32 v4, v4, v6
	ds_store_b64 v13, v[3:4]
.LBB85_119:
	s_cmp_eq_u32 s31, 2
	s_waitcnt lgkmcnt(0)
	s_barrier
	buffer_gl0_inv
	s_cbranch_scc1 .LBB85_121
; %bb.120:
	ds_load_b64 v[5:6], v13 offset:16
	s_waitcnt lgkmcnt(0)
	s_barrier
	buffer_gl0_inv
	v_dual_add_f32 v3, v3, v5 :: v_dual_add_f32 v4, v4, v6
	ds_store_b64 v13, v[3:4]
.LBB85_121:
	s_waitcnt lgkmcnt(0)
	s_barrier
	buffer_gl0_inv
	ds_load_b64 v[5:6], v13 offset:8
	v_cmp_eq_u32_e64 s0, 0, v0
	s_xor_b32 s1, vcc_lo, -1
	s_waitcnt lgkmcnt(0)
	s_barrier
	buffer_gl0_inv
	s_and_b32 s0, s0, s1
	v_dual_add_f32 v3, v3, v5 :: v_dual_add_f32 v4, v4, v6
	ds_store_b64 v13, v[3:4]
	s_and_b32 exec_lo, exec_lo, s0
	s_cbranch_execz .LBB85_125
; %bb.122:
	v_cmp_neq_f32_e32 vcc_lo, 0, v9
	v_cmp_neq_f32_e64 s0, 0, v10
	v_lshlrev_b64 v[0:1], 3, v[1:2]
	s_delay_alu instid0(VALU_DEP_2) | instskip(NEXT) | instid1(SALU_CYCLE_1)
	s_or_b32 s1, vcc_lo, s0
	s_and_saveexec_b32 s0, s1
	s_cbranch_execz .LBB85_124
; %bb.123:
	s_delay_alu instid0(VALU_DEP_1) | instskip(NEXT) | instid1(VALU_DEP_2)
	v_add_co_u32 v5, vcc_lo, s24, v0
	v_add_co_ci_u32_e32 v6, vcc_lo, s25, v1, vcc_lo
	global_load_b64 v[5:6], v[5:6], off
	s_waitcnt vmcnt(0)
	v_fmac_f32_e32 v3, v9, v5
	v_fmac_f32_e32 v4, v10, v5
	s_delay_alu instid0(VALU_DEP_2) | instskip(NEXT) | instid1(VALU_DEP_2)
	v_fma_f32 v3, -v10, v6, v3
	v_fmac_f32_e32 v4, v9, v6
.LBB85_124:
	s_or_b32 exec_lo, exec_lo, s0
	s_delay_alu instid0(VALU_DEP_1)
	v_add_co_u32 v0, vcc_lo, s24, v0
	v_add_co_ci_u32_e32 v1, vcc_lo, s25, v1, vcc_lo
	global_store_b64 v[0:1], v[3:4], off
.LBB85_125:
	s_nop 0
	s_sendmsg sendmsg(MSG_DEALLOC_VGPRS)
	s_endpgm
	.section	.rodata,"a",@progbits
	.p2align	6, 0x0
	.amdhsa_kernel _ZN9rocsparseL22csrmvn_adaptive_kernelIlif21rocsparse_complex_numIfES2_S2_EEvbT_PKS3_PjPKT0_NS_24const_host_device_scalarIT4_EES5_S9_PKT1_PKT2_SC_PT3_21rocsparse_index_base_b
		.amdhsa_group_segment_fixed_size 8192
		.amdhsa_private_segment_fixed_size 0
		.amdhsa_kernarg_size 104
		.amdhsa_user_sgpr_count 15
		.amdhsa_user_sgpr_dispatch_ptr 0
		.amdhsa_user_sgpr_queue_ptr 0
		.amdhsa_user_sgpr_kernarg_segment_ptr 1
		.amdhsa_user_sgpr_dispatch_id 0
		.amdhsa_user_sgpr_private_segment_size 0
		.amdhsa_wavefront_size32 1
		.amdhsa_uses_dynamic_stack 0
		.amdhsa_enable_private_segment 0
		.amdhsa_system_sgpr_workgroup_id_x 1
		.amdhsa_system_sgpr_workgroup_id_y 0
		.amdhsa_system_sgpr_workgroup_id_z 0
		.amdhsa_system_sgpr_workgroup_info 0
		.amdhsa_system_vgpr_workitem_id 0
		.amdhsa_next_free_vgpr 28
		.amdhsa_next_free_sgpr 50
		.amdhsa_reserve_vcc 1
		.amdhsa_float_round_mode_32 0
		.amdhsa_float_round_mode_16_64 0
		.amdhsa_float_denorm_mode_32 3
		.amdhsa_float_denorm_mode_16_64 3
		.amdhsa_dx10_clamp 1
		.amdhsa_ieee_mode 1
		.amdhsa_fp16_overflow 0
		.amdhsa_workgroup_processor_mode 1
		.amdhsa_memory_ordered 1
		.amdhsa_forward_progress 0
		.amdhsa_shared_vgpr_count 0
		.amdhsa_exception_fp_ieee_invalid_op 0
		.amdhsa_exception_fp_denorm_src 0
		.amdhsa_exception_fp_ieee_div_zero 0
		.amdhsa_exception_fp_ieee_overflow 0
		.amdhsa_exception_fp_ieee_underflow 0
		.amdhsa_exception_fp_ieee_inexact 0
		.amdhsa_exception_int_div_zero 0
	.end_amdhsa_kernel
	.section	.text._ZN9rocsparseL22csrmvn_adaptive_kernelIlif21rocsparse_complex_numIfES2_S2_EEvbT_PKS3_PjPKT0_NS_24const_host_device_scalarIT4_EES5_S9_PKT1_PKT2_SC_PT3_21rocsparse_index_base_b,"axG",@progbits,_ZN9rocsparseL22csrmvn_adaptive_kernelIlif21rocsparse_complex_numIfES2_S2_EEvbT_PKS3_PjPKT0_NS_24const_host_device_scalarIT4_EES5_S9_PKT1_PKT2_SC_PT3_21rocsparse_index_base_b,comdat
.Lfunc_end85:
	.size	_ZN9rocsparseL22csrmvn_adaptive_kernelIlif21rocsparse_complex_numIfES2_S2_EEvbT_PKS3_PjPKT0_NS_24const_host_device_scalarIT4_EES5_S9_PKT1_PKT2_SC_PT3_21rocsparse_index_base_b, .Lfunc_end85-_ZN9rocsparseL22csrmvn_adaptive_kernelIlif21rocsparse_complex_numIfES2_S2_EEvbT_PKS3_PjPKT0_NS_24const_host_device_scalarIT4_EES5_S9_PKT1_PKT2_SC_PT3_21rocsparse_index_base_b
                                        ; -- End function
	.section	.AMDGPU.csdata,"",@progbits
; Kernel info:
; codeLenInByte = 5324
; NumSgprs: 52
; NumVgprs: 28
; ScratchSize: 0
; MemoryBound: 0
; FloatMode: 240
; IeeeMode: 1
; LDSByteSize: 8192 bytes/workgroup (compile time only)
; SGPRBlocks: 6
; VGPRBlocks: 3
; NumSGPRsForWavesPerEU: 52
; NumVGPRsForWavesPerEU: 28
; Occupancy: 16
; WaveLimiterHint : 1
; COMPUTE_PGM_RSRC2:SCRATCH_EN: 0
; COMPUTE_PGM_RSRC2:USER_SGPR: 15
; COMPUTE_PGM_RSRC2:TRAP_HANDLER: 0
; COMPUTE_PGM_RSRC2:TGID_X_EN: 1
; COMPUTE_PGM_RSRC2:TGID_Y_EN: 0
; COMPUTE_PGM_RSRC2:TGID_Z_EN: 0
; COMPUTE_PGM_RSRC2:TIDIG_COMP_CNT: 0
	.section	.text._ZN9rocsparseL27csrmvn_symm_adaptive_kernelIlif21rocsparse_complex_numIfES2_S2_EEvbT_S3_PKS3_NS_24const_host_device_scalarIT4_EES5_PKT0_PKT1_PKT2_S8_PT3_21rocsparse_index_base_b,"axG",@progbits,_ZN9rocsparseL27csrmvn_symm_adaptive_kernelIlif21rocsparse_complex_numIfES2_S2_EEvbT_S3_PKS3_NS_24const_host_device_scalarIT4_EES5_PKT0_PKT1_PKT2_S8_PT3_21rocsparse_index_base_b,comdat
	.globl	_ZN9rocsparseL27csrmvn_symm_adaptive_kernelIlif21rocsparse_complex_numIfES2_S2_EEvbT_S3_PKS3_NS_24const_host_device_scalarIT4_EES5_PKT0_PKT1_PKT2_S8_PT3_21rocsparse_index_base_b ; -- Begin function _ZN9rocsparseL27csrmvn_symm_adaptive_kernelIlif21rocsparse_complex_numIfES2_S2_EEvbT_S3_PKS3_NS_24const_host_device_scalarIT4_EES5_PKT0_PKT1_PKT2_S8_PT3_21rocsparse_index_base_b
	.p2align	8
	.type	_ZN9rocsparseL27csrmvn_symm_adaptive_kernelIlif21rocsparse_complex_numIfES2_S2_EEvbT_S3_PKS3_NS_24const_host_device_scalarIT4_EES5_PKT0_PKT1_PKT2_S8_PT3_21rocsparse_index_base_b,@function
_ZN9rocsparseL27csrmvn_symm_adaptive_kernelIlif21rocsparse_complex_numIfES2_S2_EEvbT_S3_PKS3_NS_24const_host_device_scalarIT4_EES5_PKT0_PKT1_PKT2_S8_PT3_21rocsparse_index_base_b: ; @_ZN9rocsparseL27csrmvn_symm_adaptive_kernelIlif21rocsparse_complex_numIfES2_S2_EEvbT_S3_PKS3_NS_24const_host_device_scalarIT4_EES5_PKT0_PKT1_PKT2_S8_PT3_21rocsparse_index_base_b
; %bb.0:
	s_clause 0x2
	s_load_b64 s[24:25], s[0:1], 0x58
	s_load_b64 s[6:7], s[0:1], 0x20
	;; [unrolled: 1-line block ×3, first 2 shown]
	s_mov_b32 s4, s15
	s_waitcnt lgkmcnt(0)
	s_bitcmp1_b32 s25, 0
	v_mov_b32_e32 v11, s6
	s_cselect_b32 s5, -1, 0
	s_delay_alu instid0(SALU_CYCLE_1)
	s_and_b32 vcc_lo, exec_lo, s5
	s_xor_b32 s5, s5, -1
	s_cbranch_vccz .LBB86_11
; %bb.1:
	v_cndmask_b32_e64 v2, 0, 1, s5
	v_mov_b32_e32 v12, s7
	s_and_not1_b32 vcc_lo, exec_lo, s5
	s_cbranch_vccz .LBB86_12
.LBB86_2:
	s_delay_alu instid0(VALU_DEP_2)
	v_cmp_ne_u32_e32 vcc_lo, 1, v2
	v_mov_b32_e32 v1, s2
	s_cbranch_vccz .LBB86_13
.LBB86_3:
	v_cmp_ne_u32_e32 vcc_lo, 1, v2
	v_mov_b32_e32 v2, s3
	s_cbranch_vccnz .LBB86_5
.LBB86_4:
	v_dual_mov_b32 v2, s2 :: v_dual_mov_b32 v3, s3
	flat_load_b32 v2, v[2:3] offset:4
.LBB86_5:
	s_waitcnt vmcnt(0) lgkmcnt(0)
	v_cmp_eq_f32_e32 vcc_lo, 0, v11
	v_cmp_eq_f32_e64 s2, 0, v12
	s_delay_alu instid0(VALU_DEP_1)
	s_and_b32 s5, vcc_lo, s2
	s_mov_b32 s2, -1
	s_and_saveexec_b32 s3, s5
; %bb.6:
	v_and_b32_e32 v2, 0x7fffffff, v2
	v_cmp_neq_f32_e32 vcc_lo, 1.0, v1
	s_delay_alu instid0(VALU_DEP_2) | instskip(NEXT) | instid1(VALU_DEP_1)
	v_cmp_ne_u32_e64 s2, 0, v2
	s_or_b32 s2, vcc_lo, s2
	s_delay_alu instid0(SALU_CYCLE_1)
	s_or_not1_b32 s2, s2, exec_lo
; %bb.7:
	s_or_b32 exec_lo, exec_lo, s3
	s_and_saveexec_b32 s3, s2
	s_cbranch_execz .LBB86_200
; %bb.8:
	s_load_b64 s[2:3], s[0:1], 0x18
	s_mov_b32 s6, 0
	s_ashr_i32 s5, s4, 31
	s_mov_b32 s7, s6
	v_dual_mov_b32 v1, s6 :: v_dual_lshlrev_b32 v18, 3, v0
	v_mov_b32_e32 v2, s7
	s_lshl_b64 s[4:5], s[4:5], 3
	ds_store_2addr_stride64_b64 v18, v[1:2], v[1:2] offset1:4
	ds_store_2addr_stride64_b64 v18, v[1:2], v[1:2] offset0:8 offset1:12
	s_waitcnt lgkmcnt(0)
	s_barrier
	buffer_gl0_inv
	s_add_u32 s2, s2, s4
	s_addc_u32 s3, s3, s5
	s_load_b128 s[16:19], s[2:3], 0x0
	s_clause 0x1
	s_load_b256 s[8:15], s[0:1], 0x28
	s_load_b64 s[20:21], s[0:1], 0x50
	s_waitcnt lgkmcnt(0)
	s_sub_u32 s22, s18, s16
	s_subb_u32 s23, s19, s17
	s_delay_alu instid0(SALU_CYCLE_1) | instskip(NEXT) | instid1(VALU_DEP_1)
	v_cmp_gt_i64_e64 s2, s[22:23], 2
	s_and_b32 vcc_lo, exec_lo, s2
	s_mov_b32 s2, -1
	s_cbranch_vccnz .LBB86_57
; %bb.9:
	v_cmp_gt_i64_e64 s2, s[18:19], s[16:17]
	v_sub_co_u32 v9, s3, v0, s24
	s_delay_alu instid0(VALU_DEP_1) | instskip(NEXT) | instid1(VALU_DEP_3)
	v_sub_co_ci_u32_e64 v10, null, 0, 0, s3
	s_and_b32 vcc_lo, exec_lo, s2
	s_cbranch_vccnz .LBB86_14
; %bb.10:
	s_lshl_b64 s[2:3], s[16:17], 3
	s_delay_alu instid0(SALU_CYCLE_1)
	s_add_u32 s2, s8, s2
	s_addc_u32 s3, s9, s3
	s_load_b64 s[26:27], s[2:3], 0x0
	s_cbranch_execz .LBB86_15
	s_branch .LBB86_44
.LBB86_11:
	v_dual_mov_b32 v1, s6 :: v_dual_mov_b32 v2, s7
	flat_load_b32 v11, v[1:2]
	v_cndmask_b32_e64 v2, 0, 1, s5
	v_mov_b32_e32 v12, s7
	s_and_not1_b32 vcc_lo, exec_lo, s5
	s_cbranch_vccnz .LBB86_2
.LBB86_12:
	v_dual_mov_b32 v3, s6 :: v_dual_mov_b32 v4, s7
	flat_load_b32 v12, v[3:4] offset:4
	v_cmp_ne_u32_e32 vcc_lo, 1, v2
	v_mov_b32_e32 v1, s2
	s_cbranch_vccnz .LBB86_3
.LBB86_13:
	v_dual_mov_b32 v4, s3 :: v_dual_mov_b32 v3, s2
	flat_load_b32 v1, v[3:4]
	v_cmp_ne_u32_e32 vcc_lo, 1, v2
	v_mov_b32_e32 v2, s3
	s_cbranch_vccz .LBB86_4
	s_branch .LBB86_5
.LBB86_14:
                                        ; implicit-def: $sgpr26_sgpr27
.LBB86_15:
	s_lshl_b64 s[2:3], s[16:17], 3
	v_cmp_gt_u32_e64 s4, 16, v0
	s_add_u32 s2, s8, s2
	s_addc_u32 s3, s9, s3
	v_cmp_gt_u32_e64 s5, 4, v0
	s_waitcnt lgkmcnt(0)
	s_load_b64 s[26:27], s[2:3], 0x0
	v_cmp_gt_u32_e64 s2, 0x100, v0
	v_cmp_gt_u32_e64 s3, 64, v0
	v_cmp_eq_u32_e64 s6, 0, v0
	v_mov_b32_e32 v13, 0
	s_add_u32 s25, s8, 8
	s_addc_u32 s33, s9, 0
	s_mov_b64 s[28:29], s[16:17]
	s_waitcnt lgkmcnt(0)
	s_mov_b64 s[30:31], s[26:27]
	s_branch .LBB86_17
.LBB86_16:                              ;   in Loop: Header=BB86_17 Depth=1
	s_or_b32 exec_lo, exec_lo, s7
	s_add_u32 s28, s28, 1
	s_addc_u32 s29, s29, 0
	s_delay_alu instid0(SALU_CYCLE_1) | instskip(NEXT) | instid1(VALU_DEP_1)
	v_cmp_ge_i64_e64 s7, s[28:29], s[18:19]
	s_and_b32 vcc_lo, exec_lo, s7
	s_cbranch_vccnz .LBB86_44
.LBB86_17:                              ; =>This Loop Header: Depth=1
                                        ;     Child Loop BB86_19 Depth 2
                                        ;     Child Loop BB86_33 Depth 2
                                        ;     Child Loop BB86_36 Depth 2
                                        ;     Child Loop BB86_39 Depth 2
                                        ;     Child Loop BB86_42 Depth 2
	s_lshl_b64 s[34:35], s[28:29], 3
	s_mov_b64 s[38:39], s[30:31]
	s_add_u32 s36, s25, s34
	s_addc_u32 s37, s33, s35
	v_add_co_u32 v1, vcc_lo, s38, v9
	s_load_b64 s[30:31], s[36:37], 0x0
	v_add_co_ci_u32_e32 v2, vcc_lo, s39, v10, vcc_lo
	v_dual_mov_b32 v4, 0 :: v_dual_mov_b32 v3, 0
	s_mov_b32 s38, exec_lo
	s_waitcnt lgkmcnt(0)
	s_sub_u32 s36, s30, s24
	s_subb_u32 s37, s31, 0
	s_delay_alu instid0(SALU_CYCLE_1)
	v_cmpx_gt_i64_e64 s[36:37], v[1:2]
	s_cbranch_execz .LBB86_21
; %bb.18:                               ;   in Loop: Header=BB86_17 Depth=1
	v_lshlrev_b64 v[7:8], 2, v[1:2]
	v_mov_b32_e32 v4, 0
	s_mov_b32 s39, 0
	s_delay_alu instid0(VALU_DEP_1) | instskip(NEXT) | instid1(VALU_DEP_3)
	v_mov_b32_e32 v3, v4
	v_add_co_u32 v5, vcc_lo, s10, v7
	s_delay_alu instid0(VALU_DEP_4)
	v_add_co_ci_u32_e32 v6, vcc_lo, s11, v8, vcc_lo
	v_add_co_u32 v7, vcc_lo, s12, v7
	v_add_co_ci_u32_e32 v8, vcc_lo, s13, v8, vcc_lo
	s_set_inst_prefetch_distance 0x1
	.p2align	6
.LBB86_19:                              ;   Parent Loop BB86_17 Depth=1
                                        ; =>  This Inner Loop Header: Depth=2
	global_load_b32 v14, v[5:6], off
	s_waitcnt vmcnt(0)
	v_subrev_nc_u32_e32 v14, s24, v14
	s_delay_alu instid0(VALU_DEP_1) | instskip(NEXT) | instid1(VALU_DEP_1)
	v_ashrrev_i32_e32 v15, 31, v14
	v_lshlrev_b64 v[14:15], 3, v[14:15]
	s_delay_alu instid0(VALU_DEP_1) | instskip(NEXT) | instid1(VALU_DEP_2)
	v_add_co_u32 v14, vcc_lo, s14, v14
	v_add_co_ci_u32_e32 v15, vcc_lo, s15, v15, vcc_lo
	v_add_co_u32 v1, vcc_lo, 0x100, v1
	global_load_b32 v16, v[7:8], off
	global_load_b64 v[14:15], v[14:15], off
	v_add_co_ci_u32_e32 v2, vcc_lo, 0, v2, vcc_lo
	v_add_co_u32 v5, vcc_lo, 0x400, v5
	v_add_co_ci_u32_e32 v6, vcc_lo, 0, v6, vcc_lo
	s_delay_alu instid0(VALU_DEP_3) | instskip(SKIP_2) | instid1(VALU_DEP_3)
	v_cmp_le_i64_e64 s7, s[36:37], v[1:2]
	v_add_co_u32 v7, vcc_lo, 0x400, v7
	v_add_co_ci_u32_e32 v8, vcc_lo, 0, v8, vcc_lo
	s_or_b32 s39, s7, s39
	s_waitcnt vmcnt(0)
	v_fmac_f32_e32 v3, v16, v14
	s_delay_alu instid0(VALU_DEP_1) | instskip(NEXT) | instid1(VALU_DEP_1)
	v_dual_fmac_f32 v4, 0, v14 :: v_dual_fmac_f32 v3, 0x80000000, v15
	v_fmac_f32_e32 v4, v16, v15
	s_and_not1_b32 exec_lo, exec_lo, s39
	s_cbranch_execnz .LBB86_19
; %bb.20:                               ;   in Loop: Header=BB86_17 Depth=1
	s_set_inst_prefetch_distance 0x2
	s_or_b32 exec_lo, exec_lo, s39
.LBB86_21:                              ;   in Loop: Header=BB86_17 Depth=1
	s_delay_alu instid0(SALU_CYCLE_1)
	s_or_b32 exec_lo, exec_lo, s38
	ds_store_b64 v18, v[3:4]
	s_waitcnt lgkmcnt(0)
	s_barrier
	buffer_gl0_inv
	s_and_saveexec_b32 s7, s2
	s_cbranch_execz .LBB86_23
; %bb.22:                               ;   in Loop: Header=BB86_17 Depth=1
	ds_load_2addr_stride64_b64 v[1:4], v18 offset1:4
	ds_load_2addr_stride64_b64 v[5:8], v18 offset0:8 offset1:12
	s_waitcnt lgkmcnt(0)
	v_dual_add_f32 v3, v5, v3 :: v_dual_add_f32 v4, v6, v4
	s_delay_alu instid0(VALU_DEP_1) | instskip(NEXT) | instid1(VALU_DEP_1)
	v_dual_add_f32 v3, v3, v7 :: v_dual_add_f32 v4, v4, v8
	v_dual_add_f32 v1, v3, v1 :: v_dual_add_f32 v2, v4, v2
	ds_store_b64 v18, v[1:2]
.LBB86_23:                              ;   in Loop: Header=BB86_17 Depth=1
	s_or_b32 exec_lo, exec_lo, s7
	s_waitcnt lgkmcnt(0)
	s_barrier
	buffer_gl0_inv
	s_and_saveexec_b32 s7, s3
	s_cbranch_execz .LBB86_25
; %bb.24:                               ;   in Loop: Header=BB86_17 Depth=1
	ds_load_2addr_stride64_b64 v[1:4], v18 offset1:1
	ds_load_2addr_stride64_b64 v[5:8], v18 offset0:2 offset1:3
	s_waitcnt lgkmcnt(0)
	v_dual_add_f32 v3, v5, v3 :: v_dual_add_f32 v4, v6, v4
	s_delay_alu instid0(VALU_DEP_1) | instskip(NEXT) | instid1(VALU_DEP_1)
	v_dual_add_f32 v3, v3, v7 :: v_dual_add_f32 v4, v4, v8
	v_dual_add_f32 v1, v3, v1 :: v_dual_add_f32 v2, v4, v2
	ds_store_b64 v18, v[1:2]
.LBB86_25:                              ;   in Loop: Header=BB86_17 Depth=1
	s_or_b32 exec_lo, exec_lo, s7
	s_waitcnt lgkmcnt(0)
	s_barrier
	buffer_gl0_inv
	s_and_saveexec_b32 s7, s4
	s_cbranch_execz .LBB86_27
; %bb.26:                               ;   in Loop: Header=BB86_17 Depth=1
	ds_load_2addr_b64 v[1:4], v18 offset1:16
	ds_load_2addr_b64 v[5:8], v18 offset0:32 offset1:48
	s_waitcnt lgkmcnt(0)
	v_dual_add_f32 v3, v5, v3 :: v_dual_add_f32 v4, v6, v4
	s_delay_alu instid0(VALU_DEP_1) | instskip(NEXT) | instid1(VALU_DEP_1)
	v_dual_add_f32 v3, v3, v7 :: v_dual_add_f32 v4, v4, v8
	v_dual_add_f32 v1, v3, v1 :: v_dual_add_f32 v2, v4, v2
	ds_store_b64 v18, v[1:2]
.LBB86_27:                              ;   in Loop: Header=BB86_17 Depth=1
	s_or_b32 exec_lo, exec_lo, s7
	s_waitcnt lgkmcnt(0)
	s_barrier
	buffer_gl0_inv
	s_and_saveexec_b32 s7, s5
	s_cbranch_execz .LBB86_29
; %bb.28:                               ;   in Loop: Header=BB86_17 Depth=1
	ds_load_2addr_b64 v[1:4], v18 offset1:4
	ds_load_2addr_b64 v[5:8], v18 offset0:8 offset1:12
	s_waitcnt lgkmcnt(0)
	v_dual_add_f32 v3, v5, v3 :: v_dual_add_f32 v4, v6, v4
	s_delay_alu instid0(VALU_DEP_1) | instskip(NEXT) | instid1(VALU_DEP_1)
	v_dual_add_f32 v3, v3, v7 :: v_dual_add_f32 v4, v4, v8
	v_dual_add_f32 v1, v3, v1 :: v_dual_add_f32 v2, v4, v2
	ds_store_b64 v18, v[1:2]
.LBB86_29:                              ;   in Loop: Header=BB86_17 Depth=1
	s_or_b32 exec_lo, exec_lo, s7
	s_waitcnt lgkmcnt(0)
	s_barrier
	buffer_gl0_inv
	s_and_saveexec_b32 s7, s6
	s_cbranch_execz .LBB86_31
; %bb.30:                               ;   in Loop: Header=BB86_17 Depth=1
	ds_load_b128 v[1:4], v13 offset:16
	ds_load_b64 v[5:6], v13 offset:8
	ds_load_b64 v[7:8], v18
	s_waitcnt lgkmcnt(1)
	v_dual_add_f32 v1, v1, v5 :: v_dual_add_f32 v2, v2, v6
	s_delay_alu instid0(VALU_DEP_1) | instskip(SKIP_1) | instid1(VALU_DEP_1)
	v_dual_add_f32 v1, v1, v3 :: v_dual_add_f32 v2, v2, v4
	s_waitcnt lgkmcnt(0)
	v_dual_add_f32 v1, v1, v7 :: v_dual_add_f32 v2, v2, v8
	ds_store_b64 v18, v[1:2]
.LBB86_31:                              ;   in Loop: Header=BB86_17 Depth=1
	s_or_b32 exec_lo, exec_lo, s7
	s_waitcnt lgkmcnt(0)
	s_barrier
	buffer_gl0_inv
	s_and_saveexec_b32 s7, s6
	s_cbranch_execz .LBB86_16
; %bb.32:                               ;   in Loop: Header=BB86_17 Depth=1
	ds_load_b64 v[1:2], v13
	v_bfrev_b32_e32 v5, 1
	s_mov_b32 s36, exec_lo
	s_waitcnt lgkmcnt(0)
	v_mul_f32_e64 v3, v2, -v12
	s_delay_alu instid0(VALU_DEP_1)
	v_fmac_f32_e32 v3, v11, v1
.LBB86_33:                              ;   Parent Loop BB86_17 Depth=1
                                        ; =>  This Inner Loop Header: Depth=2
	s_ctz_i32_b32 s37, s36
	s_delay_alu instid0(VALU_DEP_1) | instid1(SALU_CYCLE_1)
	v_readlane_b32 s38, v3, s37
	s_lshl_b32 s37, 1, s37
	s_delay_alu instid0(SALU_CYCLE_1) | instskip(NEXT) | instid1(SALU_CYCLE_1)
	s_and_not1_b32 s36, s36, s37
	s_cmp_lg_u32 s36, 0
	s_delay_alu instid0(VALU_DEP_1)
	v_add_f32_e32 v5, s38, v5
	s_cbranch_scc1 .LBB86_33
; %bb.34:                               ;   in Loop: Header=BB86_17 Depth=1
	v_mbcnt_lo_u32_b32 v3, exec_lo, 0
	s_add_u32 s34, s20, s34
	s_addc_u32 s35, s21, s35
	s_mov_b32 s36, exec_lo
	s_delay_alu instid0(VALU_DEP_1)
	v_cmpx_eq_u32_e32 0, v3
	s_xor_b32 s36, exec_lo, s36
	s_cbranch_execz .LBB86_38
; %bb.35:                               ;   in Loop: Header=BB86_17 Depth=1
	global_load_b32 v4, v13, s[34:35]
	s_mov_b32 s37, 0
.LBB86_36:                              ;   Parent Loop BB86_17 Depth=1
                                        ; =>  This Inner Loop Header: Depth=2
	s_waitcnt vmcnt(0)
	v_add_f32_e32 v3, v4, v5
	global_atomic_cmpswap_b32 v3, v13, v[3:4], s[34:35] glc
	s_waitcnt vmcnt(0)
	v_cmp_eq_u32_e32 vcc_lo, v3, v4
	v_mov_b32_e32 v4, v3
	s_or_b32 s37, vcc_lo, s37
	s_delay_alu instid0(SALU_CYCLE_1)
	s_and_not1_b32 exec_lo, exec_lo, s37
	s_cbranch_execnz .LBB86_36
; %bb.37:                               ;   in Loop: Header=BB86_17 Depth=1
	s_or_b32 exec_lo, exec_lo, s37
.LBB86_38:                              ;   in Loop: Header=BB86_17 Depth=1
	s_delay_alu instid0(SALU_CYCLE_1) | instskip(SKIP_3) | instid1(VALU_DEP_2)
	s_or_b32 exec_lo, exec_lo, s36
	v_mul_f32_e32 v2, v2, v11
	v_bfrev_b32_e32 v3, 1
	s_mov_b32 s36, exec_lo
	v_fmac_f32_e32 v2, v12, v1
.LBB86_39:                              ;   Parent Loop BB86_17 Depth=1
                                        ; =>  This Inner Loop Header: Depth=2
	s_ctz_i32_b32 s37, s36
	s_delay_alu instid0(VALU_DEP_1) | instid1(SALU_CYCLE_1)
	v_readlane_b32 s38, v2, s37
	s_lshl_b32 s37, 1, s37
	s_delay_alu instid0(SALU_CYCLE_1) | instskip(NEXT) | instid1(SALU_CYCLE_1)
	s_and_not1_b32 s36, s36, s37
	s_cmp_lg_u32 s36, 0
	s_delay_alu instid0(VALU_DEP_1)
	v_add_f32_e32 v3, s38, v3
	s_cbranch_scc1 .LBB86_39
; %bb.40:                               ;   in Loop: Header=BB86_17 Depth=1
	v_mbcnt_lo_u32_b32 v1, exec_lo, 0
	s_mov_b32 s36, exec_lo
	s_delay_alu instid0(VALU_DEP_1)
	v_cmpx_eq_u32_e32 0, v1
	s_xor_b32 s36, exec_lo, s36
	s_cbranch_execz .LBB86_16
; %bb.41:                               ;   in Loop: Header=BB86_17 Depth=1
	global_load_b32 v2, v13, s[34:35] offset:4
	s_mov_b32 s36, 0
.LBB86_42:                              ;   Parent Loop BB86_17 Depth=1
                                        ; =>  This Inner Loop Header: Depth=2
	s_waitcnt vmcnt(0)
	v_add_f32_e32 v1, v2, v3
	global_atomic_cmpswap_b32 v1, v13, v[1:2], s[34:35] offset:4 glc
	s_waitcnt vmcnt(0)
	v_cmp_eq_u32_e32 vcc_lo, v1, v2
	v_mov_b32_e32 v2, v1
	s_or_b32 s36, vcc_lo, s36
	s_delay_alu instid0(SALU_CYCLE_1)
	s_and_not1_b32 exec_lo, exec_lo, s36
	s_cbranch_execnz .LBB86_42
; %bb.43:                               ;   in Loop: Header=BB86_17 Depth=1
	s_or_b32 exec_lo, exec_lo, s36
	s_branch .LBB86_16
.LBB86_44:
	s_lshl_b64 s[2:3], s[18:19], 3
	s_waitcnt lgkmcnt(0)
	v_add_co_u32 v1, vcc_lo, s26, v9
	s_add_u32 s2, s8, s2
	s_addc_u32 s3, s9, s3
	v_add_co_ci_u32_e32 v2, vcc_lo, s27, v10, vcc_lo
	s_load_b64 s[2:3], s[2:3], 0x0
	s_waitcnt lgkmcnt(0)
	s_sub_u32 s4, s2, s24
	s_subb_u32 s5, s3, 0
	s_mov_b32 s3, exec_lo
	v_cmpx_gt_i64_e64 s[4:5], v[1:2]
	s_cbranch_execz .LBB86_56
; %bb.45:
	s_add_u32 s6, s18, -1
	s_addc_u32 s7, s19, -1
	s_add_u32 s26, s18, -2
	v_cmp_gt_i64_e64 s2, s[6:7], s[16:17]
	s_addc_u32 s27, s19, -1
	v_dual_mul_f32 v13, 0x80000000, v12 :: v_dual_mul_f32 v14, 0, v11
	s_cmp_lg_u64 s[26:27], s[16:17]
	s_mov_b32 s26, 0
	s_cselect_b32 s25, -1, 0
	s_delay_alu instid0(SALU_CYCLE_1)
	s_and_b32 s25, s2, s25
	s_branch .LBB86_47
.LBB86_46:                              ;   in Loop: Header=BB86_47 Depth=1
	s_or_b32 exec_lo, exec_lo, s2
	v_add_co_u32 v1, vcc_lo, 0x100, v1
	v_add_co_ci_u32_e32 v2, vcc_lo, 0, v2, vcc_lo
	s_delay_alu instid0(VALU_DEP_1) | instskip(SKIP_1) | instid1(SALU_CYCLE_1)
	v_cmp_le_i64_e32 vcc_lo, s[4:5], v[1:2]
	s_or_b32 s26, vcc_lo, s26
	s_and_not1_b32 exec_lo, exec_lo, s26
	s_cbranch_execz .LBB86_56
.LBB86_47:                              ; =>This Loop Header: Depth=1
                                        ;     Child Loop BB86_49 Depth 2
                                        ;     Child Loop BB86_53 Depth 2
	;; [unrolled: 1-line block ×3, first 2 shown]
	v_dual_mov_b32 v3, s16 :: v_dual_mov_b32 v4, s17
	v_dual_mov_b32 v5, s6 :: v_dual_mov_b32 v6, s7
	s_and_not1_b32 vcc_lo, exec_lo, s25
	s_cbranch_vccnz .LBB86_51
; %bb.48:                               ;   in Loop: Header=BB86_47 Depth=1
	v_dual_mov_b32 v3, s16 :: v_dual_mov_b32 v4, s17
	v_dual_mov_b32 v5, s6 :: v_dual_mov_b32 v6, s7
	s_mov_b32 s27, 0
	s_set_inst_prefetch_distance 0x1
	.p2align	6
.LBB86_49:                              ;   Parent Loop BB86_47 Depth=1
                                        ; =>  This Inner Loop Header: Depth=2
	s_delay_alu instid0(VALU_DEP_1) | instskip(NEXT) | instid1(VALU_DEP_2)
	v_add_co_u32 v7, vcc_lo, v5, v3
	v_add_co_ci_u32_e32 v8, vcc_lo, v6, v4, vcc_lo
	s_delay_alu instid0(VALU_DEP_1) | instskip(NEXT) | instid1(VALU_DEP_1)
	v_lshrrev_b32_e32 v9, 31, v8
	v_add_co_u32 v7, vcc_lo, v7, v9
	v_add_co_ci_u32_e32 v8, vcc_lo, 0, v8, vcc_lo
	s_delay_alu instid0(VALU_DEP_1) | instskip(NEXT) | instid1(VALU_DEP_1)
	v_ashrrev_i64 v[7:8], 1, v[7:8]
	v_lshlrev_b64 v[9:10], 3, v[7:8]
	s_delay_alu instid0(VALU_DEP_1) | instskip(NEXT) | instid1(VALU_DEP_2)
	v_add_co_u32 v9, vcc_lo, s8, v9
	v_add_co_ci_u32_e32 v10, vcc_lo, s9, v10, vcc_lo
	global_load_b64 v[9:10], v[9:10], off
	s_waitcnt vmcnt(0)
	v_sub_co_u32 v9, vcc_lo, v9, s24
	v_subrev_co_ci_u32_e32 v10, vcc_lo, 0, v10, vcc_lo
	s_delay_alu instid0(VALU_DEP_1) | instskip(SKIP_2) | instid1(VALU_DEP_2)
	v_cmp_gt_i64_e32 vcc_lo, v[9:10], v[1:2]
	v_dual_cndmask_b32 v6, v6, v8 :: v_dual_cndmask_b32 v5, v5, v7
	v_dual_cndmask_b32 v4, v8, v4 :: v_dual_cndmask_b32 v3, v7, v3
	v_add_co_u32 v7, vcc_lo, v5, -1
	s_delay_alu instid0(VALU_DEP_3) | instskip(NEXT) | instid1(VALU_DEP_3)
	v_add_co_ci_u32_e32 v8, vcc_lo, -1, v6, vcc_lo
	v_cmp_ge_i64_e32 vcc_lo, v[3:4], v[5:6]
	s_delay_alu instid0(VALU_DEP_2) | instskip(NEXT) | instid1(VALU_DEP_1)
	v_cmp_eq_u64_e64 s2, v[3:4], v[7:8]
	s_or_b32 s2, vcc_lo, s2
	s_delay_alu instid0(SALU_CYCLE_1) | instskip(NEXT) | instid1(SALU_CYCLE_1)
	s_and_b32 s2, exec_lo, s2
	s_or_b32 s27, s2, s27
	s_delay_alu instid0(SALU_CYCLE_1)
	s_and_not1_b32 exec_lo, exec_lo, s27
	s_cbranch_execnz .LBB86_49
; %bb.50:                               ;   in Loop: Header=BB86_47 Depth=1
	s_set_inst_prefetch_distance 0x2
	s_or_b32 exec_lo, exec_lo, s27
.LBB86_51:                              ;   in Loop: Header=BB86_47 Depth=1
	s_delay_alu instid0(VALU_DEP_1) | instskip(SKIP_1) | instid1(VALU_DEP_1)
	v_lshlrev_b64 v[7:8], 3, v[5:6]
	s_mov_b32 s2, exec_lo
	v_add_co_u32 v9, vcc_lo, s8, v7
	s_delay_alu instid0(VALU_DEP_2)
	v_add_co_ci_u32_e32 v10, vcc_lo, s9, v8, vcc_lo
	v_lshlrev_b64 v[7:8], 2, v[1:2]
	global_load_b64 v[9:10], v[9:10], off
	v_add_co_u32 v15, vcc_lo, s10, v7
	v_add_co_ci_u32_e32 v16, vcc_lo, s11, v8, vcc_lo
	global_load_b32 v15, v[15:16], off
	s_waitcnt vmcnt(1)
	v_sub_co_u32 v9, vcc_lo, v9, s24
	v_subrev_co_ci_u32_e32 v10, vcc_lo, 0, v10, vcc_lo
	s_delay_alu instid0(VALU_DEP_1) | instskip(SKIP_3) | instid1(VALU_DEP_2)
	v_cmp_gt_i64_e32 vcc_lo, v[9:10], v[1:2]
	s_waitcnt vmcnt(0)
	v_subrev_nc_u32_e32 v9, s24, v15
	v_dual_cndmask_b32 v4, v6, v4 :: v_dual_cndmask_b32 v3, v5, v3
	v_ashrrev_i32_e32 v10, 31, v9
	s_delay_alu instid0(VALU_DEP_1)
	v_cmpx_ne_u64_e64 v[3:4], v[9:10]
	s_cbranch_execz .LBB86_46
; %bb.52:                               ;   in Loop: Header=BB86_47 Depth=1
	v_lshlrev_b64 v[3:4], 3, v[3:4]
	v_add_co_u32 v5, vcc_lo, s12, v7
	v_add_co_ci_u32_e32 v6, vcc_lo, s13, v8, vcc_lo
	v_lshlrev_b64 v[7:8], 3, v[9:10]
	s_delay_alu instid0(VALU_DEP_4)
	v_add_co_u32 v3, vcc_lo, s14, v3
	global_load_b32 v15, v[5:6], off
	v_add_co_ci_u32_e32 v4, vcc_lo, s15, v4, vcc_lo
	s_mov_b32 s27, 0
	global_load_b64 v[5:6], v[3:4], off
	v_add_co_u32 v3, vcc_lo, s20, v7
	v_add_co_ci_u32_e32 v4, vcc_lo, s21, v8, vcc_lo
	global_load_b32 v8, v[3:4], off
	s_waitcnt vmcnt(2)
	v_fma_f32 v9, v12, v15, v14
	v_fma_f32 v10, v11, v15, v13
	s_waitcnt vmcnt(1)
	s_delay_alu instid0(VALU_DEP_2) | instskip(NEXT) | instid1(VALU_DEP_1)
	v_mul_f32_e64 v15, v6, -v9
	v_fmac_f32_e32 v15, v10, v5
.LBB86_53:                              ;   Parent Loop BB86_47 Depth=1
                                        ; =>  This Inner Loop Header: Depth=2
	s_waitcnt vmcnt(0)
	s_delay_alu instid0(VALU_DEP_1)
	v_add_f32_e32 v7, v8, v15
	global_atomic_cmpswap_b32 v7, v[3:4], v[7:8], off glc
	s_waitcnt vmcnt(0)
	v_cmp_eq_u32_e32 vcc_lo, v7, v8
	v_mov_b32_e32 v8, v7
	s_or_b32 s27, vcc_lo, s27
	s_delay_alu instid0(SALU_CYCLE_1)
	s_and_not1_b32 exec_lo, exec_lo, s27
	s_cbranch_execnz .LBB86_53
; %bb.54:                               ;   in Loop: Header=BB86_47 Depth=1
	s_or_b32 exec_lo, exec_lo, s27
	global_load_b32 v7, v[3:4], off offset:4
	v_mul_f32_e32 v8, v10, v6
	s_mov_b32 s27, 0
	s_delay_alu instid0(VALU_DEP_1)
	v_fmac_f32_e32 v8, v9, v5
.LBB86_55:                              ;   Parent Loop BB86_47 Depth=1
                                        ; =>  This Inner Loop Header: Depth=2
	s_waitcnt vmcnt(0)
	s_delay_alu instid0(VALU_DEP_1)
	v_add_f32_e32 v6, v7, v8
	global_atomic_cmpswap_b32 v5, v[3:4], v[6:7], off offset:4 glc
	s_waitcnt vmcnt(0)
	v_cmp_eq_u32_e32 vcc_lo, v5, v7
	v_mov_b32_e32 v7, v5
	s_or_b32 s27, vcc_lo, s27
	s_delay_alu instid0(SALU_CYCLE_1)
	s_and_not1_b32 exec_lo, exec_lo, s27
	s_cbranch_execnz .LBB86_55
	s_branch .LBB86_46
.LBB86_56:
	s_or_b32 exec_lo, exec_lo, s3
	s_mov_b32 s2, 0
.LBB86_57:
	s_delay_alu instid0(SALU_CYCLE_1)
	s_and_b32 vcc_lo, exec_lo, s2
	s_cbranch_vccz .LBB86_200
; %bb.58:
	s_load_b32 s2, s[0:1], 0x6c
	s_mov_b32 s7, 0
	s_mov_b64 s[28:29], 0
	s_waitcnt lgkmcnt(0)
	s_and_b32 s6, s2, 0xffff
	s_delay_alu instid0(SALU_CYCLE_1) | instskip(NEXT) | instid1(VALU_DEP_1)
	v_cmp_lt_u64_e64 s2, s[6:7], s[22:23]
	s_and_b32 vcc_lo, exec_lo, s2
	s_cbranch_vccnz .LBB86_60
; %bb.59:
	v_cvt_f32_u32_e32 v1, s22
	s_sub_i32 s3, 0, s22
	s_delay_alu instid0(VALU_DEP_1) | instskip(SKIP_2) | instid1(VALU_DEP_1)
	v_rcp_iflag_f32_e32 v1, v1
	s_waitcnt_depctr 0xfff
	v_mul_f32_e32 v1, 0x4f7ffffe, v1
	v_cvt_u32_f32_e32 v1, v1
	s_delay_alu instid0(VALU_DEP_1) | instskip(NEXT) | instid1(VALU_DEP_1)
	v_readfirstlane_b32 s2, v1
	s_mul_i32 s3, s3, s2
	s_delay_alu instid0(SALU_CYCLE_1) | instskip(NEXT) | instid1(SALU_CYCLE_1)
	s_mul_hi_u32 s3, s2, s3
	s_add_i32 s2, s2, s3
	s_delay_alu instid0(SALU_CYCLE_1) | instskip(NEXT) | instid1(SALU_CYCLE_1)
	s_mul_hi_u32 s2, s6, s2
	s_mul_i32 s3, s2, s22
	s_add_i32 s4, s2, 1
	s_sub_i32 s3, s6, s3
	s_delay_alu instid0(SALU_CYCLE_1)
	s_sub_i32 s5, s3, s22
	s_cmp_ge_u32 s3, s22
	s_cselect_b32 s2, s4, s2
	s_cselect_b32 s3, s5, s3
	s_add_i32 s4, s2, 1
	s_cmp_ge_u32 s3, s22
	s_cselect_b32 s28, s4, s2
.LBB86_60:
	s_lshl_b64 s[2:3], s[16:17], 3
	v_sub_co_u32 v1, s7, v0, s24
	s_add_u32 s26, s8, s2
	s_addc_u32 s27, s9, s3
	s_load_b64 s[4:5], s[26:27], 0x0
	s_load_b128 s[0:3], s[0:1], 0x8
	v_sub_co_ci_u32_e64 v3, null, 0, 0, s7
	s_waitcnt lgkmcnt(0)
	v_add_co_u32 v2, vcc_lo, s4, v1
	s_delay_alu instid0(VALU_DEP_2) | instskip(SKIP_1) | instid1(VALU_DEP_3)
	v_add_co_ci_u32_e32 v3, vcc_lo, s5, v3, vcc_lo
	v_mov_b32_e32 v1, 0
	v_add_co_u32 v4, vcc_lo, 0x300, v2
	s_delay_alu instid0(VALU_DEP_3) | instskip(NEXT) | instid1(VALU_DEP_1)
	v_add_co_ci_u32_e32 v5, vcc_lo, 0, v3, vcc_lo
	v_cmp_le_i64_e32 vcc_lo, s[0:1], v[4:5]
	s_and_saveexec_b32 s0, vcc_lo
	s_delay_alu instid0(SALU_CYCLE_1)
	s_xor_b32 s7, exec_lo, s0
	s_cbranch_execnz .LBB86_63
; %bb.61:
	s_or_saveexec_b32 s1, s7
	v_lshlrev_b64 v[6:7], 2, v[2:3]
	s_xor_b32 exec_lo, exec_lo, s1
	s_cbranch_execnz .LBB86_67
.LBB86_62:
	s_or_b32 exec_lo, exec_lo, s1
	s_delay_alu instid0(SALU_CYCLE_1)
	s_mov_b32 s1, exec_lo
	v_cmpx_gt_i64_e64 s[2:3], v[0:1]
	s_cbranch_execnz .LBB86_68
	s_branch .LBB86_70
.LBB86_63:
	s_lshl_b64 s[0:1], s[18:19], 3
	s_mov_b32 s25, exec_lo
	s_add_u32 s0, s8, s0
	s_addc_u32 s1, s9, s1
	s_load_b64 s[0:1], s[0:1], 0x0
	s_waitcnt lgkmcnt(0)
	s_sub_u32 s30, s0, s4
	s_subb_u32 s31, s1, s5
	s_delay_alu instid0(SALU_CYCLE_1)
	v_cmpx_gt_i64_e64 s[30:31], v[0:1]
	s_cbranch_execz .LBB86_66
; %bb.64:
	v_lshlrev_b64 v[6:7], 2, v[2:3]
	v_dual_mov_b32 v14, v18 :: v_dual_mov_b32 v9, v1
	v_dual_mul_f32 v10, 0x80000000, v12 :: v_dual_mul_f32 v13, 0, v11
	v_mov_b32_e32 v8, v0
	s_delay_alu instid0(VALU_DEP_4) | instskip(NEXT) | instid1(VALU_DEP_1)
	v_add_co_u32 v6, s0, s12, v6
	v_add_co_ci_u32_e64 v7, s0, s13, v7, s0
	s_mov_b32 s29, 0
	.p2align	6
.LBB86_65:                              ; =>This Inner Loop Header: Depth=1
	global_load_b32 v16, v[6:7], off
	v_add_co_u32 v8, s0, 0x100, v8
	s_delay_alu instid0(VALU_DEP_1) | instskip(SKIP_1) | instid1(VALU_DEP_1)
	v_add_co_ci_u32_e64 v9, s0, 0, v9, s0
	v_add_co_u32 v6, s0, 0x400, v6
	v_add_co_ci_u32_e64 v7, s0, 0, v7, s0
	s_delay_alu instid0(VALU_DEP_3) | instskip(NEXT) | instid1(VALU_DEP_1)
	v_cmp_le_i64_e64 s1, s[30:31], v[8:9]
	s_or_b32 s29, s1, s29
	s_waitcnt vmcnt(0)
	v_fma_f32 v15, v11, v16, v10
	v_fma_f32 v16, v12, v16, v13
	ds_store_b64 v14, v[15:16]
	v_add_nc_u32_e32 v14, 0x800, v14
	s_and_not1_b32 exec_lo, exec_lo, s29
	s_cbranch_execnz .LBB86_65
.LBB86_66:
	s_or_b32 exec_lo, exec_lo, s25
                                        ; implicit-def: $vgpr12
                                        ; implicit-def: $vgpr11
	s_or_saveexec_b32 s1, s7
	v_lshlrev_b64 v[6:7], 2, v[2:3]
	s_xor_b32 exec_lo, exec_lo, s1
	s_cbranch_execz .LBB86_62
.LBB86_67:
	s_delay_alu instid0(VALU_DEP_1) | instskip(NEXT) | instid1(VALU_DEP_1)
	v_add_co_u32 v8, s0, s12, v6
	v_add_co_ci_u32_e64 v9, s0, s13, v7, s0
	s_clause 0x3
	global_load_b32 v10, v[8:9], off
	global_load_b32 v16, v[8:9], off offset:1024
	global_load_b32 v17, v[8:9], off offset:2048
	;; [unrolled: 1-line block ×3, first 2 shown]
	v_dual_mul_f32 v8, 0x80000000, v12 :: v_dual_mul_f32 v9, 0, v11
	s_waitcnt vmcnt(3)
	s_delay_alu instid0(VALU_DEP_1) | instskip(NEXT) | instid1(VALU_DEP_2)
	v_fma_f32 v13, v11, v10, v8
	v_fma_f32 v14, v12, v10, v9
	s_waitcnt vmcnt(2)
	v_fma_f32 v15, v11, v16, v8
	v_fma_f32 v16, v12, v16, v9
	s_waitcnt vmcnt(1)
	;; [unrolled: 3-line block ×3, first 2 shown]
	v_fmac_f32_e32 v8, v11, v21
	v_fmac_f32_e32 v9, v12, v21
	ds_store_2addr_stride64_b64 v18, v[13:14], v[15:16] offset1:4
	ds_store_2addr_stride64_b64 v18, v[19:20], v[8:9] offset0:8 offset1:12
	s_or_b32 exec_lo, exec_lo, s1
	s_delay_alu instid0(SALU_CYCLE_1)
	s_mov_b32 s1, exec_lo
	v_cmpx_gt_i64_e64 s[2:3], v[0:1]
	s_cbranch_execz .LBB86_70
.LBB86_68:
	v_mov_b32_e32 v9, v1
	v_lshl_add_u32 v10, v0, 3, 0x2000
	v_dual_mov_b32 v11, 0 :: v_dual_mov_b32 v8, v0
	s_mov_b32 s7, 0
.LBB86_69:                              ; =>This Inner Loop Header: Depth=1
	s_delay_alu instid0(VALU_DEP_1) | instskip(NEXT) | instid1(VALU_DEP_1)
	v_add_co_u32 v8, s0, 0x100, v8
	v_add_co_ci_u32_e64 v9, s0, 0, v9, s0
	ds_store_2addr_b32 v10, v11, v11 offset1:1
	v_add_nc_u32_e32 v10, 0x800, v10
	v_cmp_le_i64_e64 s0, s[2:3], v[8:9]
	s_delay_alu instid0(VALU_DEP_1) | instskip(NEXT) | instid1(SALU_CYCLE_1)
	s_or_b32 s7, s0, s7
	s_and_not1_b32 exec_lo, exec_lo, s7
	s_cbranch_execnz .LBB86_69
.LBB86_70:
	s_or_b32 exec_lo, exec_lo, s1
	v_cmp_ge_i64_e64 s0, s[18:19], s[2:3]
	s_sub_u32 s1, s18, s2
	s_subb_u32 s7, s19, s3
	s_waitcnt lgkmcnt(0)
	s_barrier
	buffer_gl0_inv
	s_and_b32 s0, s0, exec_lo
	s_cselect_b32 s13, s7, 0
	s_cselect_b32 s12, s1, 0
	s_and_saveexec_b32 s0, vcc_lo
	s_delay_alu instid0(SALU_CYCLE_1)
	s_xor_b32 s7, exec_lo, s0
	s_cbranch_execz .LBB86_91
; %bb.71:
	s_lshl_b64 s[0:1], s[18:19], 3
	s_mov_b32 s25, exec_lo
	s_add_u32 s0, s8, s0
	s_addc_u32 s1, s9, s1
	s_load_b64 s[0:1], s[0:1], 0x0
	s_waitcnt lgkmcnt(0)
	s_sub_u32 s30, s0, s4
	s_subb_u32 s31, s1, s5
	s_delay_alu instid0(SALU_CYCLE_1)
	v_cmpx_gt_i64_e64 s[30:31], v[0:1]
	s_cbranch_execz .LBB86_90
; %bb.72:
	s_add_u32 s34, s18, -1
	s_addc_u32 s35, s19, -1
	s_add_u32 s36, s18, -2
	v_cmp_gt_i64_e64 s29, s[34:35], s[16:17]
	s_addc_u32 s37, s19, -1
	s_mov_b64 s[38:39], 0
	s_cmp_lg_u64 s[36:37], s[16:17]
	s_cselect_b32 s33, -1, 0
	s_delay_alu instid0(VALU_DEP_1) | instid1(SALU_CYCLE_1)
	s_and_b32 s29, s29, s33
	s_sub_u32 s36, s0, s24
	s_subb_u32 s37, s1, 0
	s_mov_b32 s1, 0
	s_branch .LBB86_75
.LBB86_73:                              ;   in Loop: Header=BB86_75 Depth=1
	s_or_b32 exec_lo, exec_lo, s0
.LBB86_74:                              ;   in Loop: Header=BB86_75 Depth=1
	s_delay_alu instid0(SALU_CYCLE_1) | instskip(SKIP_4) | instid1(VALU_DEP_1)
	s_or_b32 exec_lo, exec_lo, s33
	v_lshlrev_b64 v[4:5], 3, v[4:5]
	s_add_u32 s38, s38, 0x100
	s_addc_u32 s39, s39, 0
	v_add_co_u32 v7, s0, s38, v0
	v_add_co_ci_u32_e64 v8, null, s39, 0, s0
	s_delay_alu instid0(VALU_DEP_3) | instskip(SKIP_1) | instid1(VALU_DEP_3)
	v_add_co_u32 v4, vcc_lo, s14, v4
	v_add_co_ci_u32_e32 v5, vcc_lo, s15, v5, vcc_lo
	v_cmp_le_i64_e32 vcc_lo, s[30:31], v[7:8]
	global_load_b64 v[4:5], v[4:5], off
	s_or_b32 s1, vcc_lo, s1
	s_waitcnt vmcnt(0) lgkmcnt(0)
	v_mul_f32_e32 v10, v5, v6
	v_lshlrev_b32_e32 v11, 3, v14
	ds_load_b32 v12, v11 offset:4
	s_waitcnt lgkmcnt(0)
	v_mul_f32_e64 v9, v5, -v12
	s_delay_alu instid0(VALU_DEP_1)
	v_fmac_f32_e32 v9, v6, v4
	v_fmac_f32_e32 v10, v12, v4
	ds_store_b64 v11, v[9:10]
	s_and_not1_b32 exec_lo, exec_lo, s1
	s_cbranch_execz .LBB86_90
.LBB86_75:                              ; =>This Loop Header: Depth=1
                                        ;     Child Loop BB86_77 Depth 2
                                        ;     Child Loop BB86_84 Depth 2
	;; [unrolled: 1-line block ×3, first 2 shown]
	v_add_co_u32 v6, vcc_lo, s38, v2
	v_add_co_ci_u32_e32 v7, vcc_lo, s39, v3, vcc_lo
	v_dual_mov_b32 v8, s16 :: v_dual_mov_b32 v9, s17
	v_dual_mov_b32 v10, s34 :: v_dual_mov_b32 v11, s35
	s_and_not1_b32 vcc_lo, exec_lo, s29
	s_cbranch_vccnz .LBB86_79
; %bb.76:                               ;   in Loop: Header=BB86_75 Depth=1
	v_dual_mov_b32 v8, s16 :: v_dual_mov_b32 v9, s17
	v_dual_mov_b32 v10, s34 :: v_dual_mov_b32 v11, s35
	s_mov_b32 s33, 0
	s_set_inst_prefetch_distance 0x1
	.p2align	6
.LBB86_77:                              ;   Parent Loop BB86_75 Depth=1
                                        ; =>  This Inner Loop Header: Depth=2
	s_delay_alu instid0(VALU_DEP_1) | instskip(NEXT) | instid1(VALU_DEP_2)
	v_add_co_u32 v4, vcc_lo, v10, v8
	v_add_co_ci_u32_e32 v5, vcc_lo, v11, v9, vcc_lo
	s_delay_alu instid0(VALU_DEP_1) | instskip(NEXT) | instid1(VALU_DEP_1)
	v_lshrrev_b32_e32 v12, 31, v5
	v_add_co_u32 v4, vcc_lo, v4, v12
	v_add_co_ci_u32_e32 v5, vcc_lo, 0, v5, vcc_lo
	s_delay_alu instid0(VALU_DEP_1) | instskip(NEXT) | instid1(VALU_DEP_1)
	v_ashrrev_i64 v[4:5], 1, v[4:5]
	v_lshlrev_b64 v[12:13], 3, v[4:5]
	s_delay_alu instid0(VALU_DEP_1) | instskip(NEXT) | instid1(VALU_DEP_2)
	v_add_co_u32 v12, vcc_lo, s8, v12
	v_add_co_ci_u32_e32 v13, vcc_lo, s9, v13, vcc_lo
	global_load_b64 v[12:13], v[12:13], off
	s_waitcnt vmcnt(0)
	v_sub_co_u32 v12, vcc_lo, v12, s24
	v_subrev_co_ci_u32_e32 v13, vcc_lo, 0, v13, vcc_lo
	s_delay_alu instid0(VALU_DEP_1) | instskip(SKIP_2) | instid1(VALU_DEP_2)
	v_cmp_gt_i64_e32 vcc_lo, v[12:13], v[6:7]
	v_dual_cndmask_b32 v11, v11, v5 :: v_dual_cndmask_b32 v10, v10, v4
	v_dual_cndmask_b32 v9, v5, v9 :: v_dual_cndmask_b32 v8, v4, v8
	v_add_co_u32 v4, vcc_lo, v10, -1
	s_delay_alu instid0(VALU_DEP_3) | instskip(NEXT) | instid1(VALU_DEP_3)
	v_add_co_ci_u32_e32 v5, vcc_lo, -1, v11, vcc_lo
	v_cmp_ge_i64_e32 vcc_lo, v[8:9], v[10:11]
	s_delay_alu instid0(VALU_DEP_2) | instskip(NEXT) | instid1(VALU_DEP_1)
	v_cmp_eq_u64_e64 s0, v[8:9], v[4:5]
	s_or_b32 s0, vcc_lo, s0
	s_delay_alu instid0(SALU_CYCLE_1) | instskip(NEXT) | instid1(SALU_CYCLE_1)
	s_and_b32 s0, exec_lo, s0
	s_or_b32 s33, s0, s33
	s_delay_alu instid0(SALU_CYCLE_1)
	s_and_not1_b32 exec_lo, exec_lo, s33
	s_cbranch_execnz .LBB86_77
; %bb.78:                               ;   in Loop: Header=BB86_75 Depth=1
	s_set_inst_prefetch_distance 0x2
	s_or_b32 exec_lo, exec_lo, s33
.LBB86_79:                              ;   in Loop: Header=BB86_75 Depth=1
	s_delay_alu instid0(VALU_DEP_1) | instskip(SKIP_2) | instid1(VALU_DEP_3)
	v_lshlrev_b64 v[4:5], 3, v[10:11]
	v_lshlrev_b64 v[12:13], 2, v[6:7]
	v_cmp_le_i64_e64 s0, s[36:37], v[6:7]
	v_add_co_u32 v4, vcc_lo, s8, v4
	s_delay_alu instid0(VALU_DEP_4) | instskip(NEXT) | instid1(VALU_DEP_4)
	v_add_co_ci_u32_e32 v5, vcc_lo, s9, v5, vcc_lo
	v_add_co_u32 v12, vcc_lo, s10, v12
	v_add_co_ci_u32_e32 v13, vcc_lo, s11, v13, vcc_lo
	global_load_b64 v[4:5], v[4:5], off
	global_load_b32 v14, v[12:13], off
	s_waitcnt vmcnt(1)
	v_sub_co_u32 v12, vcc_lo, v4, s24
	v_subrev_co_ci_u32_e32 v13, vcc_lo, 0, v5, vcc_lo
	s_waitcnt vmcnt(0)
	v_subrev_nc_u32_e32 v4, s24, v14
	v_add_co_u32 v14, null, s38, v0
	s_delay_alu instid0(VALU_DEP_3) | instskip(NEXT) | instid1(VALU_DEP_3)
	v_cmp_gt_i64_e32 vcc_lo, v[12:13], v[6:7]
                                        ; implicit-def: $vgpr6
	v_ashrrev_i32_e32 v5, 31, v4
	s_delay_alu instid0(VALU_DEP_3) | instskip(SKIP_1) | instid1(VALU_DEP_1)
	v_dual_cndmask_b32 v9, v11, v9 :: v_dual_lshlrev_b32 v12, 3, v14
	v_cndmask_b32_e32 v8, v10, v8, vcc_lo
	v_cmp_eq_u64_e32 vcc_lo, v[8:9], v[4:5]
	s_or_b32 s0, vcc_lo, s0
	s_delay_alu instid0(SALU_CYCLE_1) | instskip(NEXT) | instid1(SALU_CYCLE_1)
	s_and_saveexec_b32 s33, s0
	s_xor_b32 s0, exec_lo, s33
	s_cbranch_execz .LBB86_81
; %bb.80:                               ;   in Loop: Header=BB86_75 Depth=1
	ds_load_b32 v6, v12
                                        ; implicit-def: $vgpr12
                                        ; implicit-def: $vgpr8_vgpr9
.LBB86_81:                              ;   in Loop: Header=BB86_75 Depth=1
	s_and_not1_saveexec_b32 s33, s0
	s_cbranch_execz .LBB86_74
; %bb.82:                               ;   in Loop: Header=BB86_75 Depth=1
	v_cmp_gt_i64_e32 vcc_lo, s[12:13], v[4:5]
	v_cmp_le_i64_e64 s0, s[18:19], v[4:5]
	v_lshlrev_b64 v[7:8], 3, v[8:9]
                                        ; implicit-def: $vgpr6
	s_delay_alu instid0(VALU_DEP_2) | instskip(NEXT) | instid1(SALU_CYCLE_1)
	s_or_b32 s0, vcc_lo, s0
	s_and_saveexec_b32 s40, s0
	s_delay_alu instid0(SALU_CYCLE_1)
	s_xor_b32 s0, exec_lo, s40
	s_cbranch_execz .LBB86_88
; %bb.83:                               ;   in Loop: Header=BB86_75 Depth=1
	s_waitcnt lgkmcnt(0)
	v_add_co_u32 v6, vcc_lo, s14, v7
	v_add_co_ci_u32_e32 v7, vcc_lo, s15, v8, vcc_lo
	v_lshlrev_b64 v[8:9], 3, v[4:5]
	s_mov_b32 s40, 0
	global_load_b64 v[10:11], v[6:7], off
	ds_load_b64 v[6:7], v12
	v_add_co_u32 v8, vcc_lo, s20, v8
	v_add_co_ci_u32_e32 v9, vcc_lo, s21, v9, vcc_lo
	global_load_b32 v13, v[8:9], off
	s_waitcnt vmcnt(1) lgkmcnt(0)
	v_mul_f32_e64 v15, v11, -v7
	s_delay_alu instid0(VALU_DEP_1)
	v_fmac_f32_e32 v15, v6, v10
.LBB86_84:                              ;   Parent Loop BB86_75 Depth=1
                                        ; =>  This Inner Loop Header: Depth=2
	s_waitcnt vmcnt(0)
	s_delay_alu instid0(VALU_DEP_1)
	v_add_f32_e32 v12, v13, v15
	global_atomic_cmpswap_b32 v12, v[8:9], v[12:13], off glc
	s_waitcnt vmcnt(0)
	v_cmp_eq_u32_e32 vcc_lo, v12, v13
	v_mov_b32_e32 v13, v12
	s_or_b32 s40, vcc_lo, s40
	s_delay_alu instid0(SALU_CYCLE_1)
	s_and_not1_b32 exec_lo, exec_lo, s40
	s_cbranch_execnz .LBB86_84
; %bb.85:                               ;   in Loop: Header=BB86_75 Depth=1
	s_or_b32 exec_lo, exec_lo, s40
	global_load_b32 v12, v[8:9], off offset:4
	v_mul_f32_e32 v13, v11, v6
	s_mov_b32 s40, 0
	s_delay_alu instid0(VALU_DEP_1)
	v_fmac_f32_e32 v13, v7, v10
.LBB86_86:                              ;   Parent Loop BB86_75 Depth=1
                                        ; =>  This Inner Loop Header: Depth=2
	s_waitcnt vmcnt(0)
	s_delay_alu instid0(VALU_DEP_1)
	v_add_f32_e32 v11, v12, v13
	global_atomic_cmpswap_b32 v7, v[8:9], v[11:12], off offset:4 glc
	s_waitcnt vmcnt(0)
	v_cmp_eq_u32_e32 vcc_lo, v7, v12
	v_mov_b32_e32 v12, v7
	s_or_b32 s40, vcc_lo, s40
	s_delay_alu instid0(SALU_CYCLE_1)
	s_and_not1_b32 exec_lo, exec_lo, s40
	s_cbranch_execnz .LBB86_86
; %bb.87:                               ;   in Loop: Header=BB86_75 Depth=1
	s_or_b32 exec_lo, exec_lo, s40
                                        ; implicit-def: $vgpr7_vgpr8
                                        ; implicit-def: $vgpr12
.LBB86_88:                              ;   in Loop: Header=BB86_75 Depth=1
	s_and_not1_saveexec_b32 s0, s0
	s_cbranch_execz .LBB86_73
; %bb.89:                               ;   in Loop: Header=BB86_75 Depth=1
	s_waitcnt lgkmcnt(0)
	v_add_co_u32 v6, vcc_lo, s14, v7
	v_add_co_ci_u32_e32 v7, vcc_lo, s15, v8, vcc_lo
	v_subrev_nc_u32_e32 v10, s12, v4
	global_load_b64 v[8:9], v[6:7], off
	ds_load_b64 v[6:7], v12
	v_lshl_add_u32 v10, v10, 3, 0x2000
	s_waitcnt vmcnt(0) lgkmcnt(0)
	v_mul_f32_e64 v11, v9, -v7
	v_mul_f32_e32 v9, v9, v6
	s_delay_alu instid0(VALU_DEP_2) | instskip(NEXT) | instid1(VALU_DEP_2)
	v_fmac_f32_e32 v11, v6, v8
	v_fmac_f32_e32 v9, v7, v8
	ds_add_f32 v10, v11
	ds_add_f32 v10, v9 offset:4
	s_branch .LBB86_73
.LBB86_90:
	s_or_b32 exec_lo, exec_lo, s25
                                        ; implicit-def: $vgpr4_vgpr5
                                        ; implicit-def: $vgpr2
                                        ; implicit-def: $vgpr6_vgpr7
.LBB86_91:
	s_and_not1_saveexec_b32 s1, s7
	s_cbranch_execz .LBB86_149
; %bb.92:
	s_add_u32 s30, s18, -1
	s_addc_u32 s31, s19, -1
	s_add_u32 s34, s18, -2
	v_cmp_le_i64_e64 s0, s[30:31], s[16:17]
	s_addc_u32 s35, s19, -1
	v_dual_mov_b32 v9, s16 :: v_dual_mov_b32 v10, s17
	s_cmp_eq_u64 s[34:35], s[16:17]
	v_dual_mov_b32 v11, s30 :: v_dual_mov_b32 v12, s31
	s_cselect_b32 s7, -1, 0
	s_delay_alu instid0(SALU_CYCLE_1) | instskip(NEXT) | instid1(SALU_CYCLE_1)
	s_or_b32 s7, s0, s7
	s_and_b32 vcc_lo, exec_lo, s7
	s_cbranch_vccnz .LBB86_96
; %bb.93:
	v_dual_mov_b32 v9, s16 :: v_dual_mov_b32 v10, s17
	v_dual_mov_b32 v11, s30 :: v_dual_mov_b32 v12, s31
	s_mov_b32 s25, 0
	s_set_inst_prefetch_distance 0x1
	.p2align	6
.LBB86_94:                              ; =>This Inner Loop Header: Depth=1
	s_delay_alu instid0(VALU_DEP_1) | instskip(NEXT) | instid1(VALU_DEP_2)
	v_add_co_u32 v8, vcc_lo, v11, v9
	v_add_co_ci_u32_e32 v14, vcc_lo, v12, v10, vcc_lo
	s_delay_alu instid0(VALU_DEP_1) | instskip(NEXT) | instid1(VALU_DEP_1)
	v_lshrrev_b32_e32 v13, 31, v14
	v_add_co_u32 v13, vcc_lo, v8, v13
	v_add_co_ci_u32_e32 v14, vcc_lo, 0, v14, vcc_lo
	s_delay_alu instid0(VALU_DEP_1) | instskip(NEXT) | instid1(VALU_DEP_1)
	v_ashrrev_i64 v[13:14], 1, v[13:14]
	v_lshlrev_b64 v[15:16], 3, v[13:14]
	s_delay_alu instid0(VALU_DEP_1) | instskip(NEXT) | instid1(VALU_DEP_2)
	v_add_co_u32 v15, vcc_lo, s8, v15
	v_add_co_ci_u32_e32 v16, vcc_lo, s9, v16, vcc_lo
	global_load_b64 v[15:16], v[15:16], off
	s_waitcnt vmcnt(0)
	v_sub_co_u32 v15, vcc_lo, v15, s24
	v_subrev_co_ci_u32_e32 v16, vcc_lo, 0, v16, vcc_lo
	s_delay_alu instid0(VALU_DEP_1) | instskip(SKIP_2) | instid1(VALU_DEP_2)
	v_cmp_gt_i64_e32 vcc_lo, v[15:16], v[2:3]
	v_dual_cndmask_b32 v12, v12, v14 :: v_dual_cndmask_b32 v11, v11, v13
	v_dual_cndmask_b32 v10, v14, v10 :: v_dual_cndmask_b32 v9, v13, v9
	v_add_co_u32 v13, vcc_lo, v11, -1
	s_delay_alu instid0(VALU_DEP_3) | instskip(NEXT) | instid1(VALU_DEP_3)
	v_add_co_ci_u32_e32 v14, vcc_lo, -1, v12, vcc_lo
	v_cmp_ge_i64_e32 vcc_lo, v[9:10], v[11:12]
	s_delay_alu instid0(VALU_DEP_2) | instskip(NEXT) | instid1(VALU_DEP_1)
	v_cmp_eq_u64_e64 s0, v[9:10], v[13:14]
	s_or_b32 s0, vcc_lo, s0
	s_delay_alu instid0(SALU_CYCLE_1) | instskip(NEXT) | instid1(SALU_CYCLE_1)
	s_and_b32 s0, exec_lo, s0
	s_or_b32 s25, s0, s25
	s_delay_alu instid0(SALU_CYCLE_1)
	s_and_not1_b32 exec_lo, exec_lo, s25
	s_cbranch_execnz .LBB86_94
; %bb.95:
	s_set_inst_prefetch_distance 0x2
	s_or_b32 exec_lo, exec_lo, s25
.LBB86_96:
	v_lshlrev_b64 v[13:14], 3, v[11:12]
	s_xor_b32 s7, s7, -1
	s_mov_b32 s25, exec_lo
	s_delay_alu instid0(VALU_DEP_1) | instskip(NEXT) | instid1(VALU_DEP_2)
	v_add_co_u32 v13, vcc_lo, s8, v13
	v_add_co_ci_u32_e32 v14, vcc_lo, s9, v14, vcc_lo
	v_add_co_u32 v6, vcc_lo, s10, v6
	v_add_co_ci_u32_e32 v7, vcc_lo, s11, v7, vcc_lo
	global_load_b64 v[13:14], v[13:14], off
	s_lshl_b64 s[10:11], s[18:19], 3
	global_load_b32 v8, v[6:7], off
	s_add_u32 s10, s8, s10
	s_addc_u32 s11, s9, s11
	s_waitcnt vmcnt(1)
	v_sub_co_u32 v13, vcc_lo, v13, s24
	v_subrev_co_ci_u32_e32 v14, vcc_lo, 0, v14, vcc_lo
	s_waitcnt vmcnt(0)
	v_subrev_nc_u32_e32 v8, s24, v8
	s_delay_alu instid0(VALU_DEP_2) | instskip(SKIP_1) | instid1(VALU_DEP_3)
	v_cmp_gt_i64_e32 vcc_lo, v[13:14], v[2:3]
	v_dual_cndmask_b32 v12, v12, v10 :: v_dual_cndmask_b32 v11, v11, v9
	v_ashrrev_i32_e32 v9, 31, v8
	s_delay_alu instid0(VALU_DEP_1)
	v_cmpx_ne_u64_e64 v[11:12], v[8:9]
	s_cbranch_execz .LBB86_106
; %bb.97:
	s_load_b64 s[34:35], s[10:11], 0x0
	s_waitcnt lgkmcnt(0)
	s_sub_u32 s34, s34, s24
	s_subb_u32 s35, s35, 0
	s_delay_alu instid0(SALU_CYCLE_1)
	v_cmp_gt_i64_e32 vcc_lo, s[34:35], v[2:3]
	s_and_b32 exec_lo, exec_lo, vcc_lo
	s_cbranch_execz .LBB86_106
; %bb.98:
	v_cmp_gt_i64_e32 vcc_lo, s[12:13], v[8:9]
	v_cmp_le_i64_e64 s0, s[18:19], v[8:9]
	v_lshlrev_b64 v[10:11], 3, v[11:12]
	s_delay_alu instid0(VALU_DEP_2) | instskip(NEXT) | instid1(SALU_CYCLE_1)
	s_or_b32 s0, vcc_lo, s0
	s_and_saveexec_b32 s29, s0
	s_delay_alu instid0(SALU_CYCLE_1)
	s_xor_b32 s0, exec_lo, s29
	s_cbranch_execz .LBB86_104
; %bb.99:
	s_delay_alu instid0(VALU_DEP_1)
	v_add_co_u32 v10, vcc_lo, s14, v10
	v_add_co_ci_u32_e32 v11, vcc_lo, s15, v11, vcc_lo
	v_lshlrev_b64 v[14:15], 3, v[8:9]
	s_mov_b32 s29, 0
	global_load_b64 v[12:13], v[10:11], off
	v_add_co_u32 v10, vcc_lo, s20, v14
	v_add_co_ci_u32_e32 v11, vcc_lo, s21, v15, vcc_lo
	ds_load_b64 v[14:15], v18
	global_load_b32 v17, v[10:11], off
	s_waitcnt vmcnt(1) lgkmcnt(0)
	v_mul_f32_e64 v19, v13, -v15
	s_delay_alu instid0(VALU_DEP_1)
	v_fmac_f32_e32 v19, v14, v12
.LBB86_100:                             ; =>This Inner Loop Header: Depth=1
	s_waitcnt vmcnt(0)
	s_delay_alu instid0(VALU_DEP_1)
	v_add_f32_e32 v16, v17, v19
	global_atomic_cmpswap_b32 v16, v[10:11], v[16:17], off glc
	s_waitcnt vmcnt(0)
	v_cmp_eq_u32_e32 vcc_lo, v16, v17
	v_mov_b32_e32 v17, v16
	s_or_b32 s29, vcc_lo, s29
	s_delay_alu instid0(SALU_CYCLE_1)
	s_and_not1_b32 exec_lo, exec_lo, s29
	s_cbranch_execnz .LBB86_100
; %bb.101:
	s_or_b32 exec_lo, exec_lo, s29
	global_load_b32 v16, v[10:11], off offset:4
	v_mul_f32_e32 v13, v13, v14
	s_mov_b32 s29, 0
	s_delay_alu instid0(VALU_DEP_1)
	v_fmac_f32_e32 v13, v15, v12
.LBB86_102:                             ; =>This Inner Loop Header: Depth=1
	s_waitcnt vmcnt(0)
	s_delay_alu instid0(VALU_DEP_1)
	v_add_f32_e32 v15, v16, v13
	global_atomic_cmpswap_b32 v12, v[10:11], v[15:16], off offset:4 glc
	s_waitcnt vmcnt(0)
	v_cmp_eq_u32_e32 vcc_lo, v12, v16
	v_mov_b32_e32 v16, v12
	s_or_b32 s29, vcc_lo, s29
	s_delay_alu instid0(SALU_CYCLE_1)
	s_and_not1_b32 exec_lo, exec_lo, s29
	s_cbranch_execnz .LBB86_102
; %bb.103:
	s_or_b32 exec_lo, exec_lo, s29
                                        ; implicit-def: $vgpr10_vgpr11
.LBB86_104:
	s_and_not1_saveexec_b32 s0, s0
	s_cbranch_execz .LBB86_106
; %bb.105:
	v_add_co_u32 v10, vcc_lo, s14, v10
	v_add_co_ci_u32_e32 v11, vcc_lo, s15, v11, vcc_lo
	ds_load_b64 v[12:13], v18
	v_subrev_nc_u32_e32 v14, s12, v8
	global_load_b64 v[10:11], v[10:11], off
	v_lshl_add_u32 v14, v14, 3, 0x2000
	s_waitcnt vmcnt(0) lgkmcnt(0)
	v_mul_f32_e64 v15, v11, -v13
	v_mul_f32_e32 v11, v11, v12
	s_delay_alu instid0(VALU_DEP_2) | instskip(NEXT) | instid1(VALU_DEP_2)
	v_fmac_f32_e32 v15, v12, v10
	v_fmac_f32_e32 v11, v13, v10
	ds_add_f32 v14, v15
	ds_add_f32 v14, v11 offset:4
.LBB86_106:
	s_or_b32 exec_lo, exec_lo, s25
	v_lshlrev_b64 v[8:9], 3, v[8:9]
	ds_load_b64 v[12:13], v18
	v_cndmask_b32_e64 v19, 0, 1, s7
	v_dual_mov_b32 v14, s30 :: v_dual_mov_b32 v15, s31
	v_add_co_u32 v8, vcc_lo, s14, v8
	v_add_co_ci_u32_e32 v9, vcc_lo, s15, v9, vcc_lo
	v_add_co_u32 v10, vcc_lo, 0x100, v2
	v_add_co_ci_u32_e32 v11, vcc_lo, 0, v3, vcc_lo
	global_load_b64 v[8:9], v[8:9], off
	s_and_not1_b32 vcc_lo, exec_lo, s7
	s_waitcnt vmcnt(0) lgkmcnt(0)
	v_mul_f32_e64 v16, v9, -v13
	v_mul_f32_e32 v17, v9, v12
	s_delay_alu instid0(VALU_DEP_2) | instskip(NEXT) | instid1(VALU_DEP_2)
	v_fmac_f32_e32 v16, v12, v8
	v_dual_fmac_f32 v17, v13, v8 :: v_dual_mov_b32 v12, s16
	v_mov_b32_e32 v13, s17
	ds_store_b64 v18, v[16:17]
	s_cbranch_vccnz .LBB86_110
; %bb.107:
	v_dual_mov_b32 v12, s16 :: v_dual_mov_b32 v13, s17
	v_dual_mov_b32 v14, s30 :: v_dual_mov_b32 v15, s31
	s_mov_b32 s7, 0
	s_set_inst_prefetch_distance 0x1
	.p2align	6
.LBB86_108:                             ; =>This Inner Loop Header: Depth=1
	s_delay_alu instid0(VALU_DEP_1) | instskip(NEXT) | instid1(VALU_DEP_2)
	v_add_co_u32 v8, vcc_lo, v14, v12
	v_add_co_ci_u32_e32 v9, vcc_lo, v15, v13, vcc_lo
	s_delay_alu instid0(VALU_DEP_1) | instskip(NEXT) | instid1(VALU_DEP_1)
	v_lshrrev_b32_e32 v16, 31, v9
	v_add_co_u32 v8, vcc_lo, v8, v16
	v_add_co_ci_u32_e32 v9, vcc_lo, 0, v9, vcc_lo
	s_delay_alu instid0(VALU_DEP_1) | instskip(NEXT) | instid1(VALU_DEP_1)
	v_ashrrev_i64 v[8:9], 1, v[8:9]
	v_lshlrev_b64 v[16:17], 3, v[8:9]
	s_delay_alu instid0(VALU_DEP_1) | instskip(NEXT) | instid1(VALU_DEP_2)
	v_add_co_u32 v16, vcc_lo, s8, v16
	v_add_co_ci_u32_e32 v17, vcc_lo, s9, v17, vcc_lo
	global_load_b64 v[16:17], v[16:17], off
	s_waitcnt vmcnt(0)
	v_sub_co_u32 v16, vcc_lo, v16, s24
	v_subrev_co_ci_u32_e32 v17, vcc_lo, 0, v17, vcc_lo
	s_delay_alu instid0(VALU_DEP_1) | instskip(SKIP_2) | instid1(VALU_DEP_2)
	v_cmp_gt_i64_e32 vcc_lo, v[16:17], v[10:11]
	v_dual_cndmask_b32 v15, v15, v9 :: v_dual_cndmask_b32 v14, v14, v8
	v_dual_cndmask_b32 v13, v9, v13 :: v_dual_cndmask_b32 v12, v8, v12
	v_add_co_u32 v8, vcc_lo, v14, -1
	s_delay_alu instid0(VALU_DEP_3) | instskip(NEXT) | instid1(VALU_DEP_3)
	v_add_co_ci_u32_e32 v9, vcc_lo, -1, v15, vcc_lo
	v_cmp_ge_i64_e32 vcc_lo, v[12:13], v[14:15]
	s_delay_alu instid0(VALU_DEP_2) | instskip(NEXT) | instid1(VALU_DEP_1)
	v_cmp_eq_u64_e64 s0, v[12:13], v[8:9]
	s_or_b32 s0, vcc_lo, s0
	s_delay_alu instid0(SALU_CYCLE_1) | instskip(NEXT) | instid1(SALU_CYCLE_1)
	s_and_b32 s0, exec_lo, s0
	s_or_b32 s7, s0, s7
	s_delay_alu instid0(SALU_CYCLE_1)
	s_and_not1_b32 exec_lo, exec_lo, s7
	s_cbranch_execnz .LBB86_108
; %bb.109:
	s_set_inst_prefetch_distance 0x2
	s_or_b32 exec_lo, exec_lo, s7
.LBB86_110:
	v_lshlrev_b64 v[8:9], 3, v[14:15]
	s_mov_b32 s7, exec_lo
	s_delay_alu instid0(VALU_DEP_1) | instskip(NEXT) | instid1(VALU_DEP_2)
	v_add_co_u32 v8, vcc_lo, s8, v8
	v_add_co_ci_u32_e32 v9, vcc_lo, s9, v9, vcc_lo
	global_load_b64 v[8:9], v[8:9], off
	global_load_b32 v16, v[6:7], off offset:1024
	s_waitcnt vmcnt(1)
	v_sub_co_u32 v8, vcc_lo, v8, s24
	v_subrev_co_ci_u32_e32 v9, vcc_lo, 0, v9, vcc_lo
	s_delay_alu instid0(VALU_DEP_1) | instskip(SKIP_2) | instid1(VALU_DEP_1)
	v_cmp_gt_i64_e32 vcc_lo, v[8:9], v[10:11]
	s_waitcnt vmcnt(0)
	v_subrev_nc_u32_e32 v8, s24, v16
	v_ashrrev_i32_e32 v9, 31, v8
	v_dual_cndmask_b32 v13, v15, v13 :: v_dual_cndmask_b32 v12, v14, v12
	s_delay_alu instid0(VALU_DEP_1)
	v_cmpx_ne_u64_e64 v[12:13], v[8:9]
	s_cbranch_execz .LBB86_120
; %bb.111:
	s_load_b64 s[34:35], s[10:11], 0x0
	s_waitcnt lgkmcnt(0)
	s_sub_u32 s34, s34, s24
	s_subb_u32 s35, s35, 0
	s_delay_alu instid0(SALU_CYCLE_1)
	v_cmp_gt_i64_e32 vcc_lo, s[34:35], v[10:11]
	s_and_b32 exec_lo, exec_lo, vcc_lo
	s_cbranch_execz .LBB86_120
; %bb.112:
	v_cmp_gt_i64_e32 vcc_lo, s[12:13], v[8:9]
	v_cmp_le_i64_e64 s0, s[18:19], v[8:9]
	v_lshlrev_b64 v[10:11], 3, v[12:13]
	s_delay_alu instid0(VALU_DEP_2) | instskip(NEXT) | instid1(SALU_CYCLE_1)
	s_or_b32 s0, vcc_lo, s0
	s_and_saveexec_b32 s25, s0
	s_delay_alu instid0(SALU_CYCLE_1)
	s_xor_b32 s0, exec_lo, s25
	s_cbranch_execz .LBB86_118
; %bb.113:
	s_delay_alu instid0(VALU_DEP_1)
	v_add_co_u32 v10, vcc_lo, s14, v10
	v_add_co_ci_u32_e32 v11, vcc_lo, s15, v11, vcc_lo
	v_lshlrev_b64 v[14:15], 3, v[8:9]
	s_mov_b32 s25, 0
	global_load_b64 v[12:13], v[10:11], off
	v_add_co_u32 v10, vcc_lo, s20, v14
	v_add_co_ci_u32_e32 v11, vcc_lo, s21, v15, vcc_lo
	ds_load_b64 v[14:15], v18 offset:2048
	global_load_b32 v17, v[10:11], off
	s_waitcnt vmcnt(1) lgkmcnt(0)
	v_mul_f32_e64 v20, v13, -v15
	s_delay_alu instid0(VALU_DEP_1)
	v_fmac_f32_e32 v20, v14, v12
.LBB86_114:                             ; =>This Inner Loop Header: Depth=1
	s_waitcnt vmcnt(0)
	s_delay_alu instid0(VALU_DEP_1)
	v_add_f32_e32 v16, v17, v20
	global_atomic_cmpswap_b32 v16, v[10:11], v[16:17], off glc
	s_waitcnt vmcnt(0)
	v_cmp_eq_u32_e32 vcc_lo, v16, v17
	v_mov_b32_e32 v17, v16
	s_or_b32 s25, vcc_lo, s25
	s_delay_alu instid0(SALU_CYCLE_1)
	s_and_not1_b32 exec_lo, exec_lo, s25
	s_cbranch_execnz .LBB86_114
; %bb.115:
	s_or_b32 exec_lo, exec_lo, s25
	global_load_b32 v16, v[10:11], off offset:4
	v_mul_f32_e32 v13, v13, v14
	s_mov_b32 s25, 0
	s_delay_alu instid0(VALU_DEP_1)
	v_fmac_f32_e32 v13, v15, v12
.LBB86_116:                             ; =>This Inner Loop Header: Depth=1
	s_waitcnt vmcnt(0)
	s_delay_alu instid0(VALU_DEP_1)
	v_add_f32_e32 v15, v16, v13
	global_atomic_cmpswap_b32 v12, v[10:11], v[15:16], off offset:4 glc
	s_waitcnt vmcnt(0)
	v_cmp_eq_u32_e32 vcc_lo, v12, v16
	v_mov_b32_e32 v16, v12
	s_or_b32 s25, vcc_lo, s25
	s_delay_alu instid0(SALU_CYCLE_1)
	s_and_not1_b32 exec_lo, exec_lo, s25
	s_cbranch_execnz .LBB86_116
; %bb.117:
	s_or_b32 exec_lo, exec_lo, s25
                                        ; implicit-def: $vgpr10_vgpr11
.LBB86_118:
	s_and_not1_saveexec_b32 s0, s0
	s_cbranch_execz .LBB86_120
; %bb.119:
	v_add_co_u32 v10, vcc_lo, s14, v10
	v_add_co_ci_u32_e32 v11, vcc_lo, s15, v11, vcc_lo
	ds_load_b64 v[12:13], v18 offset:2048
	v_subrev_nc_u32_e32 v14, s12, v8
	global_load_b64 v[10:11], v[10:11], off
	v_lshl_add_u32 v14, v14, 3, 0x2000
	s_waitcnt vmcnt(0) lgkmcnt(0)
	v_mul_f32_e64 v15, v11, -v13
	v_mul_f32_e32 v11, v11, v12
	s_delay_alu instid0(VALU_DEP_2) | instskip(NEXT) | instid1(VALU_DEP_2)
	v_fmac_f32_e32 v15, v12, v10
	v_fmac_f32_e32 v11, v13, v10
	ds_add_f32 v14, v15
	ds_add_f32 v14, v11 offset:4
.LBB86_120:
	s_or_b32 exec_lo, exec_lo, s7
	v_lshlrev_b64 v[8:9], 3, v[8:9]
	ds_load_b64 v[12:13], v18 offset:2048
	v_add_co_u32 v8, vcc_lo, s14, v8
	v_add_co_ci_u32_e32 v9, vcc_lo, s15, v9, vcc_lo
	global_load_b64 v[10:11], v[8:9], off
	v_add_co_u32 v8, vcc_lo, 0x200, v2
	v_add_co_ci_u32_e32 v9, vcc_lo, 0, v3, vcc_lo
	v_cmp_ne_u32_e32 vcc_lo, 1, v19
	s_and_b32 vcc_lo, exec_lo, vcc_lo
	s_waitcnt vmcnt(0) lgkmcnt(0)
	v_mul_f32_e64 v14, v11, -v13
	s_delay_alu instid0(VALU_DEP_1) | instskip(NEXT) | instid1(VALU_DEP_1)
	v_dual_mul_f32 v15, v11, v12 :: v_dual_fmac_f32 v14, v12, v10
	v_dual_fmac_f32 v15, v13, v10 :: v_dual_mov_b32 v10, s16
	v_dual_mov_b32 v11, s17 :: v_dual_mov_b32 v12, s30
	v_mov_b32_e32 v13, s31
	ds_store_b64 v18, v[14:15] offset:2048
	s_cbranch_vccnz .LBB86_124
; %bb.121:
	v_dual_mov_b32 v10, s16 :: v_dual_mov_b32 v11, s17
	v_dual_mov_b32 v12, s30 :: v_dual_mov_b32 v13, s31
	s_mov_b32 s7, 0
	s_set_inst_prefetch_distance 0x1
	.p2align	6
.LBB86_122:                             ; =>This Inner Loop Header: Depth=1
	s_delay_alu instid0(VALU_DEP_1) | instskip(NEXT) | instid1(VALU_DEP_2)
	v_add_co_u32 v2, vcc_lo, v12, v10
	v_add_co_ci_u32_e32 v3, vcc_lo, v13, v11, vcc_lo
	s_delay_alu instid0(VALU_DEP_1) | instskip(NEXT) | instid1(VALU_DEP_1)
	v_lshrrev_b32_e32 v14, 31, v3
	v_add_co_u32 v2, vcc_lo, v2, v14
	v_add_co_ci_u32_e32 v3, vcc_lo, 0, v3, vcc_lo
	s_delay_alu instid0(VALU_DEP_1) | instskip(NEXT) | instid1(VALU_DEP_1)
	v_ashrrev_i64 v[2:3], 1, v[2:3]
	v_lshlrev_b64 v[14:15], 3, v[2:3]
	s_delay_alu instid0(VALU_DEP_1) | instskip(NEXT) | instid1(VALU_DEP_2)
	v_add_co_u32 v14, vcc_lo, s8, v14
	v_add_co_ci_u32_e32 v15, vcc_lo, s9, v15, vcc_lo
	global_load_b64 v[14:15], v[14:15], off
	s_waitcnt vmcnt(0)
	v_sub_co_u32 v14, vcc_lo, v14, s24
	v_subrev_co_ci_u32_e32 v15, vcc_lo, 0, v15, vcc_lo
	s_delay_alu instid0(VALU_DEP_1) | instskip(SKIP_2) | instid1(VALU_DEP_2)
	v_cmp_gt_i64_e32 vcc_lo, v[14:15], v[8:9]
	v_dual_cndmask_b32 v13, v13, v3 :: v_dual_cndmask_b32 v12, v12, v2
	v_dual_cndmask_b32 v11, v3, v11 :: v_dual_cndmask_b32 v10, v2, v10
	v_add_co_u32 v2, vcc_lo, v12, -1
	s_delay_alu instid0(VALU_DEP_3) | instskip(NEXT) | instid1(VALU_DEP_3)
	v_add_co_ci_u32_e32 v3, vcc_lo, -1, v13, vcc_lo
	v_cmp_ge_i64_e32 vcc_lo, v[10:11], v[12:13]
	s_delay_alu instid0(VALU_DEP_2) | instskip(NEXT) | instid1(VALU_DEP_1)
	v_cmp_eq_u64_e64 s0, v[10:11], v[2:3]
	s_or_b32 s0, vcc_lo, s0
	s_delay_alu instid0(SALU_CYCLE_1) | instskip(NEXT) | instid1(SALU_CYCLE_1)
	s_and_b32 s0, exec_lo, s0
	s_or_b32 s7, s0, s7
	s_delay_alu instid0(SALU_CYCLE_1)
	s_and_not1_b32 exec_lo, exec_lo, s7
	s_cbranch_execnz .LBB86_122
; %bb.123:
	s_set_inst_prefetch_distance 0x2
	s_or_b32 exec_lo, exec_lo, s7
.LBB86_124:
	v_lshlrev_b64 v[2:3], 3, v[12:13]
	s_mov_b32 s7, exec_lo
	s_delay_alu instid0(VALU_DEP_1) | instskip(NEXT) | instid1(VALU_DEP_2)
	v_add_co_u32 v2, vcc_lo, s8, v2
	v_add_co_ci_u32_e32 v3, vcc_lo, s9, v3, vcc_lo
	global_load_b64 v[2:3], v[2:3], off
	global_load_b32 v14, v[6:7], off offset:2048
	s_waitcnt vmcnt(1)
	v_sub_co_u32 v2, vcc_lo, v2, s24
	v_subrev_co_ci_u32_e32 v3, vcc_lo, 0, v3, vcc_lo
	s_delay_alu instid0(VALU_DEP_1) | instskip(SKIP_2) | instid1(VALU_DEP_1)
	v_cmp_gt_i64_e32 vcc_lo, v[2:3], v[8:9]
	s_waitcnt vmcnt(0)
	v_subrev_nc_u32_e32 v2, s24, v14
	v_ashrrev_i32_e32 v3, 31, v2
	v_dual_cndmask_b32 v11, v13, v11 :: v_dual_cndmask_b32 v10, v12, v10
	s_delay_alu instid0(VALU_DEP_1)
	v_cmpx_ne_u64_e64 v[10:11], v[2:3]
	s_cbranch_execz .LBB86_134
; %bb.125:
	s_load_b64 s[34:35], s[10:11], 0x0
	s_waitcnt lgkmcnt(0)
	s_sub_u32 s34, s34, s24
	s_subb_u32 s35, s35, 0
	s_delay_alu instid0(SALU_CYCLE_1)
	v_cmp_gt_i64_e32 vcc_lo, s[34:35], v[8:9]
	s_and_b32 exec_lo, exec_lo, vcc_lo
	s_cbranch_execz .LBB86_134
; %bb.126:
	v_cmp_gt_i64_e32 vcc_lo, s[12:13], v[2:3]
	v_cmp_le_i64_e64 s0, s[18:19], v[2:3]
	v_lshlrev_b64 v[8:9], 3, v[10:11]
	s_delay_alu instid0(VALU_DEP_2) | instskip(NEXT) | instid1(SALU_CYCLE_1)
	s_or_b32 s0, vcc_lo, s0
	s_and_saveexec_b32 s25, s0
	s_delay_alu instid0(SALU_CYCLE_1)
	s_xor_b32 s0, exec_lo, s25
	s_cbranch_execz .LBB86_132
; %bb.127:
	s_delay_alu instid0(VALU_DEP_1)
	v_add_co_u32 v8, vcc_lo, s14, v8
	v_add_co_ci_u32_e32 v9, vcc_lo, s15, v9, vcc_lo
	v_lshlrev_b64 v[12:13], 3, v[2:3]
	s_mov_b32 s25, 0
	global_load_b64 v[10:11], v[8:9], off
	v_add_co_u32 v8, vcc_lo, s20, v12
	v_add_co_ci_u32_e32 v9, vcc_lo, s21, v13, vcc_lo
	ds_load_b64 v[12:13], v18 offset:4096
	global_load_b32 v15, v[8:9], off
	s_waitcnt vmcnt(1) lgkmcnt(0)
	v_mul_f32_e64 v16, v11, -v13
	s_delay_alu instid0(VALU_DEP_1)
	v_fmac_f32_e32 v16, v12, v10
.LBB86_128:                             ; =>This Inner Loop Header: Depth=1
	s_waitcnt vmcnt(0)
	s_delay_alu instid0(VALU_DEP_1)
	v_add_f32_e32 v14, v15, v16
	global_atomic_cmpswap_b32 v14, v[8:9], v[14:15], off glc
	s_waitcnt vmcnt(0)
	v_cmp_eq_u32_e32 vcc_lo, v14, v15
	v_mov_b32_e32 v15, v14
	s_or_b32 s25, vcc_lo, s25
	s_delay_alu instid0(SALU_CYCLE_1)
	s_and_not1_b32 exec_lo, exec_lo, s25
	s_cbranch_execnz .LBB86_128
; %bb.129:
	s_or_b32 exec_lo, exec_lo, s25
	global_load_b32 v14, v[8:9], off offset:4
	v_mul_f32_e32 v11, v11, v12
	s_mov_b32 s25, 0
	s_delay_alu instid0(VALU_DEP_1)
	v_fmac_f32_e32 v11, v13, v10
.LBB86_130:                             ; =>This Inner Loop Header: Depth=1
	s_waitcnt vmcnt(0)
	s_delay_alu instid0(VALU_DEP_1)
	v_add_f32_e32 v13, v14, v11
	global_atomic_cmpswap_b32 v10, v[8:9], v[13:14], off offset:4 glc
	s_waitcnt vmcnt(0)
	v_cmp_eq_u32_e32 vcc_lo, v10, v14
	v_mov_b32_e32 v14, v10
	s_or_b32 s25, vcc_lo, s25
	s_delay_alu instid0(SALU_CYCLE_1)
	s_and_not1_b32 exec_lo, exec_lo, s25
	s_cbranch_execnz .LBB86_130
; %bb.131:
	s_or_b32 exec_lo, exec_lo, s25
                                        ; implicit-def: $vgpr8_vgpr9
.LBB86_132:
	s_and_not1_saveexec_b32 s0, s0
	s_cbranch_execz .LBB86_134
; %bb.133:
	v_add_co_u32 v8, vcc_lo, s14, v8
	v_add_co_ci_u32_e32 v9, vcc_lo, s15, v9, vcc_lo
	ds_load_b64 v[10:11], v18 offset:4096
	v_subrev_nc_u32_e32 v12, s12, v2
	global_load_b64 v[8:9], v[8:9], off
	v_lshl_add_u32 v12, v12, 3, 0x2000
	s_waitcnt vmcnt(0) lgkmcnt(0)
	v_mul_f32_e64 v13, v9, -v11
	v_mul_f32_e32 v9, v9, v10
	s_delay_alu instid0(VALU_DEP_2) | instskip(NEXT) | instid1(VALU_DEP_2)
	v_fmac_f32_e32 v13, v10, v8
	v_fmac_f32_e32 v9, v11, v8
	ds_add_f32 v12, v13
	ds_add_f32 v12, v9 offset:4
.LBB86_134:
	s_or_b32 exec_lo, exec_lo, s7
	v_lshlrev_b64 v[2:3], 3, v[2:3]
	ds_load_b64 v[8:9], v18 offset:4096
	v_dual_mov_b32 v10, s30 :: v_dual_mov_b32 v11, s31
	v_add_co_u32 v2, vcc_lo, s14, v2
	v_add_co_ci_u32_e32 v3, vcc_lo, s15, v3, vcc_lo
	v_cmp_ne_u32_e32 vcc_lo, 1, v19
	global_load_b64 v[2:3], v[2:3], off
	s_and_b32 vcc_lo, exec_lo, vcc_lo
	s_waitcnt vmcnt(0) lgkmcnt(0)
	v_mul_f32_e64 v12, v3, -v9
	s_delay_alu instid0(VALU_DEP_1) | instskip(NEXT) | instid1(VALU_DEP_1)
	v_dual_mul_f32 v13, v3, v8 :: v_dual_fmac_f32 v12, v8, v2
	v_dual_fmac_f32 v13, v9, v2 :: v_dual_mov_b32 v8, s16
	v_mov_b32_e32 v9, s17
	ds_store_b64 v18, v[12:13] offset:4096
	s_cbranch_vccnz .LBB86_138
; %bb.135:
	v_dual_mov_b32 v8, s16 :: v_dual_mov_b32 v9, s17
	v_dual_mov_b32 v10, s30 :: v_dual_mov_b32 v11, s31
	s_mov_b32 s7, 0
	s_set_inst_prefetch_distance 0x1
	.p2align	6
.LBB86_136:                             ; =>This Inner Loop Header: Depth=1
	s_delay_alu instid0(VALU_DEP_1) | instskip(NEXT) | instid1(VALU_DEP_2)
	v_add_co_u32 v2, vcc_lo, v10, v8
	v_add_co_ci_u32_e32 v3, vcc_lo, v11, v9, vcc_lo
	s_delay_alu instid0(VALU_DEP_1) | instskip(NEXT) | instid1(VALU_DEP_1)
	v_lshrrev_b32_e32 v12, 31, v3
	v_add_co_u32 v2, vcc_lo, v2, v12
	v_add_co_ci_u32_e32 v3, vcc_lo, 0, v3, vcc_lo
	s_delay_alu instid0(VALU_DEP_1) | instskip(NEXT) | instid1(VALU_DEP_1)
	v_ashrrev_i64 v[2:3], 1, v[2:3]
	v_lshlrev_b64 v[12:13], 3, v[2:3]
	s_delay_alu instid0(VALU_DEP_1) | instskip(NEXT) | instid1(VALU_DEP_2)
	v_add_co_u32 v12, vcc_lo, s8, v12
	v_add_co_ci_u32_e32 v13, vcc_lo, s9, v13, vcc_lo
	global_load_b64 v[12:13], v[12:13], off
	s_waitcnt vmcnt(0)
	v_sub_co_u32 v12, vcc_lo, v12, s24
	v_subrev_co_ci_u32_e32 v13, vcc_lo, 0, v13, vcc_lo
	s_delay_alu instid0(VALU_DEP_1) | instskip(SKIP_2) | instid1(VALU_DEP_2)
	v_cmp_gt_i64_e32 vcc_lo, v[12:13], v[4:5]
	v_dual_cndmask_b32 v11, v11, v3 :: v_dual_cndmask_b32 v10, v10, v2
	v_dual_cndmask_b32 v9, v3, v9 :: v_dual_cndmask_b32 v8, v2, v8
	v_add_co_u32 v2, vcc_lo, v10, -1
	s_delay_alu instid0(VALU_DEP_3) | instskip(NEXT) | instid1(VALU_DEP_3)
	v_add_co_ci_u32_e32 v3, vcc_lo, -1, v11, vcc_lo
	v_cmp_ge_i64_e32 vcc_lo, v[8:9], v[10:11]
	s_delay_alu instid0(VALU_DEP_2) | instskip(NEXT) | instid1(VALU_DEP_1)
	v_cmp_eq_u64_e64 s0, v[8:9], v[2:3]
	s_or_b32 s0, vcc_lo, s0
	s_delay_alu instid0(SALU_CYCLE_1) | instskip(NEXT) | instid1(SALU_CYCLE_1)
	s_and_b32 s0, exec_lo, s0
	s_or_b32 s7, s0, s7
	s_delay_alu instid0(SALU_CYCLE_1)
	s_and_not1_b32 exec_lo, exec_lo, s7
	s_cbranch_execnz .LBB86_136
; %bb.137:
	s_set_inst_prefetch_distance 0x2
	s_or_b32 exec_lo, exec_lo, s7
.LBB86_138:
	v_lshlrev_b64 v[2:3], 3, v[10:11]
	s_mov_b32 s7, exec_lo
	s_delay_alu instid0(VALU_DEP_1) | instskip(NEXT) | instid1(VALU_DEP_2)
	v_add_co_u32 v2, vcc_lo, s8, v2
	v_add_co_ci_u32_e32 v3, vcc_lo, s9, v3, vcc_lo
	global_load_b64 v[2:3], v[2:3], off
	global_load_b32 v6, v[6:7], off offset:3072
	s_waitcnt vmcnt(1)
	v_sub_co_u32 v2, vcc_lo, v2, s24
	v_subrev_co_ci_u32_e32 v3, vcc_lo, 0, v3, vcc_lo
	s_delay_alu instid0(VALU_DEP_1) | instskip(SKIP_2) | instid1(VALU_DEP_1)
	v_cmp_gt_i64_e32 vcc_lo, v[2:3], v[4:5]
	s_waitcnt vmcnt(0)
	v_subrev_nc_u32_e32 v2, s24, v6
	v_ashrrev_i32_e32 v3, 31, v2
	v_dual_cndmask_b32 v7, v11, v9 :: v_dual_cndmask_b32 v6, v10, v8
	s_delay_alu instid0(VALU_DEP_1)
	v_cmpx_ne_u64_e64 v[6:7], v[2:3]
	s_cbranch_execz .LBB86_148
; %bb.139:
	s_load_b64 s[10:11], s[10:11], 0x0
	s_waitcnt lgkmcnt(0)
	s_sub_u32 s10, s10, s24
	s_subb_u32 s11, s11, 0
	s_delay_alu instid0(SALU_CYCLE_1)
	v_cmp_gt_i64_e32 vcc_lo, s[10:11], v[4:5]
	s_and_b32 exec_lo, exec_lo, vcc_lo
	s_cbranch_execz .LBB86_148
; %bb.140:
	v_cmp_gt_i64_e32 vcc_lo, s[12:13], v[2:3]
	v_cmp_le_i64_e64 s0, s[18:19], v[2:3]
	v_lshlrev_b64 v[4:5], 3, v[6:7]
	s_delay_alu instid0(VALU_DEP_2) | instskip(NEXT) | instid1(SALU_CYCLE_1)
	s_or_b32 s0, vcc_lo, s0
	s_and_saveexec_b32 s10, s0
	s_delay_alu instid0(SALU_CYCLE_1)
	s_xor_b32 s0, exec_lo, s10
	s_cbranch_execz .LBB86_146
; %bb.141:
	s_delay_alu instid0(VALU_DEP_1)
	v_add_co_u32 v4, vcc_lo, s14, v4
	v_add_co_ci_u32_e32 v5, vcc_lo, s15, v5, vcc_lo
	v_lshlrev_b64 v[8:9], 3, v[2:3]
	s_mov_b32 s10, 0
	global_load_b64 v[6:7], v[4:5], off
	v_add_co_u32 v4, vcc_lo, s20, v8
	v_add_co_ci_u32_e32 v5, vcc_lo, s21, v9, vcc_lo
	ds_load_b64 v[8:9], v18 offset:6144
	global_load_b32 v11, v[4:5], off
	s_waitcnt vmcnt(1) lgkmcnt(0)
	v_mul_f32_e64 v12, v7, -v9
	s_delay_alu instid0(VALU_DEP_1)
	v_fmac_f32_e32 v12, v8, v6
.LBB86_142:                             ; =>This Inner Loop Header: Depth=1
	s_waitcnt vmcnt(0)
	s_delay_alu instid0(VALU_DEP_1)
	v_add_f32_e32 v10, v11, v12
	global_atomic_cmpswap_b32 v10, v[4:5], v[10:11], off glc
	s_waitcnt vmcnt(0)
	v_cmp_eq_u32_e32 vcc_lo, v10, v11
	v_mov_b32_e32 v11, v10
	s_or_b32 s10, vcc_lo, s10
	s_delay_alu instid0(SALU_CYCLE_1)
	s_and_not1_b32 exec_lo, exec_lo, s10
	s_cbranch_execnz .LBB86_142
; %bb.143:
	s_or_b32 exec_lo, exec_lo, s10
	global_load_b32 v10, v[4:5], off offset:4
	v_mul_f32_e32 v7, v7, v8
	s_mov_b32 s10, 0
	s_delay_alu instid0(VALU_DEP_1)
	v_fmac_f32_e32 v7, v9, v6
.LBB86_144:                             ; =>This Inner Loop Header: Depth=1
	s_waitcnt vmcnt(0)
	s_delay_alu instid0(VALU_DEP_1)
	v_add_f32_e32 v9, v10, v7
	global_atomic_cmpswap_b32 v6, v[4:5], v[9:10], off offset:4 glc
	s_waitcnt vmcnt(0)
	v_cmp_eq_u32_e32 vcc_lo, v6, v10
	v_mov_b32_e32 v10, v6
	s_or_b32 s10, vcc_lo, s10
	s_delay_alu instid0(SALU_CYCLE_1)
	s_and_not1_b32 exec_lo, exec_lo, s10
	s_cbranch_execnz .LBB86_144
; %bb.145:
	s_or_b32 exec_lo, exec_lo, s10
                                        ; implicit-def: $vgpr4_vgpr5
.LBB86_146:
	s_and_not1_saveexec_b32 s0, s0
	s_cbranch_execz .LBB86_148
; %bb.147:
	v_add_co_u32 v4, vcc_lo, s14, v4
	v_add_co_ci_u32_e32 v5, vcc_lo, s15, v5, vcc_lo
	ds_load_b64 v[6:7], v18 offset:6144
	v_subrev_nc_u32_e32 v8, s12, v2
	global_load_b64 v[4:5], v[4:5], off
	v_lshl_add_u32 v8, v8, 3, 0x2000
	s_waitcnt vmcnt(0) lgkmcnt(0)
	v_mul_f32_e64 v9, v5, -v7
	v_mul_f32_e32 v5, v5, v6
	s_delay_alu instid0(VALU_DEP_2) | instskip(NEXT) | instid1(VALU_DEP_2)
	v_fmac_f32_e32 v9, v6, v4
	v_fmac_f32_e32 v5, v7, v4
	ds_add_f32 v8, v9
	ds_add_f32 v8, v5 offset:4
.LBB86_148:
	s_or_b32 exec_lo, exec_lo, s7
	v_lshlrev_b64 v[2:3], 3, v[2:3]
	ds_load_b64 v[4:5], v18 offset:6144
	v_add_co_u32 v2, vcc_lo, s14, v2
	v_add_co_ci_u32_e32 v3, vcc_lo, s15, v3, vcc_lo
	global_load_b64 v[2:3], v[2:3], off
	s_waitcnt vmcnt(0) lgkmcnt(0)
	v_mul_f32_e64 v6, v3, -v5
	s_delay_alu instid0(VALU_DEP_1) | instskip(NEXT) | instid1(VALU_DEP_1)
	v_dual_mul_f32 v7, v3, v4 :: v_dual_fmac_f32 v6, v4, v2
	v_fmac_f32_e32 v7, v5, v2
	ds_store_b64 v18, v[6:7] offset:6144
.LBB86_149:
	s_or_b32 exec_lo, exec_lo, s1
	v_cmp_lt_i64_e64 s0, s[18:19], s[2:3]
	s_waitcnt lgkmcnt(0)
	s_barrier
	buffer_gl0_inv
	s_and_b32 s0, s0, exec_lo
	s_cselect_b32 s1, s18, s2
	s_cselect_b32 s0, s19, s3
	s_sub_u32 s2, s1, s22
	s_subb_u32 s3, s0, s23
	s_mov_b32 s0, exec_lo
	v_cmpx_gt_i64_e64 s[2:3], v[0:1]
	s_cbranch_execz .LBB86_156
; %bb.150:
	s_lshl_b64 s[10:11], s[12:13], 3
	v_dual_mov_b32 v3, v1 :: v_dual_mov_b32 v2, v0
	s_add_u32 s7, s20, s10
	s_addc_u32 s10, s21, s11
	s_mov_b32 s11, 0
	s_set_inst_prefetch_distance 0x1
	.p2align	6
.LBB86_151:                             ; =>This Loop Header: Depth=1
                                        ;     Child Loop BB86_152 Depth 2
                                        ;     Child Loop BB86_154 Depth 2
	v_lshlrev_b64 v[4:5], 3, v[2:3]
	v_lshl_add_u32 v6, v2, 3, 0x2000
	s_mov_b32 s12, 0
	ds_load_2addr_b32 v[6:7], v6 offset1:1
	v_add_co_u32 v4, vcc_lo, s7, v4
	v_add_co_ci_u32_e32 v5, vcc_lo, s10, v5, vcc_lo
	global_load_b32 v9, v[4:5], off
.LBB86_152:                             ;   Parent Loop BB86_151 Depth=1
                                        ; =>  This Inner Loop Header: Depth=2
	s_waitcnt vmcnt(0) lgkmcnt(0)
	v_add_f32_e32 v8, v9, v6
	global_atomic_cmpswap_b32 v8, v[4:5], v[8:9], off glc
	s_waitcnt vmcnt(0)
	v_cmp_eq_u32_e32 vcc_lo, v8, v9
	v_mov_b32_e32 v9, v8
	s_or_b32 s12, vcc_lo, s12
	s_delay_alu instid0(SALU_CYCLE_1)
	s_and_not1_b32 exec_lo, exec_lo, s12
	s_cbranch_execnz .LBB86_152
; %bb.153:                              ;   in Loop: Header=BB86_151 Depth=1
	s_or_b32 exec_lo, exec_lo, s12
	global_load_b32 v9, v[4:5], off offset:4
	s_mov_b32 s12, 0
.LBB86_154:                             ;   Parent Loop BB86_151 Depth=1
                                        ; =>  This Inner Loop Header: Depth=2
	s_waitcnt vmcnt(0)
	v_add_f32_e32 v8, v9, v7
	global_atomic_cmpswap_b32 v6, v[4:5], v[8:9], off offset:4 glc
	s_waitcnt vmcnt(0)
	v_cmp_eq_u32_e32 vcc_lo, v6, v9
	v_mov_b32_e32 v9, v6
	s_or_b32 s12, vcc_lo, s12
	s_delay_alu instid0(SALU_CYCLE_1)
	s_and_not1_b32 exec_lo, exec_lo, s12
	s_cbranch_execnz .LBB86_154
; %bb.155:                              ;   in Loop: Header=BB86_151 Depth=1
	s_or_b32 exec_lo, exec_lo, s12
	v_add_co_u32 v2, vcc_lo, 0x100, v2
	v_add_co_ci_u32_e32 v3, vcc_lo, 0, v3, vcc_lo
	s_delay_alu instid0(VALU_DEP_1) | instskip(SKIP_1) | instid1(SALU_CYCLE_1)
	v_cmp_le_i64_e32 vcc_lo, s[2:3], v[2:3]
	s_or_b32 s11, vcc_lo, s11
	s_and_not1_b32 exec_lo, exec_lo, s11
	s_cbranch_execnz .LBB86_151
.LBB86_156:
	s_set_inst_prefetch_distance 0x2
	s_or_b32 exec_lo, exec_lo, s0
	s_add_i32 s0, s28, -1
	v_add_co_u32 v6, s10, s16, v0
	s_ashr_i32 s3, s0, 1
	v_add_co_ci_u32_e64 v7, null, s17, 0, s10
	s_or_b32 s0, s3, s0
	s_delay_alu instid0(SALU_CYCLE_1) | instskip(SKIP_4) | instid1(SALU_CYCLE_1)
	s_ashr_i32 s3, s0, 2
	s_barrier
	s_or_b32 s0, s3, s0
	buffer_gl0_inv
	s_ashr_i32 s3, s0, 4
	s_or_b32 s0, s3, s0
	s_delay_alu instid0(SALU_CYCLE_1) | instskip(NEXT) | instid1(SALU_CYCLE_1)
	s_ashr_i32 s3, s0, 8
	s_or_b32 s0, s3, s0
	s_delay_alu instid0(SALU_CYCLE_1) | instskip(NEXT) | instid1(SALU_CYCLE_1)
	s_ashr_i32 s3, s0, 16
	s_or_b32 s3, s3, s0
	s_mov_b32 s0, -1
	s_add_i32 s3, s3, 1
	s_delay_alu instid0(SALU_CYCLE_1) | instskip(NEXT) | instid1(SALU_CYCLE_1)
	s_ashr_i32 s7, s3, 1
	s_cmp_gt_i32 s7, 1
	s_cbranch_scc1 .LBB86_169
; %bb.157:
	s_mov_b32 s0, exec_lo
	v_cmpx_gt_i64_e64 s[18:19], v[6:7]
	s_cbranch_execz .LBB86_168
; %bb.158:
	s_sub_i32 s1, s1, s18
	v_dual_mov_b32 v9, v7 :: v_dual_mov_b32 v8, v6
	s_lshl_b32 s11, s4, 3
	s_lshl_b32 s1, s1, 3
	s_mov_b32 s10, 0
	s_addk_i32 s1, 0x2000
	s_sub_i32 s11, 0, s11
.LBB86_159:                             ; =>This Loop Header: Depth=1
                                        ;     Child Loop BB86_161 Depth 2
                                        ;     Child Loop BB86_164 Depth 2
	;; [unrolled: 1-line block ×3, first 2 shown]
	v_lshlrev_b64 v[10:11], 3, v[8:9]
	v_dual_mov_b32 v14, 0 :: v_dual_mov_b32 v15, 0
	s_mov_b32 s12, exec_lo
	s_delay_alu instid0(VALU_DEP_2) | instskip(NEXT) | instid1(VALU_DEP_3)
	v_add_co_u32 v2, vcc_lo, s8, v10
	v_add_co_ci_u32_e32 v3, vcc_lo, s9, v11, vcc_lo
	global_load_b128 v[2:5], v[2:3], off
	s_waitcnt vmcnt(0)
	v_cmpx_lt_i64_e64 v[2:3], v[4:5]
	s_cbranch_execz .LBB86_163
; %bb.160:                              ;   in Loop: Header=BB86_159 Depth=1
	v_sub_co_u32 v4, vcc_lo, v4, s4
	v_subrev_co_ci_u32_e32 v5, vcc_lo, s5, v5, vcc_lo
	v_sub_co_u32 v12, vcc_lo, v2, s4
	v_subrev_co_ci_u32_e32 v13, vcc_lo, s5, v3, vcc_lo
	v_lshl_add_u32 v2, v2, 3, s11
	v_dual_mov_b32 v14, 0 :: v_dual_mov_b32 v15, 0
	s_mov_b32 s13, 0
.LBB86_161:                             ;   Parent Loop BB86_159 Depth=1
                                        ; =>  This Inner Loop Header: Depth=2
	ds_load_b64 v[16:17], v2
	v_add_co_u32 v12, vcc_lo, v12, 1
	v_add_co_ci_u32_e32 v13, vcc_lo, 0, v13, vcc_lo
	v_add_nc_u32_e32 v2, 8, v2
	s_delay_alu instid0(VALU_DEP_2)
	v_cmp_ge_i64_e32 vcc_lo, v[12:13], v[4:5]
	s_or_b32 s13, vcc_lo, s13
	s_waitcnt lgkmcnt(0)
	v_dual_add_f32 v15, v15, v16 :: v_dual_add_f32 v14, v14, v17
	s_and_not1_b32 exec_lo, exec_lo, s13
	s_cbranch_execnz .LBB86_161
; %bb.162:                              ;   in Loop: Header=BB86_159 Depth=1
	s_or_b32 exec_lo, exec_lo, s13
.LBB86_163:                             ;   in Loop: Header=BB86_159 Depth=1
	s_delay_alu instid0(SALU_CYCLE_1)
	s_or_b32 exec_lo, exec_lo, s12
	v_add_co_u32 v2, vcc_lo, s20, v10
	v_add_co_ci_u32_e32 v3, vcc_lo, s21, v11, vcc_lo
	v_lshl_add_u32 v4, v8, 3, s1
	s_mov_b32 s12, 0
	global_load_b32 v11, v[2:3], off
	ds_load_2addr_b32 v[4:5], v4 offset1:1
	s_waitcnt lgkmcnt(0)
	v_add_f32_e32 v4, v15, v4
.LBB86_164:                             ;   Parent Loop BB86_159 Depth=1
                                        ; =>  This Inner Loop Header: Depth=2
	s_waitcnt vmcnt(0)
	s_delay_alu instid0(VALU_DEP_1)
	v_add_f32_e32 v10, v11, v4
	global_atomic_cmpswap_b32 v10, v[2:3], v[10:11], off glc
	s_waitcnt vmcnt(0)
	v_cmp_eq_u32_e32 vcc_lo, v10, v11
	v_mov_b32_e32 v11, v10
	s_or_b32 s12, vcc_lo, s12
	s_delay_alu instid0(SALU_CYCLE_1)
	s_and_not1_b32 exec_lo, exec_lo, s12
	s_cbranch_execnz .LBB86_164
; %bb.165:                              ;   in Loop: Header=BB86_159 Depth=1
	s_or_b32 exec_lo, exec_lo, s12
	global_load_b32 v11, v[2:3], off offset:4
	v_add_f32_e32 v4, v14, v5
	s_mov_b32 s12, 0
.LBB86_166:                             ;   Parent Loop BB86_159 Depth=1
                                        ; =>  This Inner Loop Header: Depth=2
	s_waitcnt vmcnt(0)
	s_delay_alu instid0(VALU_DEP_1)
	v_add_f32_e32 v10, v11, v4
	global_atomic_cmpswap_b32 v5, v[2:3], v[10:11], off offset:4 glc
	s_waitcnt vmcnt(0)
	v_cmp_eq_u32_e32 vcc_lo, v5, v11
	v_mov_b32_e32 v11, v5
	s_or_b32 s12, vcc_lo, s12
	s_delay_alu instid0(SALU_CYCLE_1)
	s_and_not1_b32 exec_lo, exec_lo, s12
	s_cbranch_execnz .LBB86_166
; %bb.167:                              ;   in Loop: Header=BB86_159 Depth=1
	s_or_b32 exec_lo, exec_lo, s12
	v_add_co_u32 v8, vcc_lo, v8, s6
	v_add_co_ci_u32_e32 v9, vcc_lo, 0, v9, vcc_lo
	s_delay_alu instid0(VALU_DEP_1) | instskip(SKIP_1) | instid1(SALU_CYCLE_1)
	v_cmp_le_i64_e32 vcc_lo, s[18:19], v[8:9]
	s_or_b32 s10, vcc_lo, s10
	s_and_not1_b32 exec_lo, exec_lo, s10
	s_cbranch_execnz .LBB86_159
.LBB86_168:
	s_or_b32 exec_lo, exec_lo, s0
	s_mov_b32 s0, 0
.LBB86_169:
	s_delay_alu instid0(SALU_CYCLE_1)
	s_and_not1_b32 vcc_lo, exec_lo, s0
	s_cbranch_vccnz .LBB86_200
; %bb.170:
	v_cvt_f32_u32_e32 v13, s7
	s_sub_i32 s1, 0, s7
	v_mov_b32_e32 v11, 0
	s_delay_alu instid0(VALU_DEP_2) | instskip(SKIP_2) | instid1(VALU_DEP_1)
	v_rcp_iflag_f32_e32 v2, v13
	s_waitcnt_depctr 0xfff
	v_mul_f32_e32 v2, 0x4f7ffffe, v2
	v_cvt_u32_f32_e32 v2, v2
	s_delay_alu instid0(VALU_DEP_1) | instskip(NEXT) | instid1(VALU_DEP_1)
	v_mul_lo_u32 v3, s1, v2
	v_mul_hi_u32 v3, v2, v3
	s_delay_alu instid0(VALU_DEP_1) | instskip(NEXT) | instid1(VALU_DEP_1)
	v_add_nc_u32_e32 v2, v2, v3
	v_mul_hi_u32 v2, v0, v2
	s_delay_alu instid0(VALU_DEP_1) | instskip(SKIP_1) | instid1(VALU_DEP_2)
	v_mul_lo_u32 v3, v2, s7
	v_add_nc_u32_e32 v4, 1, v2
	v_sub_nc_u32_e32 v3, v0, v3
	s_delay_alu instid0(VALU_DEP_1) | instskip(SKIP_1) | instid1(VALU_DEP_2)
	v_subrev_nc_u32_e32 v5, s7, v3
	v_cmp_le_u32_e32 vcc_lo, s7, v3
	v_dual_cndmask_b32 v2, v2, v4 :: v_dual_cndmask_b32 v3, v3, v5
	s_delay_alu instid0(VALU_DEP_1) | instskip(NEXT) | instid1(VALU_DEP_2)
	v_add_nc_u32_e32 v4, 1, v2
	v_cmp_le_u32_e32 vcc_lo, s7, v3
	s_delay_alu instid0(VALU_DEP_2) | instskip(NEXT) | instid1(VALU_DEP_1)
	v_cndmask_b32_e32 v10, v2, v4, vcc_lo
	v_lshlrev_b64 v[2:3], 3, v[10:11]
	s_delay_alu instid0(VALU_DEP_1) | instskip(NEXT) | instid1(VALU_DEP_2)
	v_add_co_u32 v2, vcc_lo, s26, v2
	v_add_co_ci_u32_e32 v3, vcc_lo, s27, v3, vcc_lo
	global_load_b128 v[2:5], v[2:3], off
	s_waitcnt vmcnt(0)
	v_sub_co_u32 v8, vcc_lo, v2, s4
	v_subrev_co_ci_u32_e32 v9, vcc_lo, s5, v3, vcc_lo
	v_sub_co_u32 v16, vcc_lo, v4, s4
	v_subrev_co_ci_u32_e32 v17, vcc_lo, s5, v5, vcc_lo
	v_mov_b32_e32 v4, v11
	s_delay_alu instid0(VALU_DEP_3) | instskip(NEXT) | instid1(VALU_DEP_3)
	v_sub_co_u32 v12, vcc_lo, v16, v8
	v_sub_co_ci_u32_e32 v5, vcc_lo, v17, v9, vcc_lo
	s_delay_alu instid0(VALU_DEP_1) | instskip(SKIP_1) | instid1(SALU_CYCLE_1)
	v_cmp_ne_u64_e32 vcc_lo, 0, v[4:5]
                                        ; implicit-def: $vgpr3_vgpr4
	s_and_saveexec_b32 s0, vcc_lo
	s_xor_b32 s5, exec_lo, s0
	s_cbranch_execz .LBB86_172
; %bb.171:
	v_cvt_f32_ubyte0_e32 v3, 0
	s_sub_u32 s0, 0, s7
	s_subb_u32 s6, 0, 0
	s_delay_alu instid0(VALU_DEP_1) | instskip(NEXT) | instid1(VALU_DEP_1)
	v_fmamk_f32 v3, v3, 0x4f800000, v13
	v_rcp_f32_e32 v3, v3
	s_waitcnt_depctr 0xfff
	v_mul_f32_e32 v3, 0x5f7ffffc, v3
	s_delay_alu instid0(VALU_DEP_1) | instskip(NEXT) | instid1(VALU_DEP_1)
	v_mul_f32_e32 v4, 0x2f800000, v3
	v_trunc_f32_e32 v4, v4
	s_delay_alu instid0(VALU_DEP_1) | instskip(SKIP_1) | instid1(VALU_DEP_2)
	v_fmamk_f32 v3, v4, 0xcf800000, v3
	v_cvt_u32_f32_e32 v4, v4
	v_cvt_u32_f32_e32 v3, v3
	s_delay_alu instid0(VALU_DEP_2) | instskip(NEXT) | instid1(VALU_DEP_2)
	v_mul_lo_u32 v13, s0, v4
	v_mul_hi_u32 v14, s0, v3
	v_mul_lo_u32 v15, s6, v3
	s_delay_alu instid0(VALU_DEP_2) | instskip(SKIP_1) | instid1(VALU_DEP_2)
	v_add_nc_u32_e32 v13, v14, v13
	v_mul_lo_u32 v14, s0, v3
	v_add_nc_u32_e32 v13, v13, v15
	s_delay_alu instid0(VALU_DEP_2) | instskip(NEXT) | instid1(VALU_DEP_2)
	v_mul_hi_u32 v15, v3, v14
	v_mul_lo_u32 v19, v3, v13
	v_mul_hi_u32 v20, v3, v13
	v_mul_hi_u32 v21, v4, v14
	v_mul_lo_u32 v14, v4, v14
	v_mul_hi_u32 v22, v4, v13
	v_mul_lo_u32 v13, v4, v13
	v_add_co_u32 v15, vcc_lo, v15, v19
	v_add_co_ci_u32_e32 v19, vcc_lo, 0, v20, vcc_lo
	s_delay_alu instid0(VALU_DEP_2) | instskip(NEXT) | instid1(VALU_DEP_2)
	v_add_co_u32 v14, vcc_lo, v15, v14
	v_add_co_ci_u32_e32 v14, vcc_lo, v19, v21, vcc_lo
	v_add_co_ci_u32_e32 v15, vcc_lo, 0, v22, vcc_lo
	v_ashrrev_i32_e32 v21, 31, v5
	s_delay_alu instid0(VALU_DEP_3) | instskip(NEXT) | instid1(VALU_DEP_3)
	v_add_co_u32 v13, vcc_lo, v14, v13
	v_add_co_ci_u32_e32 v14, vcc_lo, 0, v15, vcc_lo
	s_delay_alu instid0(VALU_DEP_2) | instskip(NEXT) | instid1(VALU_DEP_2)
	v_add_co_u32 v3, vcc_lo, v3, v13
	v_add_co_ci_u32_e32 v4, vcc_lo, v4, v14, vcc_lo
	s_delay_alu instid0(VALU_DEP_2) | instskip(SKIP_1) | instid1(VALU_DEP_3)
	v_mul_hi_u32 v13, s0, v3
	v_mul_lo_u32 v15, s6, v3
	v_mul_lo_u32 v14, s0, v4
	s_delay_alu instid0(VALU_DEP_1) | instskip(SKIP_1) | instid1(VALU_DEP_2)
	v_add_nc_u32_e32 v13, v13, v14
	v_mul_lo_u32 v14, s0, v3
	v_add_nc_u32_e32 v13, v13, v15
	s_delay_alu instid0(VALU_DEP_2) | instskip(NEXT) | instid1(VALU_DEP_2)
	v_mul_hi_u32 v15, v3, v14
	v_mul_lo_u32 v19, v3, v13
	v_mul_hi_u32 v20, v3, v13
	v_mul_hi_u32 v22, v4, v14
	v_mul_lo_u32 v14, v4, v14
	v_mul_hi_u32 v23, v4, v13
	v_mul_lo_u32 v13, v4, v13
	v_add_co_u32 v15, vcc_lo, v15, v19
	v_add_co_ci_u32_e32 v19, vcc_lo, 0, v20, vcc_lo
	s_delay_alu instid0(VALU_DEP_2) | instskip(NEXT) | instid1(VALU_DEP_2)
	v_add_co_u32 v14, vcc_lo, v15, v14
	v_add_co_ci_u32_e32 v14, vcc_lo, v19, v22, vcc_lo
	v_add_co_ci_u32_e32 v15, vcc_lo, 0, v23, vcc_lo
	v_add_co_u32 v12, vcc_lo, v12, v21
	v_add_co_ci_u32_e32 v5, vcc_lo, v5, v21, vcc_lo
	s_delay_alu instid0(VALU_DEP_4) | instskip(NEXT) | instid1(VALU_DEP_4)
	v_add_co_u32 v13, vcc_lo, v14, v13
	v_add_co_ci_u32_e32 v14, vcc_lo, 0, v15, vcc_lo
	s_delay_alu instid0(VALU_DEP_4) | instskip(NEXT) | instid1(VALU_DEP_3)
	v_xor_b32_e32 v19, v12, v21
	v_add_co_u32 v15, vcc_lo, v3, v13
	s_delay_alu instid0(VALU_DEP_3) | instskip(SKIP_1) | instid1(VALU_DEP_3)
	v_add_co_ci_u32_e32 v20, vcc_lo, v4, v14, vcc_lo
	v_xor_b32_e32 v5, v5, v21
	v_mul_hi_u32 v22, v19, v15
	s_delay_alu instid0(VALU_DEP_3) | instskip(NEXT) | instid1(VALU_DEP_3)
	v_mad_u64_u32 v[3:4], null, v19, v20, 0
	v_mad_u64_u32 v[12:13], null, v5, v15, 0
	;; [unrolled: 1-line block ×3, first 2 shown]
	s_delay_alu instid0(VALU_DEP_3) | instskip(NEXT) | instid1(VALU_DEP_4)
	v_add_co_u32 v3, vcc_lo, v22, v3
	v_add_co_ci_u32_e32 v4, vcc_lo, 0, v4, vcc_lo
	s_delay_alu instid0(VALU_DEP_2) | instskip(NEXT) | instid1(VALU_DEP_2)
	v_add_co_u32 v3, vcc_lo, v3, v12
	v_add_co_ci_u32_e32 v3, vcc_lo, v4, v13, vcc_lo
	v_add_co_ci_u32_e32 v4, vcc_lo, 0, v15, vcc_lo
	s_delay_alu instid0(VALU_DEP_2) | instskip(NEXT) | instid1(VALU_DEP_2)
	v_add_co_u32 v14, vcc_lo, v3, v14
	v_add_co_ci_u32_e32 v15, vcc_lo, 0, v4, vcc_lo
	s_delay_alu instid0(VALU_DEP_2) | instskip(NEXT) | instid1(VALU_DEP_1)
	v_mad_u64_u32 v[3:4], null, s7, v14, 0
	v_mad_u64_u32 v[12:13], null, s7, v15, v[4:5]
	s_delay_alu instid0(VALU_DEP_2) | instskip(NEXT) | instid1(VALU_DEP_2)
	v_sub_co_u32 v3, vcc_lo, v19, v3
	v_sub_co_ci_u32_e32 v4, vcc_lo, v5, v12, vcc_lo
	s_delay_alu instid0(VALU_DEP_2) | instskip(NEXT) | instid1(VALU_DEP_2)
	v_sub_co_u32 v5, vcc_lo, v3, s7
	v_subrev_co_ci_u32_e32 v12, vcc_lo, 0, v4, vcc_lo
	s_delay_alu instid0(VALU_DEP_2)
	v_cmp_le_u32_e32 vcc_lo, s7, v5
	v_cmp_eq_u32_e64 s0, 0, v4
	v_cndmask_b32_e64 v5, 0, -1, vcc_lo
	v_add_co_u32 v13, vcc_lo, v14, 2
	v_add_co_ci_u32_e32 v19, vcc_lo, 0, v15, vcc_lo
	v_cmp_le_u32_e32 vcc_lo, s7, v3
	v_cndmask_b32_e64 v3, 0, -1, vcc_lo
	v_cmp_eq_u32_e32 vcc_lo, 0, v12
	s_delay_alu instid0(VALU_DEP_2) | instskip(SKIP_3) | instid1(VALU_DEP_3)
	v_cndmask_b32_e64 v3, -1, v3, s0
	v_cndmask_b32_e32 v5, -1, v5, vcc_lo
	v_add_co_u32 v12, vcc_lo, v14, 1
	v_add_co_ci_u32_e32 v20, vcc_lo, 0, v15, vcc_lo
	v_cmp_ne_u32_e32 vcc_lo, 0, v5
	s_delay_alu instid0(VALU_DEP_2) | instskip(NEXT) | instid1(VALU_DEP_4)
	v_cndmask_b32_e32 v4, v20, v19, vcc_lo
	v_cndmask_b32_e32 v5, v12, v13, vcc_lo
	v_cmp_ne_u32_e32 vcc_lo, 0, v3
                                        ; implicit-def: $vgpr12
	s_delay_alu instid0(VALU_DEP_2) | instskip(NEXT) | instid1(VALU_DEP_1)
	v_dual_cndmask_b32 v3, v15, v4 :: v_dual_cndmask_b32 v4, v14, v5
	v_xor_b32_e32 v5, v3, v21
	s_delay_alu instid0(VALU_DEP_2) | instskip(NEXT) | instid1(VALU_DEP_1)
	v_xor_b32_e32 v4, v4, v21
	v_sub_co_u32 v3, vcc_lo, v4, v21
	s_delay_alu instid0(VALU_DEP_3)
	v_sub_co_ci_u32_e32 v4, vcc_lo, v5, v21, vcc_lo
.LBB86_172:
	s_and_not1_saveexec_b32 s0, s5
	s_cbranch_execz .LBB86_174
; %bb.173:
	v_cvt_f32_u32_e32 v3, s7
	s_delay_alu instid0(VALU_DEP_1) | instskip(SKIP_2) | instid1(VALU_DEP_1)
	v_rcp_iflag_f32_e32 v3, v3
	s_waitcnt_depctr 0xfff
	v_mul_f32_e32 v3, 0x4f7ffffe, v3
	v_cvt_u32_f32_e32 v3, v3
	s_delay_alu instid0(VALU_DEP_1) | instskip(NEXT) | instid1(VALU_DEP_1)
	v_mul_lo_u32 v4, s1, v3
	v_mul_hi_u32 v4, v3, v4
	s_delay_alu instid0(VALU_DEP_1) | instskip(NEXT) | instid1(VALU_DEP_1)
	v_add_nc_u32_e32 v3, v3, v4
	v_mul_hi_u32 v3, v12, v3
	s_delay_alu instid0(VALU_DEP_1) | instskip(SKIP_1) | instid1(VALU_DEP_2)
	v_mul_lo_u32 v4, v3, s7
	v_add_nc_u32_e32 v5, 1, v3
	v_sub_nc_u32_e32 v4, v12, v4
	s_delay_alu instid0(VALU_DEP_1) | instskip(SKIP_1) | instid1(VALU_DEP_2)
	v_subrev_nc_u32_e32 v12, s7, v4
	v_cmp_le_u32_e32 vcc_lo, s7, v4
	v_dual_cndmask_b32 v4, v4, v12 :: v_dual_cndmask_b32 v3, v3, v5
	s_delay_alu instid0(VALU_DEP_1) | instskip(NEXT) | instid1(VALU_DEP_2)
	v_cmp_le_u32_e32 vcc_lo, s7, v4
	v_dual_mov_b32 v4, 0 :: v_dual_add_nc_u32 v5, 1, v3
	s_delay_alu instid0(VALU_DEP_1)
	v_cndmask_b32_e32 v3, v3, v5, vcc_lo
.LBB86_174:
	s_or_b32 exec_lo, exec_lo, s0
	v_cmp_gt_i64_e32 vcc_lo, s[22:23], v[10:11]
	v_dual_mov_b32 v11, 0 :: v_dual_mov_b32 v10, 0
	s_and_saveexec_b32 s5, vcc_lo
	s_cbranch_execz .LBB86_188
; %bb.175:
	s_add_i32 s0, s7, -1
	v_mov_b32_e32 v10, 0
	v_dual_mov_b32 v11, 0 :: v_dual_and_b32 v12, s0, v0
	s_mov_b32 s6, exec_lo
	v_cmpx_lt_i64_e32 0, v[3:4]
	s_cbranch_execz .LBB86_185
; %bb.176:
	v_dual_mov_b32 v10, 0 :: v_dual_mov_b32 v13, 0
	v_dual_mov_b32 v14, 0 :: v_dual_mov_b32 v11, 0
	s_mov_b32 s8, exec_lo
	v_cmpx_lt_u64_e32 3, v[3:4]
	s_cbranch_execz .LBB86_180
; %bb.177:
	v_dual_mov_b32 v11, 0 :: v_dual_and_b32 v14, 0x7fffffff, v4
	v_add_nc_u32_e32 v5, v12, v2
	v_and_b32_e32 v13, -4, v3
	s_lshl_b32 s9, s7, 5
	s_delay_alu instid0(VALU_DEP_3) | instskip(SKIP_4) | instid1(VALU_DEP_1)
	v_mov_b32_e32 v10, v11
	s_lshl_b32 s11, s7, 3
	v_subrev_nc_u32_e32 v5, s4, v5
	s_mov_b32 s10, 0
	s_mov_b64 s[0:1], 0
	v_lshlrev_b32_e32 v5, 3, v5
	.p2align	6
.LBB86_178:                             ; =>This Inner Loop Header: Depth=1
	ds_load_b64 v[19:20], v5
	v_add_nc_u32_e32 v15, s11, v5
	s_add_u32 s0, s0, 4
	s_addc_u32 s1, s1, 0
	v_add_nc_u32_e32 v5, s9, v5
	v_cmp_eq_u64_e32 vcc_lo, s[0:1], v[13:14]
	s_or_b32 s10, vcc_lo, s10
	s_waitcnt lgkmcnt(0)
	v_add_f32_e32 v10, v10, v19
	v_add_nc_u32_e32 v25, s11, v15
	ds_load_b64 v[21:22], v15
	ds_load_b64 v[23:24], v25
	s_waitcnt lgkmcnt(1)
	v_add_f32_e32 v10, v10, v21
	s_waitcnt lgkmcnt(0)
	s_delay_alu instid0(VALU_DEP_1) | instskip(SKIP_3) | instid1(VALU_DEP_1)
	v_dual_add_f32 v10, v10, v23 :: v_dual_add_nc_u32 v15, s11, v25
	ds_load_b64 v[25:26], v15
	s_waitcnt lgkmcnt(0)
	v_dual_add_f32 v11, v11, v20 :: v_dual_add_f32 v10, v10, v25
	v_add_f32_e32 v11, v11, v22
	s_delay_alu instid0(VALU_DEP_1) | instskip(NEXT) | instid1(VALU_DEP_1)
	v_add_f32_e32 v11, v11, v24
	v_add_f32_e32 v11, v11, v26
	s_and_not1_b32 exec_lo, exec_lo, s10
	s_cbranch_execnz .LBB86_178
; %bb.179:
	s_or_b32 exec_lo, exec_lo, s10
.LBB86_180:
	s_delay_alu instid0(SALU_CYCLE_1) | instskip(SKIP_2) | instid1(VALU_DEP_1)
	s_or_b32 exec_lo, exec_lo, s8
	v_dual_mov_b32 v15, 0 :: v_dual_and_b32 v14, 3, v3
	s_mov_b32 s0, exec_lo
	v_cmpx_ne_u64_e32 0, v[14:15]
	s_cbranch_execz .LBB86_184
; %bb.181:
	v_mul_lo_u32 v5, s7, v13
	s_mov_b32 s1, 0
	s_delay_alu instid0(VALU_DEP_1) | instskip(NEXT) | instid1(VALU_DEP_1)
	v_add3_u32 v2, v12, v5, v2
	v_subrev_nc_u32_e32 v2, s4, v2
	s_lshl_b32 s4, s7, 3
	s_delay_alu instid0(VALU_DEP_1)
	v_lshlrev_b32_e32 v2, 3, v2
.LBB86_182:                             ; =>This Inner Loop Header: Depth=1
	ds_load_b64 v[19:20], v2
	v_add_co_u32 v14, vcc_lo, v14, -1
	v_add_co_ci_u32_e32 v15, vcc_lo, -1, v15, vcc_lo
	v_add_nc_u32_e32 v2, s4, v2
	s_delay_alu instid0(VALU_DEP_2)
	v_cmp_eq_u64_e32 vcc_lo, 0, v[14:15]
	s_or_b32 s1, vcc_lo, s1
	s_waitcnt lgkmcnt(0)
	v_dual_add_f32 v11, v11, v20 :: v_dual_add_f32 v10, v10, v19
	s_and_not1_b32 exec_lo, exec_lo, s1
	s_cbranch_execnz .LBB86_182
; %bb.183:
	s_or_b32 exec_lo, exec_lo, s1
.LBB86_184:
	s_delay_alu instid0(SALU_CYCLE_1)
	s_or_b32 exec_lo, exec_lo, s0
.LBB86_185:
	s_delay_alu instid0(SALU_CYCLE_1) | instskip(SKIP_3) | instid1(VALU_DEP_2)
	s_or_b32 exec_lo, exec_lo, s6
	v_mad_u64_u32 v[14:15], null, v3, s7, v[8:9]
	v_mov_b32_e32 v13, 0
	s_mov_b32 s0, exec_lo
	v_mov_b32_e32 v2, v15
	s_delay_alu instid0(VALU_DEP_1) | instskip(NEXT) | instid1(VALU_DEP_4)
	v_mad_u64_u32 v[8:9], null, v4, s7, v[2:3]
	v_sub_co_u32 v2, vcc_lo, v16, v14
	s_delay_alu instid0(VALU_DEP_2) | instskip(NEXT) | instid1(VALU_DEP_1)
	v_mov_b32_e32 v3, v8
	v_sub_co_ci_u32_e32 v3, vcc_lo, v17, v3, vcc_lo
	s_delay_alu instid0(VALU_DEP_1)
	v_cmpx_gt_i64_e64 v[2:3], v[12:13]
	s_cbranch_execz .LBB86_187
; %bb.186:
	v_add_lshl_u32 v2, v12, v14, 3
	ds_load_b64 v[2:3], v2
	s_waitcnt lgkmcnt(0)
	v_dual_add_f32 v10, v10, v2 :: v_dual_add_f32 v11, v11, v3
.LBB86_187:
	s_or_b32 exec_lo, exec_lo, s0
.LBB86_188:
	s_delay_alu instid0(SALU_CYCLE_1)
	s_or_b32 exec_lo, exec_lo, s5
	v_cmp_gt_i64_e32 vcc_lo, s[22:23], v[0:1]
	s_barrier
	buffer_gl0_inv
	ds_store_b64 v18, v[10:11]
	s_waitcnt lgkmcnt(0)
	s_barrier
	buffer_gl0_inv
	s_and_b32 exec_lo, exec_lo, vcc_lo
	s_cbranch_execz .LBB86_200
; %bb.189:
	v_mul_lo_u32 v1, s7, v0
	v_mov_b32_e32 v5, 0
	s_cmp_lt_u32 s7, 8
	s_cbranch_scc1 .LBB86_192
; %bb.190:
	s_delay_alu instid0(VALU_DEP_2)
	v_dual_mov_b32 v5, 0 :: v_dual_lshlrev_b32 v2, 3, v1
	v_mov_b32_e32 v8, 0
	s_and_b32 s0, s7, 0x7ffffff8
	s_mov_b32 s1, 0
	.p2align	6
.LBB86_191:                             ; =>This Inner Loop Header: Depth=1
	ds_load_2addr_b64 v[9:12], v2 offset1:1
	ds_load_2addr_b64 v[13:16], v2 offset0:2 offset1:3
	ds_load_2addr_b64 v[17:20], v2 offset0:4 offset1:5
	s_add_i32 s1, s1, 8
	s_delay_alu instid0(SALU_CYCLE_1) | instskip(SKIP_2) | instid1(VALU_DEP_1)
	s_cmp_eq_u32 s0, s1
	s_waitcnt lgkmcnt(2)
	v_dual_add_f32 v3, v5, v9 :: v_dual_add_f32 v4, v8, v10
	v_dual_add_f32 v3, v3, v11 :: v_dual_add_f32 v4, v4, v12
	ds_load_2addr_b64 v[8:11], v2 offset0:6 offset1:7
	s_waitcnt lgkmcnt(2)
	v_dual_add_f32 v3, v3, v13 :: v_dual_add_nc_u32 v2, 64, v2
	s_delay_alu instid0(VALU_DEP_1) | instskip(SKIP_1) | instid1(VALU_DEP_1)
	v_dual_add_f32 v4, v4, v14 :: v_dual_add_f32 v3, v3, v15
	s_waitcnt lgkmcnt(1)
	v_dual_add_f32 v4, v4, v16 :: v_dual_add_f32 v3, v3, v17
	s_delay_alu instid0(VALU_DEP_1) | instskip(NEXT) | instid1(VALU_DEP_1)
	v_dual_add_f32 v4, v4, v18 :: v_dual_add_f32 v3, v3, v19
	v_add_f32_e32 v4, v4, v20
	s_waitcnt lgkmcnt(0)
	s_delay_alu instid0(VALU_DEP_1) | instskip(NEXT) | instid1(VALU_DEP_1)
	v_dual_add_f32 v3, v3, v8 :: v_dual_add_f32 v4, v4, v9
	v_dual_add_f32 v5, v3, v10 :: v_dual_add_f32 v8, v4, v11
	s_cbranch_scc0 .LBB86_191
	s_branch .LBB86_193
.LBB86_192:
	v_mov_b32_e32 v8, 0
	s_mov_b32 s0, 0
.LBB86_193:
	s_bfe_u32 s1, s3, 0x30001
	s_delay_alu instid0(SALU_CYCLE_1)
	s_cmp_eq_u32 s1, 0
	s_cbranch_scc1 .LBB86_196
; %bb.194:
	v_add_lshl_u32 v1, s0, v1, 3
.LBB86_195:                             ; =>This Inner Loop Header: Depth=1
	ds_load_b64 v[2:3], v1
	v_add_nc_u32_e32 v1, 8, v1
	s_add_i32 s1, s1, -1
	s_delay_alu instid0(SALU_CYCLE_1)
	s_cmp_lg_u32 s1, 0
	s_waitcnt lgkmcnt(0)
	v_dual_add_f32 v8, v8, v3 :: v_dual_add_f32 v5, v5, v2
	s_cbranch_scc1 .LBB86_195
.LBB86_196:
	v_lshlrev_b64 v[1:2], 3, v[6:7]
	v_lshlrev_b32_e32 v0, 3, v0
	s_lshl_b32 s0, s2, 3
	s_delay_alu instid0(VALU_DEP_1) | instid1(SALU_CYCLE_1)
	v_add3_u32 v0, 0x2000, s0, v0
	s_delay_alu instid0(VALU_DEP_3) | instskip(NEXT) | instid1(VALU_DEP_4)
	v_add_co_u32 v1, vcc_lo, s20, v1
	v_add_co_ci_u32_e32 v2, vcc_lo, s21, v2, vcc_lo
	ds_load_2addr_b32 v[3:4], v0 offset1:1
	s_mov_b32 s0, 0
	global_load_b32 v6, v[1:2], off
	s_waitcnt lgkmcnt(0)
	v_add_f32_e32 v0, v5, v3
.LBB86_197:                             ; =>This Inner Loop Header: Depth=1
	s_waitcnt vmcnt(0)
	s_delay_alu instid0(VALU_DEP_1)
	v_add_f32_e32 v5, v6, v0
	global_atomic_cmpswap_b32 v3, v[1:2], v[5:6], off glc
	s_waitcnt vmcnt(0)
	v_cmp_eq_u32_e32 vcc_lo, v3, v6
	v_mov_b32_e32 v6, v3
	s_or_b32 s0, vcc_lo, s0
	s_delay_alu instid0(SALU_CYCLE_1)
	s_and_not1_b32 exec_lo, exec_lo, s0
	s_cbranch_execnz .LBB86_197
; %bb.198:
	s_or_b32 exec_lo, exec_lo, s0
	global_load_b32 v5, v[1:2], off offset:4
	v_add_f32_e32 v0, v8, v4
	s_mov_b32 s0, 0
.LBB86_199:                             ; =>This Inner Loop Header: Depth=1
	s_waitcnt vmcnt(0)
	s_delay_alu instid0(VALU_DEP_1)
	v_add_f32_e32 v4, v5, v0
	global_atomic_cmpswap_b32 v3, v[1:2], v[4:5], off offset:4 glc
	s_waitcnt vmcnt(0)
	v_cmp_eq_u32_e32 vcc_lo, v3, v5
	v_mov_b32_e32 v5, v3
	s_or_b32 s0, vcc_lo, s0
	s_delay_alu instid0(SALU_CYCLE_1)
	s_and_not1_b32 exec_lo, exec_lo, s0
	s_cbranch_execnz .LBB86_199
.LBB86_200:
	s_endpgm
	.section	.rodata,"a",@progbits
	.p2align	6, 0x0
	.amdhsa_kernel _ZN9rocsparseL27csrmvn_symm_adaptive_kernelIlif21rocsparse_complex_numIfES2_S2_EEvbT_S3_PKS3_NS_24const_host_device_scalarIT4_EES5_PKT0_PKT1_PKT2_S8_PT3_21rocsparse_index_base_b
		.amdhsa_group_segment_fixed_size 8192
		.amdhsa_private_segment_fixed_size 0
		.amdhsa_kernarg_size 352
		.amdhsa_user_sgpr_count 15
		.amdhsa_user_sgpr_dispatch_ptr 0
		.amdhsa_user_sgpr_queue_ptr 0
		.amdhsa_user_sgpr_kernarg_segment_ptr 1
		.amdhsa_user_sgpr_dispatch_id 0
		.amdhsa_user_sgpr_private_segment_size 0
		.amdhsa_wavefront_size32 1
		.amdhsa_uses_dynamic_stack 0
		.amdhsa_enable_private_segment 0
		.amdhsa_system_sgpr_workgroup_id_x 1
		.amdhsa_system_sgpr_workgroup_id_y 0
		.amdhsa_system_sgpr_workgroup_id_z 0
		.amdhsa_system_sgpr_workgroup_info 0
		.amdhsa_system_vgpr_workitem_id 0
		.amdhsa_next_free_vgpr 27
		.amdhsa_next_free_sgpr 41
		.amdhsa_reserve_vcc 1
		.amdhsa_float_round_mode_32 0
		.amdhsa_float_round_mode_16_64 0
		.amdhsa_float_denorm_mode_32 3
		.amdhsa_float_denorm_mode_16_64 3
		.amdhsa_dx10_clamp 1
		.amdhsa_ieee_mode 1
		.amdhsa_fp16_overflow 0
		.amdhsa_workgroup_processor_mode 1
		.amdhsa_memory_ordered 1
		.amdhsa_forward_progress 0
		.amdhsa_shared_vgpr_count 0
		.amdhsa_exception_fp_ieee_invalid_op 0
		.amdhsa_exception_fp_denorm_src 0
		.amdhsa_exception_fp_ieee_div_zero 0
		.amdhsa_exception_fp_ieee_overflow 0
		.amdhsa_exception_fp_ieee_underflow 0
		.amdhsa_exception_fp_ieee_inexact 0
		.amdhsa_exception_int_div_zero 0
	.end_amdhsa_kernel
	.section	.text._ZN9rocsparseL27csrmvn_symm_adaptive_kernelIlif21rocsparse_complex_numIfES2_S2_EEvbT_S3_PKS3_NS_24const_host_device_scalarIT4_EES5_PKT0_PKT1_PKT2_S8_PT3_21rocsparse_index_base_b,"axG",@progbits,_ZN9rocsparseL27csrmvn_symm_adaptive_kernelIlif21rocsparse_complex_numIfES2_S2_EEvbT_S3_PKS3_NS_24const_host_device_scalarIT4_EES5_PKT0_PKT1_PKT2_S8_PT3_21rocsparse_index_base_b,comdat
.Lfunc_end86:
	.size	_ZN9rocsparseL27csrmvn_symm_adaptive_kernelIlif21rocsparse_complex_numIfES2_S2_EEvbT_S3_PKS3_NS_24const_host_device_scalarIT4_EES5_PKT0_PKT1_PKT2_S8_PT3_21rocsparse_index_base_b, .Lfunc_end86-_ZN9rocsparseL27csrmvn_symm_adaptive_kernelIlif21rocsparse_complex_numIfES2_S2_EEvbT_S3_PKS3_NS_24const_host_device_scalarIT4_EES5_PKT0_PKT1_PKT2_S8_PT3_21rocsparse_index_base_b
                                        ; -- End function
	.section	.AMDGPU.csdata,"",@progbits
; Kernel info:
; codeLenInByte = 10796
; NumSgprs: 43
; NumVgprs: 27
; ScratchSize: 0
; MemoryBound: 0
; FloatMode: 240
; IeeeMode: 1
; LDSByteSize: 8192 bytes/workgroup (compile time only)
; SGPRBlocks: 5
; VGPRBlocks: 3
; NumSGPRsForWavesPerEU: 43
; NumVGPRsForWavesPerEU: 27
; Occupancy: 16
; WaveLimiterHint : 1
; COMPUTE_PGM_RSRC2:SCRATCH_EN: 0
; COMPUTE_PGM_RSRC2:USER_SGPR: 15
; COMPUTE_PGM_RSRC2:TRAP_HANDLER: 0
; COMPUTE_PGM_RSRC2:TGID_X_EN: 1
; COMPUTE_PGM_RSRC2:TGID_Y_EN: 0
; COMPUTE_PGM_RSRC2:TGID_Z_EN: 0
; COMPUTE_PGM_RSRC2:TIDIG_COMP_CNT: 0
	.section	.text._ZL33csrmvn_symm_large_adaptive_kernelIlif21rocsparse_complex_numIfES1_S1_EvbT_PKS2_N9rocsparse24const_host_device_scalarIT4_EES4_PKT0_PKT1_PKT2_S8_PT3_21rocsparse_index_base_b,"axG",@progbits,_ZL33csrmvn_symm_large_adaptive_kernelIlif21rocsparse_complex_numIfES1_S1_EvbT_PKS2_N9rocsparse24const_host_device_scalarIT4_EES4_PKT0_PKT1_PKT2_S8_PT3_21rocsparse_index_base_b,comdat
	.globl	_ZL33csrmvn_symm_large_adaptive_kernelIlif21rocsparse_complex_numIfES1_S1_EvbT_PKS2_N9rocsparse24const_host_device_scalarIT4_EES4_PKT0_PKT1_PKT2_S8_PT3_21rocsparse_index_base_b ; -- Begin function _ZL33csrmvn_symm_large_adaptive_kernelIlif21rocsparse_complex_numIfES1_S1_EvbT_PKS2_N9rocsparse24const_host_device_scalarIT4_EES4_PKT0_PKT1_PKT2_S8_PT3_21rocsparse_index_base_b
	.p2align	8
	.type	_ZL33csrmvn_symm_large_adaptive_kernelIlif21rocsparse_complex_numIfES1_S1_EvbT_PKS2_N9rocsparse24const_host_device_scalarIT4_EES4_PKT0_PKT1_PKT2_S8_PT3_21rocsparse_index_base_b,@function
_ZL33csrmvn_symm_large_adaptive_kernelIlif21rocsparse_complex_numIfES1_S1_EvbT_PKS2_N9rocsparse24const_host_device_scalarIT4_EES4_PKT0_PKT1_PKT2_S8_PT3_21rocsparse_index_base_b: ; @_ZL33csrmvn_symm_large_adaptive_kernelIlif21rocsparse_complex_numIfES1_S1_EvbT_PKS2_N9rocsparse24const_host_device_scalarIT4_EES4_PKT0_PKT1_PKT2_S8_PT3_21rocsparse_index_base_b
; %bb.0:
	s_clause 0x2
	s_load_b64 s[6:7], s[0:1], 0x50
	s_load_b64 s[8:9], s[0:1], 0x18
	;; [unrolled: 1-line block ×3, first 2 shown]
	s_mov_b32 s4, s15
	s_waitcnt lgkmcnt(0)
	s_bitcmp1_b32 s7, 0
	v_mov_b32_e32 v10, s8
	s_cselect_b32 s5, -1, 0
	s_delay_alu instid0(SALU_CYCLE_1)
	s_and_b32 vcc_lo, exec_lo, s5
	s_xor_b32 s5, s5, -1
	s_cbranch_vccz .LBB87_10
; %bb.1:
	v_cndmask_b32_e64 v2, 0, 1, s5
	v_mov_b32_e32 v11, s9
	s_and_not1_b32 vcc_lo, exec_lo, s5
	s_cbranch_vccz .LBB87_11
.LBB87_2:
	s_delay_alu instid0(VALU_DEP_2)
	v_cmp_ne_u32_e32 vcc_lo, 1, v2
	v_mov_b32_e32 v1, s2
	s_cbranch_vccz .LBB87_12
.LBB87_3:
	v_cmp_ne_u32_e32 vcc_lo, 1, v2
	v_mov_b32_e32 v2, s3
	s_cbranch_vccnz .LBB87_5
.LBB87_4:
	v_dual_mov_b32 v2, s2 :: v_dual_mov_b32 v3, s3
	flat_load_b32 v2, v[2:3] offset:4
.LBB87_5:
	s_waitcnt vmcnt(0) lgkmcnt(0)
	v_cmp_eq_f32_e32 vcc_lo, 0, v10
	v_cmp_eq_f32_e64 s2, 0, v11
	s_delay_alu instid0(VALU_DEP_1)
	s_and_b32 s5, vcc_lo, s2
	s_mov_b32 s2, -1
	s_and_saveexec_b32 s3, s5
; %bb.6:
	v_and_b32_e32 v2, 0x7fffffff, v2
	v_cmp_neq_f32_e32 vcc_lo, 1.0, v1
	s_delay_alu instid0(VALU_DEP_2) | instskip(NEXT) | instid1(VALU_DEP_1)
	v_cmp_ne_u32_e64 s2, 0, v2
	s_or_b32 s2, vcc_lo, s2
	s_delay_alu instid0(SALU_CYCLE_1)
	s_or_not1_b32 s2, s2, exec_lo
; %bb.7:
	s_or_b32 exec_lo, exec_lo, s3
	s_and_saveexec_b32 s3, s2
	s_cbranch_execz .LBB87_55
; %bb.8:
	s_load_b64 s[8:9], s[0:1], 0x10
	s_mov_b32 s2, 0
	s_ashr_i32 s5, s4, 31
	s_mov_b32 s3, s2
	v_dual_mov_b32 v1, s2 :: v_dual_lshlrev_b32 v8, 3, v0
	v_mov_b32_e32 v2, s3
	s_lshl_b64 s[4:5], s[4:5], 3
	ds_store_2addr_stride64_b64 v8, v[1:2], v[1:2] offset1:4
	ds_store_2addr_stride64_b64 v8, v[1:2], v[1:2] offset0:8 offset1:12
	s_waitcnt lgkmcnt(0)
	s_barrier
	buffer_gl0_inv
	s_add_u32 s4, s8, s4
	s_addc_u32 s5, s9, s5
	s_load_b128 s[16:19], s[4:5], 0x0
	s_clause 0x1
	s_load_b256 s[8:15], s[0:1], 0x20
	s_load_b64 s[20:21], s[0:1], 0x48
	v_sub_co_u32 v9, s1, v0, s6
	s_delay_alu instid0(VALU_DEP_1) | instskip(SKIP_2) | instid1(VALU_DEP_1)
	v_sub_co_ci_u32_e64 v12, null, 0, 0, s1
	s_waitcnt lgkmcnt(0)
	v_cmp_lt_i64_e64 s0, s[16:17], s[18:19]
	s_and_b32 vcc_lo, exec_lo, s0
	s_cbranch_vccnz .LBB87_13
; %bb.9:
	s_lshl_b64 s[0:1], s[16:17], 3
	s_delay_alu instid0(SALU_CYCLE_1)
	s_add_u32 s0, s8, s0
	s_addc_u32 s1, s9, s1
	s_load_b64 s[22:23], s[0:1], 0x0
	s_and_not1_b32 vcc_lo, exec_lo, s2
	s_cbranch_vccz .LBB87_14
	s_branch .LBB87_43
.LBB87_10:
	v_dual_mov_b32 v1, s8 :: v_dual_mov_b32 v2, s9
	flat_load_b32 v10, v[1:2]
	v_cndmask_b32_e64 v2, 0, 1, s5
	v_mov_b32_e32 v11, s9
	s_and_not1_b32 vcc_lo, exec_lo, s5
	s_cbranch_vccnz .LBB87_2
.LBB87_11:
	v_dual_mov_b32 v3, s8 :: v_dual_mov_b32 v4, s9
	flat_load_b32 v11, v[3:4] offset:4
	v_cmp_ne_u32_e32 vcc_lo, 1, v2
	v_mov_b32_e32 v1, s2
	s_cbranch_vccnz .LBB87_3
.LBB87_12:
	v_dual_mov_b32 v4, s3 :: v_dual_mov_b32 v3, s2
	flat_load_b32 v1, v[3:4]
	v_cmp_ne_u32_e32 vcc_lo, 1, v2
	v_mov_b32_e32 v2, s3
	s_cbranch_vccz .LBB87_4
	s_branch .LBB87_5
.LBB87_13:
                                        ; implicit-def: $sgpr22_sgpr23
.LBB87_14:
	s_lshl_b64 s[0:1], s[16:17], 3
	v_cmp_gt_u32_e64 s2, 16, v0
	s_add_u32 s0, s8, s0
	s_addc_u32 s1, s9, s1
	v_cmp_gt_u32_e64 s3, 4, v0
	s_waitcnt lgkmcnt(0)
	s_load_b64 s[22:23], s[0:1], 0x0
	v_cmp_gt_u32_e64 s0, 0x100, v0
	v_cmp_gt_u32_e64 s1, 64, v0
	v_cmp_eq_u32_e64 s4, 0, v0
	v_mov_b32_e32 v13, 0
	s_add_u32 s7, s8, 8
	s_addc_u32 s33, s9, 0
	s_mov_b64 s[24:25], s[16:17]
	s_waitcnt lgkmcnt(0)
	s_mov_b64 s[26:27], s[22:23]
	s_branch .LBB87_16
.LBB87_15:                              ;   in Loop: Header=BB87_16 Depth=1
	s_or_b32 exec_lo, exec_lo, s5
	s_add_u32 s24, s24, 1
	s_addc_u32 s25, s25, 0
	s_delay_alu instid0(SALU_CYCLE_1) | instskip(NEXT) | instid1(VALU_DEP_1)
	v_cmp_ge_i64_e64 s5, s[24:25], s[18:19]
	s_and_b32 vcc_lo, exec_lo, s5
	s_cbranch_vccnz .LBB87_43
.LBB87_16:                              ; =>This Loop Header: Depth=1
                                        ;     Child Loop BB87_18 Depth 2
                                        ;     Child Loop BB87_32 Depth 2
	;; [unrolled: 1-line block ×5, first 2 shown]
	s_lshl_b64 s[28:29], s[24:25], 3
	s_mov_b64 s[34:35], s[26:27]
	s_add_u32 s30, s7, s28
	s_addc_u32 s31, s33, s29
	v_add_co_u32 v0, vcc_lo, s34, v9
	s_load_b64 s[26:27], s[30:31], 0x0
	v_add_co_ci_u32_e32 v1, vcc_lo, s35, v12, vcc_lo
	v_dual_mov_b32 v3, 0 :: v_dual_mov_b32 v2, 0
	s_mov_b32 s34, exec_lo
	s_waitcnt lgkmcnt(0)
	s_sub_u32 s30, s26, s6
	s_subb_u32 s31, s27, 0
	s_delay_alu instid0(SALU_CYCLE_1)
	v_cmpx_gt_i64_e64 s[30:31], v[0:1]
	s_cbranch_execz .LBB87_20
; %bb.17:                               ;   in Loop: Header=BB87_16 Depth=1
	v_lshlrev_b64 v[6:7], 2, v[0:1]
	v_mov_b32_e32 v3, 0
	s_mov_b32 s35, 0
	s_delay_alu instid0(VALU_DEP_1) | instskip(NEXT) | instid1(VALU_DEP_3)
	v_mov_b32_e32 v2, v3
	v_add_co_u32 v4, vcc_lo, s10, v6
	s_delay_alu instid0(VALU_DEP_4)
	v_add_co_ci_u32_e32 v5, vcc_lo, s11, v7, vcc_lo
	v_add_co_u32 v6, vcc_lo, s12, v6
	v_add_co_ci_u32_e32 v7, vcc_lo, s13, v7, vcc_lo
	s_set_inst_prefetch_distance 0x1
	.p2align	6
.LBB87_18:                              ;   Parent Loop BB87_16 Depth=1
                                        ; =>  This Inner Loop Header: Depth=2
	global_load_b32 v14, v[4:5], off
	s_waitcnt vmcnt(0)
	v_subrev_nc_u32_e32 v14, s6, v14
	s_delay_alu instid0(VALU_DEP_1) | instskip(NEXT) | instid1(VALU_DEP_1)
	v_ashrrev_i32_e32 v15, 31, v14
	v_lshlrev_b64 v[14:15], 3, v[14:15]
	s_delay_alu instid0(VALU_DEP_1) | instskip(NEXT) | instid1(VALU_DEP_2)
	v_add_co_u32 v14, vcc_lo, s14, v14
	v_add_co_ci_u32_e32 v15, vcc_lo, s15, v15, vcc_lo
	v_add_co_u32 v0, vcc_lo, 0x100, v0
	global_load_b32 v16, v[6:7], off
	global_load_b64 v[14:15], v[14:15], off
	v_add_co_ci_u32_e32 v1, vcc_lo, 0, v1, vcc_lo
	v_add_co_u32 v4, vcc_lo, 0x400, v4
	v_add_co_ci_u32_e32 v5, vcc_lo, 0, v5, vcc_lo
	s_delay_alu instid0(VALU_DEP_3) | instskip(SKIP_2) | instid1(VALU_DEP_3)
	v_cmp_le_i64_e64 s5, s[30:31], v[0:1]
	v_add_co_u32 v6, vcc_lo, 0x400, v6
	v_add_co_ci_u32_e32 v7, vcc_lo, 0, v7, vcc_lo
	s_or_b32 s35, s5, s35
	s_waitcnt vmcnt(0)
	v_fmac_f32_e32 v2, v16, v14
	s_delay_alu instid0(VALU_DEP_1) | instskip(NEXT) | instid1(VALU_DEP_1)
	v_dual_fmac_f32 v3, 0, v14 :: v_dual_fmac_f32 v2, 0x80000000, v15
	v_fmac_f32_e32 v3, v16, v15
	s_and_not1_b32 exec_lo, exec_lo, s35
	s_cbranch_execnz .LBB87_18
; %bb.19:                               ;   in Loop: Header=BB87_16 Depth=1
	s_set_inst_prefetch_distance 0x2
	s_or_b32 exec_lo, exec_lo, s35
.LBB87_20:                              ;   in Loop: Header=BB87_16 Depth=1
	s_delay_alu instid0(SALU_CYCLE_1)
	s_or_b32 exec_lo, exec_lo, s34
	ds_store_b64 v8, v[2:3]
	s_waitcnt lgkmcnt(0)
	s_barrier
	buffer_gl0_inv
	s_and_saveexec_b32 s5, s0
	s_cbranch_execz .LBB87_22
; %bb.21:                               ;   in Loop: Header=BB87_16 Depth=1
	ds_load_2addr_stride64_b64 v[0:3], v8 offset1:4
	ds_load_2addr_stride64_b64 v[4:7], v8 offset0:8 offset1:12
	s_waitcnt lgkmcnt(0)
	v_dual_add_f32 v2, v4, v2 :: v_dual_add_f32 v3, v5, v3
	s_delay_alu instid0(VALU_DEP_1) | instskip(NEXT) | instid1(VALU_DEP_1)
	v_dual_add_f32 v2, v2, v6 :: v_dual_add_f32 v3, v3, v7
	v_dual_add_f32 v0, v2, v0 :: v_dual_add_f32 v1, v3, v1
	ds_store_b64 v8, v[0:1]
.LBB87_22:                              ;   in Loop: Header=BB87_16 Depth=1
	s_or_b32 exec_lo, exec_lo, s5
	s_waitcnt lgkmcnt(0)
	s_barrier
	buffer_gl0_inv
	s_and_saveexec_b32 s5, s1
	s_cbranch_execz .LBB87_24
; %bb.23:                               ;   in Loop: Header=BB87_16 Depth=1
	ds_load_2addr_stride64_b64 v[0:3], v8 offset1:1
	ds_load_2addr_stride64_b64 v[4:7], v8 offset0:2 offset1:3
	s_waitcnt lgkmcnt(0)
	v_dual_add_f32 v2, v4, v2 :: v_dual_add_f32 v3, v5, v3
	s_delay_alu instid0(VALU_DEP_1) | instskip(NEXT) | instid1(VALU_DEP_1)
	v_dual_add_f32 v2, v2, v6 :: v_dual_add_f32 v3, v3, v7
	v_dual_add_f32 v0, v2, v0 :: v_dual_add_f32 v1, v3, v1
	ds_store_b64 v8, v[0:1]
.LBB87_24:                              ;   in Loop: Header=BB87_16 Depth=1
	s_or_b32 exec_lo, exec_lo, s5
	s_waitcnt lgkmcnt(0)
	s_barrier
	buffer_gl0_inv
	s_and_saveexec_b32 s5, s2
	s_cbranch_execz .LBB87_26
; %bb.25:                               ;   in Loop: Header=BB87_16 Depth=1
	ds_load_2addr_b64 v[0:3], v8 offset1:16
	ds_load_2addr_b64 v[4:7], v8 offset0:32 offset1:48
	s_waitcnt lgkmcnt(0)
	v_dual_add_f32 v2, v4, v2 :: v_dual_add_f32 v3, v5, v3
	s_delay_alu instid0(VALU_DEP_1) | instskip(NEXT) | instid1(VALU_DEP_1)
	v_dual_add_f32 v2, v2, v6 :: v_dual_add_f32 v3, v3, v7
	v_dual_add_f32 v0, v2, v0 :: v_dual_add_f32 v1, v3, v1
	ds_store_b64 v8, v[0:1]
.LBB87_26:                              ;   in Loop: Header=BB87_16 Depth=1
	s_or_b32 exec_lo, exec_lo, s5
	s_waitcnt lgkmcnt(0)
	s_barrier
	buffer_gl0_inv
	s_and_saveexec_b32 s5, s3
	s_cbranch_execz .LBB87_28
; %bb.27:                               ;   in Loop: Header=BB87_16 Depth=1
	ds_load_2addr_b64 v[0:3], v8 offset1:4
	ds_load_2addr_b64 v[4:7], v8 offset0:8 offset1:12
	s_waitcnt lgkmcnt(0)
	v_dual_add_f32 v2, v4, v2 :: v_dual_add_f32 v3, v5, v3
	s_delay_alu instid0(VALU_DEP_1) | instskip(NEXT) | instid1(VALU_DEP_1)
	v_dual_add_f32 v2, v2, v6 :: v_dual_add_f32 v3, v3, v7
	v_dual_add_f32 v0, v2, v0 :: v_dual_add_f32 v1, v3, v1
	ds_store_b64 v8, v[0:1]
.LBB87_28:                              ;   in Loop: Header=BB87_16 Depth=1
	s_or_b32 exec_lo, exec_lo, s5
	s_waitcnt lgkmcnt(0)
	s_barrier
	buffer_gl0_inv
	s_and_saveexec_b32 s5, s4
	s_cbranch_execz .LBB87_30
; %bb.29:                               ;   in Loop: Header=BB87_16 Depth=1
	ds_load_b128 v[0:3], v13 offset:16
	ds_load_b64 v[4:5], v13 offset:8
	ds_load_b64 v[6:7], v8
	s_waitcnt lgkmcnt(1)
	v_dual_add_f32 v0, v0, v4 :: v_dual_add_f32 v1, v1, v5
	s_delay_alu instid0(VALU_DEP_1) | instskip(SKIP_1) | instid1(VALU_DEP_1)
	v_dual_add_f32 v0, v0, v2 :: v_dual_add_f32 v1, v1, v3
	s_waitcnt lgkmcnt(0)
	v_dual_add_f32 v0, v0, v6 :: v_dual_add_f32 v1, v1, v7
	ds_store_b64 v8, v[0:1]
.LBB87_30:                              ;   in Loop: Header=BB87_16 Depth=1
	s_or_b32 exec_lo, exec_lo, s5
	s_waitcnt lgkmcnt(0)
	s_barrier
	buffer_gl0_inv
	s_and_saveexec_b32 s5, s4
	s_cbranch_execz .LBB87_15
; %bb.31:                               ;   in Loop: Header=BB87_16 Depth=1
	ds_load_b64 v[0:1], v13
	v_bfrev_b32_e32 v4, 1
	s_mov_b32 s30, exec_lo
	s_waitcnt lgkmcnt(0)
	v_mul_f32_e64 v2, v1, -v11
	s_delay_alu instid0(VALU_DEP_1)
	v_fmac_f32_e32 v2, v10, v0
.LBB87_32:                              ;   Parent Loop BB87_16 Depth=1
                                        ; =>  This Inner Loop Header: Depth=2
	s_ctz_i32_b32 s31, s30
	s_delay_alu instid0(VALU_DEP_1) | instid1(SALU_CYCLE_1)
	v_readlane_b32 s34, v2, s31
	s_lshl_b32 s31, 1, s31
	s_delay_alu instid0(SALU_CYCLE_1) | instskip(NEXT) | instid1(SALU_CYCLE_1)
	s_and_not1_b32 s30, s30, s31
	s_cmp_lg_u32 s30, 0
	s_delay_alu instid0(VALU_DEP_1)
	v_add_f32_e32 v4, s34, v4
	s_cbranch_scc1 .LBB87_32
; %bb.33:                               ;   in Loop: Header=BB87_16 Depth=1
	v_mbcnt_lo_u32_b32 v2, exec_lo, 0
	s_add_u32 s28, s20, s28
	s_addc_u32 s29, s21, s29
	s_mov_b32 s30, exec_lo
	s_delay_alu instid0(VALU_DEP_1)
	v_cmpx_eq_u32_e32 0, v2
	s_xor_b32 s30, exec_lo, s30
	s_cbranch_execz .LBB87_37
; %bb.34:                               ;   in Loop: Header=BB87_16 Depth=1
	global_load_b32 v3, v13, s[28:29]
	s_mov_b32 s31, 0
.LBB87_35:                              ;   Parent Loop BB87_16 Depth=1
                                        ; =>  This Inner Loop Header: Depth=2
	s_waitcnt vmcnt(0)
	v_add_f32_e32 v2, v3, v4
	global_atomic_cmpswap_b32 v2, v13, v[2:3], s[28:29] glc
	s_waitcnt vmcnt(0)
	v_cmp_eq_u32_e32 vcc_lo, v2, v3
	v_mov_b32_e32 v3, v2
	s_or_b32 s31, vcc_lo, s31
	s_delay_alu instid0(SALU_CYCLE_1)
	s_and_not1_b32 exec_lo, exec_lo, s31
	s_cbranch_execnz .LBB87_35
; %bb.36:                               ;   in Loop: Header=BB87_16 Depth=1
	s_or_b32 exec_lo, exec_lo, s31
.LBB87_37:                              ;   in Loop: Header=BB87_16 Depth=1
	s_delay_alu instid0(SALU_CYCLE_1) | instskip(SKIP_3) | instid1(VALU_DEP_2)
	s_or_b32 exec_lo, exec_lo, s30
	v_mul_f32_e32 v1, v1, v10
	v_bfrev_b32_e32 v2, 1
	s_mov_b32 s30, exec_lo
	v_fmac_f32_e32 v1, v11, v0
.LBB87_38:                              ;   Parent Loop BB87_16 Depth=1
                                        ; =>  This Inner Loop Header: Depth=2
	s_ctz_i32_b32 s31, s30
	s_delay_alu instid0(VALU_DEP_1) | instid1(SALU_CYCLE_1)
	v_readlane_b32 s34, v1, s31
	s_lshl_b32 s31, 1, s31
	s_delay_alu instid0(SALU_CYCLE_1) | instskip(NEXT) | instid1(SALU_CYCLE_1)
	s_and_not1_b32 s30, s30, s31
	s_cmp_lg_u32 s30, 0
	s_delay_alu instid0(VALU_DEP_1)
	v_add_f32_e32 v2, s34, v2
	s_cbranch_scc1 .LBB87_38
; %bb.39:                               ;   in Loop: Header=BB87_16 Depth=1
	v_mbcnt_lo_u32_b32 v0, exec_lo, 0
	s_mov_b32 s30, exec_lo
	s_delay_alu instid0(VALU_DEP_1)
	v_cmpx_eq_u32_e32 0, v0
	s_xor_b32 s30, exec_lo, s30
	s_cbranch_execz .LBB87_15
; %bb.40:                               ;   in Loop: Header=BB87_16 Depth=1
	global_load_b32 v1, v13, s[28:29] offset:4
	s_mov_b32 s30, 0
.LBB87_41:                              ;   Parent Loop BB87_16 Depth=1
                                        ; =>  This Inner Loop Header: Depth=2
	s_waitcnt vmcnt(0)
	v_add_f32_e32 v0, v1, v2
	global_atomic_cmpswap_b32 v0, v13, v[0:1], s[28:29] offset:4 glc
	s_waitcnt vmcnt(0)
	v_cmp_eq_u32_e32 vcc_lo, v0, v1
	v_mov_b32_e32 v1, v0
	s_or_b32 s30, vcc_lo, s30
	s_delay_alu instid0(SALU_CYCLE_1)
	s_and_not1_b32 exec_lo, exec_lo, s30
	s_cbranch_execnz .LBB87_41
; %bb.42:                               ;   in Loop: Header=BB87_16 Depth=1
	s_or_b32 exec_lo, exec_lo, s30
	s_branch .LBB87_15
.LBB87_43:
	s_lshl_b64 s[0:1], s[18:19], 3
	s_waitcnt lgkmcnt(0)
	v_add_co_u32 v0, vcc_lo, s22, v9
	s_add_u32 s0, s8, s0
	s_addc_u32 s1, s9, s1
	v_add_co_ci_u32_e32 v1, vcc_lo, s23, v12, vcc_lo
	s_load_b64 s[0:1], s[0:1], 0x0
	s_waitcnt lgkmcnt(0)
	s_sub_u32 s2, s0, s6
	s_subb_u32 s3, s1, 0
	s_delay_alu instid0(SALU_CYCLE_1)
	v_cmp_gt_i64_e32 vcc_lo, s[2:3], v[0:1]
	s_and_b32 exec_lo, exec_lo, vcc_lo
	s_cbranch_execz .LBB87_55
; %bb.44:
	s_add_u32 s4, s18, -1
	s_addc_u32 s5, s19, -1
	s_add_u32 s0, s18, -2
	v_cmp_gt_i64_e64 s7, s[4:5], s[16:17]
	s_addc_u32 s1, s19, -1
	v_dual_mul_f32 v12, 0x80000000, v11 :: v_dual_mul_f32 v13, 0, v10
	s_cmp_lg_u64 s[0:1], s[16:17]
	s_cselect_b32 s0, -1, 0
	s_delay_alu instid0(VALU_DEP_2) | instid1(SALU_CYCLE_1)
	s_and_b32 s1, s7, s0
	s_mov_b32 s7, 0
	s_branch .LBB87_46
.LBB87_45:                              ;   in Loop: Header=BB87_46 Depth=1
	s_or_b32 exec_lo, exec_lo, s0
	v_add_co_u32 v0, vcc_lo, 0x100, v0
	v_add_co_ci_u32_e32 v1, vcc_lo, 0, v1, vcc_lo
	s_delay_alu instid0(VALU_DEP_1) | instskip(SKIP_1) | instid1(SALU_CYCLE_1)
	v_cmp_le_i64_e32 vcc_lo, s[2:3], v[0:1]
	s_or_b32 s7, vcc_lo, s7
	s_and_not1_b32 exec_lo, exec_lo, s7
	s_cbranch_execz .LBB87_55
.LBB87_46:                              ; =>This Loop Header: Depth=1
                                        ;     Child Loop BB87_48 Depth 2
                                        ;     Child Loop BB87_52 Depth 2
	;; [unrolled: 1-line block ×3, first 2 shown]
	v_dual_mov_b32 v2, s16 :: v_dual_mov_b32 v3, s17
	v_dual_mov_b32 v4, s4 :: v_dual_mov_b32 v5, s5
	s_and_not1_b32 vcc_lo, exec_lo, s1
	s_cbranch_vccnz .LBB87_50
; %bb.47:                               ;   in Loop: Header=BB87_46 Depth=1
	v_dual_mov_b32 v2, s16 :: v_dual_mov_b32 v3, s17
	v_dual_mov_b32 v4, s4 :: v_dual_mov_b32 v5, s5
	s_mov_b32 s18, 0
	s_set_inst_prefetch_distance 0x1
	.p2align	6
.LBB87_48:                              ;   Parent Loop BB87_46 Depth=1
                                        ; =>  This Inner Loop Header: Depth=2
	s_delay_alu instid0(VALU_DEP_1) | instskip(NEXT) | instid1(VALU_DEP_2)
	v_add_co_u32 v6, vcc_lo, v4, v2
	v_add_co_ci_u32_e32 v7, vcc_lo, v5, v3, vcc_lo
	s_delay_alu instid0(VALU_DEP_1) | instskip(NEXT) | instid1(VALU_DEP_1)
	v_lshrrev_b32_e32 v8, 31, v7
	v_add_co_u32 v6, vcc_lo, v6, v8
	v_add_co_ci_u32_e32 v7, vcc_lo, 0, v7, vcc_lo
	s_delay_alu instid0(VALU_DEP_1) | instskip(NEXT) | instid1(VALU_DEP_1)
	v_ashrrev_i64 v[6:7], 1, v[6:7]
	v_lshlrev_b64 v[8:9], 3, v[6:7]
	s_delay_alu instid0(VALU_DEP_1) | instskip(NEXT) | instid1(VALU_DEP_2)
	v_add_co_u32 v8, vcc_lo, s8, v8
	v_add_co_ci_u32_e32 v9, vcc_lo, s9, v9, vcc_lo
	global_load_b64 v[8:9], v[8:9], off
	s_waitcnt vmcnt(0)
	v_sub_co_u32 v8, vcc_lo, v8, s6
	v_subrev_co_ci_u32_e32 v9, vcc_lo, 0, v9, vcc_lo
	s_delay_alu instid0(VALU_DEP_1) | instskip(SKIP_2) | instid1(VALU_DEP_2)
	v_cmp_gt_i64_e32 vcc_lo, v[8:9], v[0:1]
	v_dual_cndmask_b32 v5, v5, v7 :: v_dual_cndmask_b32 v4, v4, v6
	v_dual_cndmask_b32 v3, v7, v3 :: v_dual_cndmask_b32 v2, v6, v2
	v_add_co_u32 v6, vcc_lo, v4, -1
	s_delay_alu instid0(VALU_DEP_3) | instskip(NEXT) | instid1(VALU_DEP_3)
	v_add_co_ci_u32_e32 v7, vcc_lo, -1, v5, vcc_lo
	v_cmp_ge_i64_e32 vcc_lo, v[2:3], v[4:5]
	s_delay_alu instid0(VALU_DEP_2) | instskip(NEXT) | instid1(VALU_DEP_1)
	v_cmp_eq_u64_e64 s0, v[2:3], v[6:7]
	s_or_b32 s0, vcc_lo, s0
	s_delay_alu instid0(SALU_CYCLE_1) | instskip(NEXT) | instid1(SALU_CYCLE_1)
	s_and_b32 s0, exec_lo, s0
	s_or_b32 s18, s0, s18
	s_delay_alu instid0(SALU_CYCLE_1)
	s_and_not1_b32 exec_lo, exec_lo, s18
	s_cbranch_execnz .LBB87_48
; %bb.49:                               ;   in Loop: Header=BB87_46 Depth=1
	s_set_inst_prefetch_distance 0x2
	s_or_b32 exec_lo, exec_lo, s18
.LBB87_50:                              ;   in Loop: Header=BB87_46 Depth=1
	s_delay_alu instid0(VALU_DEP_1) | instskip(SKIP_1) | instid1(VALU_DEP_1)
	v_lshlrev_b64 v[6:7], 3, v[4:5]
	s_mov_b32 s0, exec_lo
	v_add_co_u32 v8, vcc_lo, s8, v6
	s_delay_alu instid0(VALU_DEP_2)
	v_add_co_ci_u32_e32 v9, vcc_lo, s9, v7, vcc_lo
	v_lshlrev_b64 v[6:7], 2, v[0:1]
	global_load_b64 v[8:9], v[8:9], off
	v_add_co_u32 v14, vcc_lo, s10, v6
	v_add_co_ci_u32_e32 v15, vcc_lo, s11, v7, vcc_lo
	global_load_b32 v14, v[14:15], off
	s_waitcnt vmcnt(1)
	v_sub_co_u32 v8, vcc_lo, v8, s6
	v_subrev_co_ci_u32_e32 v9, vcc_lo, 0, v9, vcc_lo
	s_delay_alu instid0(VALU_DEP_1) | instskip(SKIP_3) | instid1(VALU_DEP_2)
	v_cmp_gt_i64_e32 vcc_lo, v[8:9], v[0:1]
	s_waitcnt vmcnt(0)
	v_subrev_nc_u32_e32 v8, s6, v14
	v_dual_cndmask_b32 v3, v5, v3 :: v_dual_cndmask_b32 v2, v4, v2
	v_ashrrev_i32_e32 v9, 31, v8
	s_delay_alu instid0(VALU_DEP_1)
	v_cmpx_ne_u64_e64 v[2:3], v[8:9]
	s_cbranch_execz .LBB87_45
; %bb.51:                               ;   in Loop: Header=BB87_46 Depth=1
	v_lshlrev_b64 v[2:3], 3, v[2:3]
	v_add_co_u32 v4, vcc_lo, s12, v6
	v_add_co_ci_u32_e32 v5, vcc_lo, s13, v7, vcc_lo
	v_lshlrev_b64 v[6:7], 3, v[8:9]
	s_delay_alu instid0(VALU_DEP_4)
	v_add_co_u32 v2, vcc_lo, s14, v2
	global_load_b32 v14, v[4:5], off
	v_add_co_ci_u32_e32 v3, vcc_lo, s15, v3, vcc_lo
	s_mov_b32 s18, 0
	global_load_b64 v[4:5], v[2:3], off
	v_add_co_u32 v2, vcc_lo, s20, v6
	v_add_co_ci_u32_e32 v3, vcc_lo, s21, v7, vcc_lo
	global_load_b32 v7, v[2:3], off
	s_waitcnt vmcnt(2)
	v_fma_f32 v8, v11, v14, v13
	v_fma_f32 v9, v10, v14, v12
	s_waitcnt vmcnt(1)
	s_delay_alu instid0(VALU_DEP_2) | instskip(NEXT) | instid1(VALU_DEP_1)
	v_mul_f32_e64 v14, v5, -v8
	v_fmac_f32_e32 v14, v9, v4
.LBB87_52:                              ;   Parent Loop BB87_46 Depth=1
                                        ; =>  This Inner Loop Header: Depth=2
	s_waitcnt vmcnt(0)
	s_delay_alu instid0(VALU_DEP_1)
	v_add_f32_e32 v6, v7, v14
	global_atomic_cmpswap_b32 v6, v[2:3], v[6:7], off glc
	s_waitcnt vmcnt(0)
	v_cmp_eq_u32_e32 vcc_lo, v6, v7
	v_mov_b32_e32 v7, v6
	s_or_b32 s18, vcc_lo, s18
	s_delay_alu instid0(SALU_CYCLE_1)
	s_and_not1_b32 exec_lo, exec_lo, s18
	s_cbranch_execnz .LBB87_52
; %bb.53:                               ;   in Loop: Header=BB87_46 Depth=1
	s_or_b32 exec_lo, exec_lo, s18
	global_load_b32 v6, v[2:3], off offset:4
	v_mul_f32_e32 v7, v9, v5
	s_mov_b32 s18, 0
	s_delay_alu instid0(VALU_DEP_1)
	v_fmac_f32_e32 v7, v8, v4
.LBB87_54:                              ;   Parent Loop BB87_46 Depth=1
                                        ; =>  This Inner Loop Header: Depth=2
	s_waitcnt vmcnt(0)
	s_delay_alu instid0(VALU_DEP_1)
	v_add_f32_e32 v5, v6, v7
	global_atomic_cmpswap_b32 v4, v[2:3], v[5:6], off offset:4 glc
	s_waitcnt vmcnt(0)
	v_cmp_eq_u32_e32 vcc_lo, v4, v6
	v_mov_b32_e32 v6, v4
	s_or_b32 s18, vcc_lo, s18
	s_delay_alu instid0(SALU_CYCLE_1)
	s_and_not1_b32 exec_lo, exec_lo, s18
	s_cbranch_execnz .LBB87_54
	s_branch .LBB87_45
.LBB87_55:
	s_endpgm
	.section	.rodata,"a",@progbits
	.p2align	6, 0x0
	.amdhsa_kernel _ZL33csrmvn_symm_large_adaptive_kernelIlif21rocsparse_complex_numIfES1_S1_EvbT_PKS2_N9rocsparse24const_host_device_scalarIT4_EES4_PKT0_PKT1_PKT2_S8_PT3_21rocsparse_index_base_b
		.amdhsa_group_segment_fixed_size 8192
		.amdhsa_private_segment_fixed_size 0
		.amdhsa_kernarg_size 88
		.amdhsa_user_sgpr_count 15
		.amdhsa_user_sgpr_dispatch_ptr 0
		.amdhsa_user_sgpr_queue_ptr 0
		.amdhsa_user_sgpr_kernarg_segment_ptr 1
		.amdhsa_user_sgpr_dispatch_id 0
		.amdhsa_user_sgpr_private_segment_size 0
		.amdhsa_wavefront_size32 1
		.amdhsa_uses_dynamic_stack 0
		.amdhsa_enable_private_segment 0
		.amdhsa_system_sgpr_workgroup_id_x 1
		.amdhsa_system_sgpr_workgroup_id_y 0
		.amdhsa_system_sgpr_workgroup_id_z 0
		.amdhsa_system_sgpr_workgroup_info 0
		.amdhsa_system_vgpr_workitem_id 0
		.amdhsa_next_free_vgpr 17
		.amdhsa_next_free_sgpr 36
		.amdhsa_reserve_vcc 1
		.amdhsa_float_round_mode_32 0
		.amdhsa_float_round_mode_16_64 0
		.amdhsa_float_denorm_mode_32 3
		.amdhsa_float_denorm_mode_16_64 3
		.amdhsa_dx10_clamp 1
		.amdhsa_ieee_mode 1
		.amdhsa_fp16_overflow 0
		.amdhsa_workgroup_processor_mode 1
		.amdhsa_memory_ordered 1
		.amdhsa_forward_progress 0
		.amdhsa_shared_vgpr_count 0
		.amdhsa_exception_fp_ieee_invalid_op 0
		.amdhsa_exception_fp_denorm_src 0
		.amdhsa_exception_fp_ieee_div_zero 0
		.amdhsa_exception_fp_ieee_overflow 0
		.amdhsa_exception_fp_ieee_underflow 0
		.amdhsa_exception_fp_ieee_inexact 0
		.amdhsa_exception_int_div_zero 0
	.end_amdhsa_kernel
	.section	.text._ZL33csrmvn_symm_large_adaptive_kernelIlif21rocsparse_complex_numIfES1_S1_EvbT_PKS2_N9rocsparse24const_host_device_scalarIT4_EES4_PKT0_PKT1_PKT2_S8_PT3_21rocsparse_index_base_b,"axG",@progbits,_ZL33csrmvn_symm_large_adaptive_kernelIlif21rocsparse_complex_numIfES1_S1_EvbT_PKS2_N9rocsparse24const_host_device_scalarIT4_EES4_PKT0_PKT1_PKT2_S8_PT3_21rocsparse_index_base_b,comdat
.Lfunc_end87:
	.size	_ZL33csrmvn_symm_large_adaptive_kernelIlif21rocsparse_complex_numIfES1_S1_EvbT_PKS2_N9rocsparse24const_host_device_scalarIT4_EES4_PKT0_PKT1_PKT2_S8_PT3_21rocsparse_index_base_b, .Lfunc_end87-_ZL33csrmvn_symm_large_adaptive_kernelIlif21rocsparse_complex_numIfES1_S1_EvbT_PKS2_N9rocsparse24const_host_device_scalarIT4_EES4_PKT0_PKT1_PKT2_S8_PT3_21rocsparse_index_base_b
                                        ; -- End function
	.section	.AMDGPU.csdata,"",@progbits
; Kernel info:
; codeLenInByte = 2508
; NumSgprs: 38
; NumVgprs: 17
; ScratchSize: 0
; MemoryBound: 0
; FloatMode: 240
; IeeeMode: 1
; LDSByteSize: 8192 bytes/workgroup (compile time only)
; SGPRBlocks: 4
; VGPRBlocks: 2
; NumSGPRsForWavesPerEU: 38
; NumVGPRsForWavesPerEU: 17
; Occupancy: 16
; WaveLimiterHint : 1
; COMPUTE_PGM_RSRC2:SCRATCH_EN: 0
; COMPUTE_PGM_RSRC2:USER_SGPR: 15
; COMPUTE_PGM_RSRC2:TRAP_HANDLER: 0
; COMPUTE_PGM_RSRC2:TGID_X_EN: 1
; COMPUTE_PGM_RSRC2:TGID_Y_EN: 0
; COMPUTE_PGM_RSRC2:TGID_Z_EN: 0
; COMPUTE_PGM_RSRC2:TIDIG_COMP_CNT: 0
	.section	.text._ZN9rocsparseL22csrmvn_adaptive_kernelIllf21rocsparse_complex_numIfES2_S2_EEvbT_PKS3_PjPKT0_NS_24const_host_device_scalarIT4_EES5_S9_PKT1_PKT2_SC_PT3_21rocsparse_index_base_b,"axG",@progbits,_ZN9rocsparseL22csrmvn_adaptive_kernelIllf21rocsparse_complex_numIfES2_S2_EEvbT_PKS3_PjPKT0_NS_24const_host_device_scalarIT4_EES5_S9_PKT1_PKT2_SC_PT3_21rocsparse_index_base_b,comdat
	.globl	_ZN9rocsparseL22csrmvn_adaptive_kernelIllf21rocsparse_complex_numIfES2_S2_EEvbT_PKS3_PjPKT0_NS_24const_host_device_scalarIT4_EES5_S9_PKT1_PKT2_SC_PT3_21rocsparse_index_base_b ; -- Begin function _ZN9rocsparseL22csrmvn_adaptive_kernelIllf21rocsparse_complex_numIfES2_S2_EEvbT_PKS3_PjPKT0_NS_24const_host_device_scalarIT4_EES5_S9_PKT1_PKT2_SC_PT3_21rocsparse_index_base_b
	.p2align	8
	.type	_ZN9rocsparseL22csrmvn_adaptive_kernelIllf21rocsparse_complex_numIfES2_S2_EEvbT_PKS3_PjPKT0_NS_24const_host_device_scalarIT4_EES5_S9_PKT1_PKT2_SC_PT3_21rocsparse_index_base_b,@function
_ZN9rocsparseL22csrmvn_adaptive_kernelIllf21rocsparse_complex_numIfES2_S2_EEvbT_PKS3_PjPKT0_NS_24const_host_device_scalarIT4_EES5_S9_PKT1_PKT2_SC_PT3_21rocsparse_index_base_b: ; @_ZN9rocsparseL22csrmvn_adaptive_kernelIllf21rocsparse_complex_numIfES2_S2_EEvbT_PKS3_PjPKT0_NS_24const_host_device_scalarIT4_EES5_S9_PKT1_PKT2_SC_PT3_21rocsparse_index_base_b
; %bb.0:
	s_clause 0x2
	s_load_b64 s[34:35], s[0:1], 0x60
	s_load_b64 s[4:5], s[0:1], 0x28
	;; [unrolled: 1-line block ×3, first 2 shown]
	s_mov_b32 s38, s15
	s_waitcnt lgkmcnt(0)
	s_bitcmp1_b32 s35, 0
	v_mov_b32_e32 v9, s4
	s_cselect_b32 s6, -1, 0
	s_delay_alu instid0(SALU_CYCLE_1)
	s_and_b32 vcc_lo, exec_lo, s6
	s_xor_b32 s6, s6, -1
	s_cbranch_vccz .LBB88_37
; %bb.1:
	v_cndmask_b32_e64 v1, 0, 1, s6
	v_mov_b32_e32 v10, s5
	s_and_not1_b32 vcc_lo, exec_lo, s6
	s_cbranch_vccz .LBB88_38
.LBB88_2:
	s_delay_alu instid0(VALU_DEP_2)
	v_cmp_ne_u32_e32 vcc_lo, 1, v1
	v_mov_b32_e32 v13, s2
	s_cbranch_vccz .LBB88_39
.LBB88_3:
	v_cmp_ne_u32_e32 vcc_lo, 1, v1
	v_mov_b32_e32 v14, s3
	s_cbranch_vccnz .LBB88_5
.LBB88_4:
	v_dual_mov_b32 v1, s2 :: v_dual_mov_b32 v2, s3
	flat_load_b32 v14, v[1:2] offset:4
.LBB88_5:
	s_waitcnt vmcnt(0) lgkmcnt(0)
	v_cmp_eq_f32_e32 vcc_lo, 0, v9
	v_cmp_eq_f32_e64 s2, 0, v10
	s_delay_alu instid0(VALU_DEP_1)
	s_and_b32 s4, vcc_lo, s2
	s_mov_b32 s2, -1
	s_and_saveexec_b32 s3, s4
; %bb.6:
	v_cmp_neq_f32_e32 vcc_lo, 1.0, v13
	v_cmp_neq_f32_e64 s2, 0, v14
	s_delay_alu instid0(VALU_DEP_1) | instskip(NEXT) | instid1(SALU_CYCLE_1)
	s_or_b32 s2, vcc_lo, s2
	s_or_not1_b32 s2, s2, exec_lo
; %bb.7:
	s_or_b32 exec_lo, exec_lo, s3
	s_and_saveexec_b32 s3, s2
	s_cbranch_execz .LBB88_125
; %bb.8:
	s_clause 0x2
	s_load_b64 s[2:3], s[0:1], 0x10
	s_load_b64 s[6:7], s[0:1], 0x20
	;; [unrolled: 1-line block ×3, first 2 shown]
	s_ashr_i32 s39, s38, 31
	s_delay_alu instid0(SALU_CYCLE_1)
	s_lshl_b64 s[4:5], s[38:39], 3
	s_waitcnt lgkmcnt(0)
	s_add_u32 s2, s2, s4
	s_addc_u32 s3, s3, s5
	s_load_b128 s[20:23], s[2:3], 0x0
	s_load_b256 s[12:19], s[0:1], 0x30
	s_waitcnt lgkmcnt(0)
	s_sub_u32 s2, s22, s20
	s_subb_u32 s3, s23, s21
	s_add_u32 s4, s6, s4
	s_addc_u32 s5, s7, s5
	s_lshl_b64 s[36:37], s[20:21], 3
	s_delay_alu instid0(SALU_CYCLE_1) | instskip(SKIP_4) | instid1(VALU_DEP_1)
	s_add_u32 s30, s12, s36
	s_addc_u32 s31, s13, s37
	s_load_b64 s[26:27], s[4:5], 0x0
	s_load_b64 s[28:29], s[30:31], 0x0
	v_cmp_lt_i64_e64 s4, s[2:3], 2
	s_and_b32 vcc_lo, exec_lo, s4
	s_mov_b32 s4, -1
	s_cbranch_vccz .LBB88_81
; %bb.9:
	s_cmp_lg_u64 s[2:3], 1
	s_cselect_b32 s2, -1, 0
	s_waitcnt lgkmcnt(0)
	s_cmp_lg_u64 s[26:27], 0
	s_cselect_b32 s3, -1, 0
	s_delay_alu instid0(SALU_CYCLE_1) | instskip(NEXT) | instid1(SALU_CYCLE_1)
	s_or_b32 s2, s2, s3
	s_and_b32 vcc_lo, exec_lo, s2
	s_mov_b32 s2, -1
	s_cbranch_vccnz .LBB88_41
; %bb.10:
	v_cmp_le_i64_e64 s2, s[22:23], s[20:21]
	s_delay_alu instid0(VALU_DEP_1)
	s_and_b32 vcc_lo, exec_lo, s2
	s_cbranch_vccnz .LBB88_40
; %bb.11:
	v_cmp_neq_f32_e32 vcc_lo, 0, v13
	v_cmp_neq_f32_e64 s10, 0, v14
	v_sub_co_u32 v11, s2, v0, s34
	s_delay_alu instid0(VALU_DEP_1)
	v_sub_co_ci_u32_e64 v12, null, 0, 0, s2
	v_dual_mul_f32 v15, 0x80000000, v10 :: v_dual_mul_f32 v16, 0, v9
	v_dual_mov_b32 v18, 0 :: v_dual_lshlrev_b32 v17, 3, v0
	v_cmp_gt_u32_e64 s2, 0x80, v0
	v_cmp_gt_u32_e64 s3, 64, v0
	;; [unrolled: 1-line block ×7, first 2 shown]
	v_cmp_eq_u32_e64 s9, 0, v0
	s_or_b32 s11, vcc_lo, s10
	s_add_u32 s33, s12, 8
	s_addc_u32 s35, s13, 0
	s_mov_b64 s[42:43], s[28:29]
	s_mov_b64 s[40:41], s[20:21]
	s_branch .LBB88_14
.LBB88_12:                              ;   in Loop: Header=BB88_14 Depth=1
	s_or_b32 exec_lo, exec_lo, s46
	s_add_u32 s44, s24, s44
	s_addc_u32 s45, s25, s45
	s_waitcnt lgkmcnt(0)
	global_store_b64 v18, v[1:2], s[44:45]
.LBB88_13:                              ;   in Loop: Header=BB88_14 Depth=1
	s_or_b32 exec_lo, exec_lo, s10
	s_add_u32 s40, s40, 1
	s_addc_u32 s41, s41, 0
	s_delay_alu instid0(SALU_CYCLE_1) | instskip(NEXT) | instid1(VALU_DEP_1)
	v_cmp_ge_i64_e64 s10, s[40:41], s[22:23]
	s_and_b32 vcc_lo, exec_lo, s10
	s_cbranch_vccnz .LBB88_40
.LBB88_14:                              ; =>This Loop Header: Depth=1
                                        ;     Child Loop BB88_16 Depth 2
	s_lshl_b64 s[44:45], s[40:41], 3
	s_mov_b64 s[48:49], s[42:43]
	s_add_u32 s46, s33, s44
	s_addc_u32 s47, s35, s45
	v_add_co_u32 v1, vcc_lo, s48, v11
	s_load_b64 s[42:43], s[46:47], 0x0
	v_add_co_ci_u32_e32 v2, vcc_lo, s49, v12, vcc_lo
	v_dual_mov_b32 v4, 0 :: v_dual_mov_b32 v3, 0
	s_mov_b32 s48, exec_lo
	s_waitcnt lgkmcnt(0)
	s_sub_u32 s46, s42, s34
	s_subb_u32 s47, s43, 0
	s_delay_alu instid0(SALU_CYCLE_1)
	v_cmpx_gt_i64_e64 s[46:47], v[1:2]
	s_cbranch_execz .LBB88_18
; %bb.15:                               ;   in Loop: Header=BB88_14 Depth=1
	v_lshlrev_b64 v[5:6], 2, v[1:2]
	v_lshlrev_b64 v[7:8], 3, v[1:2]
	v_mov_b32_e32 v4, 0
	s_mov_b32 s49, 0
	s_delay_alu instid0(VALU_DEP_3) | instskip(NEXT) | instid1(VALU_DEP_4)
	v_add_co_u32 v5, vcc_lo, s16, v5
	v_add_co_ci_u32_e32 v6, vcc_lo, s17, v6, vcc_lo
	s_delay_alu instid0(VALU_DEP_4)
	v_add_co_u32 v7, vcc_lo, s14, v7
	v_add_co_ci_u32_e32 v8, vcc_lo, s15, v8, vcc_lo
	v_mov_b32_e32 v3, v4
	s_set_inst_prefetch_distance 0x1
	.p2align	6
.LBB88_16:                              ;   Parent Loop BB88_14 Depth=1
                                        ; =>  This Inner Loop Header: Depth=2
	global_load_b64 v[19:20], v[7:8], off
	global_load_b32 v21, v[5:6], off
	s_waitcnt vmcnt(1)
	v_sub_co_u32 v19, vcc_lo, v19, s34
	v_subrev_co_ci_u32_e32 v20, vcc_lo, 0, v20, vcc_lo
	s_waitcnt vmcnt(0)
	v_fma_f32 v22, v9, v21, v15
	v_fma_f32 v21, v10, v21, v16
	s_delay_alu instid0(VALU_DEP_3) | instskip(NEXT) | instid1(VALU_DEP_1)
	v_lshlrev_b64 v[19:20], 3, v[19:20]
	v_add_co_u32 v19, vcc_lo, s18, v19
	s_delay_alu instid0(VALU_DEP_2)
	v_add_co_ci_u32_e32 v20, vcc_lo, s19, v20, vcc_lo
	v_add_co_u32 v1, vcc_lo, 0x100, v1
	v_add_co_ci_u32_e32 v2, vcc_lo, 0, v2, vcc_lo
	global_load_b64 v[19:20], v[19:20], off
	v_add_co_u32 v5, vcc_lo, 0x400, v5
	v_add_co_ci_u32_e32 v6, vcc_lo, 0, v6, vcc_lo
	v_cmp_le_i64_e64 s10, s[46:47], v[1:2]
	v_add_co_u32 v7, vcc_lo, 0x800, v7
	v_add_co_ci_u32_e32 v8, vcc_lo, 0, v8, vcc_lo
	s_delay_alu instid0(VALU_DEP_3) | instskip(SKIP_3) | instid1(VALU_DEP_2)
	s_or_b32 s49, s10, s49
	s_waitcnt vmcnt(0)
	v_fmac_f32_e32 v3, v22, v19
	v_fmac_f32_e32 v4, v21, v19
	v_fma_f32 v3, -v21, v20, v3
	s_delay_alu instid0(VALU_DEP_2)
	v_fmac_f32_e32 v4, v22, v20
	s_and_not1_b32 exec_lo, exec_lo, s49
	s_cbranch_execnz .LBB88_16
; %bb.17:                               ;   in Loop: Header=BB88_14 Depth=1
	s_set_inst_prefetch_distance 0x2
	s_or_b32 exec_lo, exec_lo, s49
.LBB88_18:                              ;   in Loop: Header=BB88_14 Depth=1
	s_delay_alu instid0(SALU_CYCLE_1)
	s_or_b32 exec_lo, exec_lo, s48
	ds_store_b64 v17, v[3:4]
	s_waitcnt lgkmcnt(0)
	s_waitcnt_vscnt null, 0x0
	s_barrier
	buffer_gl0_inv
	s_and_saveexec_b32 s10, s2
	s_cbranch_execz .LBB88_20
; %bb.19:                               ;   in Loop: Header=BB88_14 Depth=1
	ds_load_2addr_stride64_b64 v[1:4], v17 offset1:2
	s_waitcnt lgkmcnt(0)
	v_dual_add_f32 v1, v3, v1 :: v_dual_add_f32 v2, v4, v2
	ds_store_b64 v17, v[1:2]
.LBB88_20:                              ;   in Loop: Header=BB88_14 Depth=1
	s_or_b32 exec_lo, exec_lo, s10
	s_waitcnt lgkmcnt(0)
	s_barrier
	buffer_gl0_inv
	s_and_saveexec_b32 s10, s3
	s_cbranch_execz .LBB88_22
; %bb.21:                               ;   in Loop: Header=BB88_14 Depth=1
	ds_load_2addr_stride64_b64 v[1:4], v17 offset1:1
	s_waitcnt lgkmcnt(0)
	v_dual_add_f32 v1, v3, v1 :: v_dual_add_f32 v2, v4, v2
	ds_store_b64 v17, v[1:2]
.LBB88_22:                              ;   in Loop: Header=BB88_14 Depth=1
	s_or_b32 exec_lo, exec_lo, s10
	s_waitcnt lgkmcnt(0)
	s_barrier
	buffer_gl0_inv
	s_and_saveexec_b32 s10, s4
	s_cbranch_execz .LBB88_24
; %bb.23:                               ;   in Loop: Header=BB88_14 Depth=1
	ds_load_2addr_b64 v[1:4], v17 offset1:32
	s_waitcnt lgkmcnt(0)
	v_dual_add_f32 v1, v3, v1 :: v_dual_add_f32 v2, v4, v2
	ds_store_b64 v17, v[1:2]
.LBB88_24:                              ;   in Loop: Header=BB88_14 Depth=1
	s_or_b32 exec_lo, exec_lo, s10
	s_waitcnt lgkmcnt(0)
	s_barrier
	buffer_gl0_inv
	s_and_saveexec_b32 s10, s5
	s_cbranch_execz .LBB88_26
; %bb.25:                               ;   in Loop: Header=BB88_14 Depth=1
	ds_load_2addr_b64 v[1:4], v17 offset1:16
	s_waitcnt lgkmcnt(0)
	v_dual_add_f32 v1, v3, v1 :: v_dual_add_f32 v2, v4, v2
	ds_store_b64 v17, v[1:2]
.LBB88_26:                              ;   in Loop: Header=BB88_14 Depth=1
	;; [unrolled: 12-line block ×6, first 2 shown]
	s_or_b32 exec_lo, exec_lo, s10
	s_waitcnt lgkmcnt(0)
	s_barrier
	buffer_gl0_inv
	s_and_saveexec_b32 s10, s9
	s_cbranch_execz .LBB88_13
; %bb.35:                               ;   in Loop: Header=BB88_14 Depth=1
	ds_load_b64 v[1:2], v18
	s_and_saveexec_b32 s46, s11
	s_cbranch_execz .LBB88_12
; %bb.36:                               ;   in Loop: Header=BB88_14 Depth=1
	s_add_u32 s48, s24, s44
	s_addc_u32 s49, s25, s45
	global_load_b64 v[3:4], v18, s[48:49]
	s_waitcnt vmcnt(0) lgkmcnt(0)
	v_fma_f32 v1, v13, v3, v1
	v_fmac_f32_e32 v2, v14, v3
	s_delay_alu instid0(VALU_DEP_2) | instskip(NEXT) | instid1(VALU_DEP_2)
	v_fma_f32 v1, -v14, v4, v1
	v_fmac_f32_e32 v2, v13, v4
	s_branch .LBB88_12
.LBB88_37:
	v_dual_mov_b32 v1, s4 :: v_dual_mov_b32 v2, s5
	flat_load_b32 v9, v[1:2]
	v_cndmask_b32_e64 v1, 0, 1, s6
	v_mov_b32_e32 v10, s5
	s_and_not1_b32 vcc_lo, exec_lo, s6
	s_cbranch_vccnz .LBB88_2
.LBB88_38:
	v_dual_mov_b32 v2, s4 :: v_dual_mov_b32 v3, s5
	flat_load_b32 v10, v[2:3] offset:4
	v_cmp_ne_u32_e32 vcc_lo, 1, v1
	v_mov_b32_e32 v13, s2
	s_cbranch_vccnz .LBB88_3
.LBB88_39:
	v_dual_mov_b32 v2, s2 :: v_dual_mov_b32 v3, s3
	flat_load_b32 v13, v[2:3]
	v_cmp_ne_u32_e32 vcc_lo, 1, v1
	v_mov_b32_e32 v14, s3
	s_cbranch_vccz .LBB88_4
	s_branch .LBB88_5
.LBB88_40:
	s_mov_b32 s2, 0
.LBB88_41:
	s_delay_alu instid0(SALU_CYCLE_1)
	s_and_not1_b32 vcc_lo, exec_lo, s2
	s_cbranch_vccnz .LBB88_80
; %bb.42:
	s_load_b64 s[6:7], s[0:1], 0x18
	s_sub_u32 s8, s38, s26
	s_subb_u32 s9, s39, s27
	s_lshl_b64 s[2:3], s[38:39], 2
	v_cmp_eq_u32_e32 vcc_lo, 0, v0
	v_dual_mov_b32 v1, 0 :: v_dual_mov_b32 v2, 0
	s_waitcnt lgkmcnt(0)
	s_add_u32 s4, s6, s2
	s_addc_u32 s5, s7, s3
	s_cmp_eq_u64 s[26:27], 0
	s_load_b32 s33, s[4:5], 0x0
	s_cselect_b32 s2, -1, 0
	s_cmp_lg_u64 s[26:27], 0
	s_cselect_b32 s35, -1, 0
	s_and_b32 s2, vcc_lo, s2
	s_delay_alu instid0(SALU_CYCLE_1)
	s_and_saveexec_b32 s3, s2
	s_cbranch_execz .LBB88_46
; %bb.43:
	v_dual_mov_b32 v5, 0 :: v_dual_add_f32 v6, -1.0, v13
	s_add_u32 s38, s24, s36
	s_addc_u32 s39, s25, s37
	s_mov_b32 s10, exec_lo
	global_load_b64 v[3:4], v5, s[38:39]
	v_mbcnt_lo_u32_b32 v7, s10, 0
	s_mov_b32 s11, exec_lo
	s_waitcnt vmcnt(0) expcnt(0) lgkmcnt(0)
	s_waitcnt_vscnt null, 0x0
	v_mul_f32_e64 v1, v4, -v14
	v_mul_f32_e32 v2, v6, v4
	v_cmpx_eq_u32_e32 0, v7
	s_cbranch_execz .LBB88_45
; %bb.44:
	s_lshl_b64 s[38:39], s[8:9], 2
	s_delay_alu instid0(SALU_CYCLE_1) | instskip(SKIP_2) | instid1(SALU_CYCLE_1)
	s_add_u32 s38, s6, s38
	s_addc_u32 s39, s7, s39
	s_bcnt1_i32_b32 s2, s10
	s_and_b32 s2, s2, 1
	s_delay_alu instid0(SALU_CYCLE_1)
	v_mov_b32_e32 v4, s2
	global_atomic_xor_b32 v5, v4, s[38:39]
.LBB88_45:
	s_or_b32 exec_lo, exec_lo, s11
	v_fmac_f32_e32 v1, v6, v3
	v_fmac_f32_e32 v2, v14, v3
.LBB88_46:
	s_or_b32 exec_lo, exec_lo, s3
	s_load_b64 s[10:11], s[30:31], 0x8
	s_mul_i32 s2, s27, 0xc00
	s_mul_hi_u32 s3, s26, 0xc00
	s_delay_alu instid0(SALU_CYCLE_1)
	s_add_i32 s2, s3, s2
	s_mul_i32 s3, s26, 0xc00
	s_sub_u32 s38, s28, s34
	s_subb_u32 s39, s29, 0
	s_add_u32 s3, s38, s3
	s_addc_u32 s39, s39, s2
	v_add_co_u32 v3, s2, s3, v0
	s_delay_alu instid0(VALU_DEP_1) | instskip(SKIP_4) | instid1(SALU_CYCLE_1)
	v_add_co_ci_u32_e64 v4, null, s39, 0, s2
	s_mov_b32 s38, exec_lo
	s_waitcnt lgkmcnt(0)
	s_sub_u32 s10, s10, s34
	s_subb_u32 s11, s11, 0
	v_cmpx_gt_i64_e64 s[10:11], v[3:4]
	s_cbranch_execz .LBB88_50
; %bb.47:
	s_add_u32 s40, s3, 0xc00
	s_addc_u32 s41, s39, 0
	v_lshlrev_b64 v[5:6], 2, v[3:4]
	v_cmp_lt_i64_e64 s2, s[40:41], s[10:11]
	v_lshlrev_b64 v[7:8], 3, v[3:4]
	v_dual_mul_f32 v11, 0x80000000, v10 :: v_dual_mul_f32 v12, 0, v9
	s_mov_b32 s39, 0
	s_delay_alu instid0(VALU_DEP_3) | instskip(SKIP_1) | instid1(VALU_DEP_1)
	s_and_b32 s2, s2, exec_lo
	v_add_co_u32 v5, s2, s16, v5
	v_add_co_ci_u32_e64 v6, s2, s17, v6, s2
	v_add_co_u32 v7, s2, s14, v7
	s_delay_alu instid0(VALU_DEP_1)
	v_add_co_ci_u32_e64 v8, s2, s15, v8, s2
	s_cselect_b32 s11, s41, s11
	s_cselect_b32 s10, s40, s10
	s_set_inst_prefetch_distance 0x1
	.p2align	6
.LBB88_48:                              ; =>This Inner Loop Header: Depth=1
	global_load_b64 v[15:16], v[7:8], off
	global_load_b32 v17, v[5:6], off
	s_waitcnt vmcnt(1)
	v_sub_co_u32 v15, s2, v15, s34
	s_delay_alu instid0(VALU_DEP_1) | instskip(SKIP_3) | instid1(VALU_DEP_3)
	v_subrev_co_ci_u32_e64 v16, s2, 0, v16, s2
	s_waitcnt vmcnt(0)
	v_fma_f32 v18, v9, v17, v11
	v_fma_f32 v17, v10, v17, v12
	v_lshlrev_b64 v[15:16], 3, v[15:16]
	s_delay_alu instid0(VALU_DEP_1) | instskip(NEXT) | instid1(VALU_DEP_1)
	v_add_co_u32 v15, s2, s18, v15
	v_add_co_ci_u32_e64 v16, s2, s19, v16, s2
	v_add_co_u32 v3, s2, 0x100, v3
	s_delay_alu instid0(VALU_DEP_1) | instskip(SKIP_2) | instid1(VALU_DEP_1)
	v_add_co_ci_u32_e64 v4, s2, 0, v4, s2
	global_load_b64 v[15:16], v[15:16], off
	v_add_co_u32 v5, s2, 0x400, v5
	v_add_co_ci_u32_e64 v6, s2, 0, v6, s2
	v_cmp_le_i64_e64 s3, s[10:11], v[3:4]
	v_add_co_u32 v7, s2, 0x800, v7
	s_delay_alu instid0(VALU_DEP_1) | instskip(NEXT) | instid1(VALU_DEP_3)
	v_add_co_ci_u32_e64 v8, s2, 0, v8, s2
	s_or_b32 s39, s3, s39
	s_waitcnt vmcnt(0)
	v_fmac_f32_e32 v1, v18, v15
	v_fmac_f32_e32 v2, v17, v15
	s_delay_alu instid0(VALU_DEP_2) | instskip(NEXT) | instid1(VALU_DEP_2)
	v_fma_f32 v1, -v17, v16, v1
	v_fmac_f32_e32 v2, v18, v16
	s_and_not1_b32 exec_lo, exec_lo, s39
	s_cbranch_execnz .LBB88_48
; %bb.49:
	s_set_inst_prefetch_distance 0x2
	s_or_b32 exec_lo, exec_lo, s39
.LBB88_50:
	s_delay_alu instid0(SALU_CYCLE_1)
	s_or_b32 exec_lo, exec_lo, s38
	v_lshlrev_b32_e32 v3, 3, v0
	s_mov_b32 s3, exec_lo
	ds_store_b64 v3, v[1:2]
	s_waitcnt lgkmcnt(0)
	s_waitcnt_vscnt null, 0x0
	s_barrier
	buffer_gl0_inv
	v_cmpx_gt_u32_e32 0x80, v0
	s_cbranch_execz .LBB88_52
; %bb.51:
	ds_load_2addr_stride64_b64 v[4:7], v3 offset1:2
	s_waitcnt lgkmcnt(0)
	v_dual_add_f32 v1, v6, v4 :: v_dual_add_f32 v2, v7, v5
	ds_store_b64 v3, v[1:2]
.LBB88_52:
	s_or_b32 exec_lo, exec_lo, s3
	s_delay_alu instid0(SALU_CYCLE_1)
	s_mov_b32 s3, exec_lo
	s_waitcnt lgkmcnt(0)
	s_barrier
	buffer_gl0_inv
	v_cmpx_gt_u32_e32 64, v0
	s_cbranch_execz .LBB88_54
; %bb.53:
	ds_load_2addr_stride64_b64 v[4:7], v3 offset1:1
	s_waitcnt lgkmcnt(0)
	v_dual_add_f32 v1, v6, v4 :: v_dual_add_f32 v2, v7, v5
	ds_store_b64 v3, v[1:2]
.LBB88_54:
	s_or_b32 exec_lo, exec_lo, s3
	s_delay_alu instid0(SALU_CYCLE_1)
	s_mov_b32 s3, exec_lo
	s_waitcnt lgkmcnt(0)
	s_barrier
	buffer_gl0_inv
	v_cmpx_gt_u32_e32 32, v0
	s_cbranch_execz .LBB88_56
; %bb.55:
	ds_load_2addr_b64 v[4:7], v3 offset1:32
	s_waitcnt lgkmcnt(0)
	v_dual_add_f32 v1, v6, v4 :: v_dual_add_f32 v2, v7, v5
	ds_store_b64 v3, v[1:2]
.LBB88_56:
	s_or_b32 exec_lo, exec_lo, s3
	s_delay_alu instid0(SALU_CYCLE_1)
	s_mov_b32 s3, exec_lo
	s_waitcnt lgkmcnt(0)
	s_barrier
	buffer_gl0_inv
	v_cmpx_gt_u32_e32 16, v0
	s_cbranch_execz .LBB88_58
; %bb.57:
	ds_load_2addr_b64 v[4:7], v3 offset1:16
	s_waitcnt lgkmcnt(0)
	v_dual_add_f32 v1, v6, v4 :: v_dual_add_f32 v2, v7, v5
	ds_store_b64 v3, v[1:2]
.LBB88_58:
	;; [unrolled: 14-line block ×5, first 2 shown]
	s_or_b32 exec_lo, exec_lo, s3
	s_waitcnt lgkmcnt(0)
	s_barrier
	buffer_gl0_inv
	s_and_saveexec_b32 s2, vcc_lo
	s_cbranch_execz .LBB88_66
; %bb.65:
	v_mov_b32_e32 v5, 0
	ds_load_2addr_b64 v[1:4], v5 offset1:1
	s_waitcnt lgkmcnt(0)
	v_dual_add_f32 v2, v4, v2 :: v_dual_add_f32 v1, v3, v1
	ds_store_b64 v5, v[1:2]
.LBB88_66:
	s_or_b32 exec_lo, exec_lo, s2
	s_waitcnt lgkmcnt(0)
	s_barrier
	buffer_gl0_inv
	s_and_saveexec_b32 s10, vcc_lo
	s_cbranch_execz .LBB88_79
; %bb.67:
	s_and_not1_b32 vcc_lo, exec_lo, s35
	s_cbranch_vccnz .LBB88_73
; %bb.68:
	s_lshl_b64 s[2:3], s[8:9], 2
	v_mov_b32_e32 v1, 0
	s_add_u32 s2, s6, s2
	s_addc_u32 s3, s7, s3
	s_branch .LBB88_70
.LBB88_69:                              ;   in Loop: Header=BB88_70 Depth=1
	s_or_b32 exec_lo, exec_lo, s6
	s_waitcnt vmcnt(0)
	v_readfirstlane_b32 s6, v2
	s_delay_alu instid0(VALU_DEP_1)
	s_cmp_eq_u32 s6, s33
	s_cbranch_scc0 .LBB88_72
.LBB88_70:                              ; =>This Inner Loop Header: Depth=1
	v_mbcnt_lo_u32_b32 v2, exec_lo, 0
	s_delay_alu instid0(VALU_DEP_1)
	v_cmp_eq_u32_e32 vcc_lo, 0, v2
                                        ; implicit-def: $vgpr2
	s_and_saveexec_b32 s6, vcc_lo
	s_cbranch_execz .LBB88_69
; %bb.71:                               ;   in Loop: Header=BB88_70 Depth=1
	global_load_b32 v2, v1, s[2:3] glc
	s_branch .LBB88_69
.LBB88_72:
	v_mov_b32_e32 v1, 0
	global_load_b32 v2, v1, s[4:5]
	s_waitcnt vmcnt(0)
	v_xor_b32_e32 v2, 1, v2
	global_store_b32 v1, v2, s[4:5]
.LBB88_73:
	v_mov_b32_e32 v5, 0
	s_mov_b32 s6, exec_lo
	s_add_u32 s2, s24, s36
	v_mbcnt_lo_u32_b32 v3, s6, 0
	s_addc_u32 s3, s25, s37
	ds_load_b64 v[1:2], v5
	s_mov_b32 s5, 0
	s_mov_b32 s4, exec_lo
	v_cmpx_eq_u32_e32 0, v3
	s_cbranch_execz .LBB88_76
; %bb.74:
	global_load_b32 v4, v5, s[2:3]
	s_bcnt1_i32_b32 s6, s6
	s_delay_alu instid0(SALU_CYCLE_1) | instskip(SKIP_1) | instid1(VALU_DEP_1)
	v_cvt_f32_ubyte0_e32 v3, s6
	s_waitcnt lgkmcnt(0)
	v_mul_f32_e32 v1, v1, v3
.LBB88_75:                              ; =>This Inner Loop Header: Depth=1
	s_waitcnt vmcnt(0)
	s_delay_alu instid0(VALU_DEP_1)
	v_add_f32_e32 v3, v4, v1
	global_atomic_cmpswap_b32 v3, v5, v[3:4], s[2:3] glc
	s_waitcnt vmcnt(0)
	v_cmp_eq_u32_e32 vcc_lo, v3, v4
	v_mov_b32_e32 v4, v3
	s_or_b32 s5, vcc_lo, s5
	s_delay_alu instid0(SALU_CYCLE_1)
	s_and_not1_b32 exec_lo, exec_lo, s5
	s_cbranch_execnz .LBB88_75
.LBB88_76:
	s_or_b32 exec_lo, exec_lo, s4
	s_delay_alu instid0(SALU_CYCLE_1) | instskip(SKIP_3) | instid1(VALU_DEP_1)
	s_mov_b32 s5, exec_lo
	s_mov_b32 s4, 0
	s_waitcnt lgkmcnt(0)
	v_mbcnt_lo_u32_b32 v1, s5, 0
	v_cmp_eq_u32_e32 vcc_lo, 0, v1
	s_and_b32 s6, exec_lo, vcc_lo
	s_delay_alu instid0(SALU_CYCLE_1)
	s_mov_b32 exec_lo, s6
	s_cbranch_execz .LBB88_79
; %bb.77:
	s_bcnt1_i32_b32 s5, s5
	s_delay_alu instid0(SALU_CYCLE_1) | instskip(NEXT) | instid1(VALU_DEP_1)
	v_cvt_f32_ubyte0_e32 v4, s5
	v_dual_mov_b32 v1, 0 :: v_dual_mul_f32 v4, v2, v4
	global_load_b32 v3, v1, s[2:3] offset:4
.LBB88_78:                              ; =>This Inner Loop Header: Depth=1
	s_waitcnt vmcnt(0)
	v_add_f32_e32 v2, v3, v4
	global_atomic_cmpswap_b32 v2, v1, v[2:3], s[2:3] offset:4 glc
	s_waitcnt vmcnt(0)
	v_cmp_eq_u32_e32 vcc_lo, v2, v3
	v_mov_b32_e32 v3, v2
	s_or_b32 s4, vcc_lo, s4
	s_delay_alu instid0(SALU_CYCLE_1)
	s_and_not1_b32 exec_lo, exec_lo, s4
	s_cbranch_execnz .LBB88_78
.LBB88_79:
	s_or_b32 exec_lo, exec_lo, s10
.LBB88_80:
	s_mov_b32 s4, 0
.LBB88_81:
	s_delay_alu instid0(SALU_CYCLE_1)
	s_and_not1_b32 vcc_lo, exec_lo, s4
	s_cbranch_vccnz .LBB88_125
; %bb.82:
	s_load_b64 s[0:1], s[0:1], 0x8
	v_sub_co_u32 v1, s2, v0, s34
	s_delay_alu instid0(VALU_DEP_1) | instskip(SKIP_1) | instid1(VALU_DEP_2)
	v_sub_co_ci_u32_e64 v2, null, 0, 0, s2
	s_waitcnt lgkmcnt(0)
	v_add_co_u32 v1, vcc_lo, s28, v1
	s_delay_alu instid0(VALU_DEP_2) | instskip(NEXT) | instid1(VALU_DEP_2)
	v_add_co_ci_u32_e32 v2, vcc_lo, s29, v2, vcc_lo
	v_add_co_u32 v3, vcc_lo, 0x300, v1
	s_delay_alu instid0(VALU_DEP_2) | instskip(NEXT) | instid1(VALU_DEP_1)
	v_add_co_ci_u32_e32 v4, vcc_lo, 0, v2, vcc_lo
	v_cmp_le_i64_e32 vcc_lo, s[0:1], v[3:4]
	s_and_saveexec_b32 s0, vcc_lo
	s_delay_alu instid0(SALU_CYCLE_1)
	s_xor_b32 s1, exec_lo, s0
	s_cbranch_execz .LBB88_87
; %bb.83:
	s_lshl_b64 s[2:3], s[22:23], 3
	s_mov_b32 s4, exec_lo
	s_add_u32 s2, s12, s2
	s_addc_u32 s3, s13, s3
	s_load_b64 s[2:3], s[2:3], 0x0
	s_waitcnt lgkmcnt(0)
	s_sub_u32 s2, s2, s34
	s_subb_u32 s3, s3, 0
	s_delay_alu instid0(SALU_CYCLE_1)
	v_cmpx_gt_i64_e64 s[2:3], v[1:2]
	s_cbranch_execz .LBB88_86
; %bb.84:
	v_lshlrev_b64 v[3:4], 2, v[1:2]
	v_lshlrev_b64 v[5:6], 3, v[1:2]
	v_dual_mul_f32 v7, 0x80000000, v10 :: v_dual_mul_f32 v8, 0, v9
	v_lshlrev_b32_e32 v11, 3, v0
	s_mov_b32 s5, 0
	s_delay_alu instid0(VALU_DEP_4)
	v_add_co_u32 v3, vcc_lo, s16, v3
	v_add_co_ci_u32_e32 v4, vcc_lo, s17, v4, vcc_lo
	v_add_co_u32 v5, vcc_lo, s14, v5
	v_add_co_ci_u32_e32 v6, vcc_lo, s15, v6, vcc_lo
	s_set_inst_prefetch_distance 0x1
	.p2align	6
.LBB88_85:                              ; =>This Inner Loop Header: Depth=1
	global_load_b64 v[15:16], v[5:6], off
	global_load_b32 v12, v[3:4], off
	s_waitcnt vmcnt(1)
	v_sub_co_u32 v15, vcc_lo, v15, s34
	v_subrev_co_ci_u32_e32 v16, vcc_lo, 0, v16, vcc_lo
	s_waitcnt vmcnt(0)
	v_fma_f32 v19, v10, v12, v8
	v_fma_f32 v12, v9, v12, v7
	s_delay_alu instid0(VALU_DEP_3) | instskip(NEXT) | instid1(VALU_DEP_1)
	v_lshlrev_b64 v[15:16], 3, v[15:16]
	v_add_co_u32 v15, vcc_lo, s18, v15
	s_delay_alu instid0(VALU_DEP_2)
	v_add_co_ci_u32_e32 v16, vcc_lo, s19, v16, vcc_lo
	v_add_co_u32 v1, vcc_lo, 0x100, v1
	v_add_co_ci_u32_e32 v2, vcc_lo, 0, v2, vcc_lo
	global_load_b64 v[15:16], v[15:16], off
	v_add_co_u32 v3, vcc_lo, 0x400, v3
	v_add_co_ci_u32_e32 v4, vcc_lo, 0, v4, vcc_lo
	v_cmp_le_i64_e64 s0, s[2:3], v[1:2]
	v_add_co_u32 v5, vcc_lo, 0x800, v5
	v_add_co_ci_u32_e32 v6, vcc_lo, 0, v6, vcc_lo
	s_delay_alu instid0(VALU_DEP_3) | instskip(SKIP_3) | instid1(VALU_DEP_2)
	s_or_b32 s5, s0, s5
	s_waitcnt vmcnt(0)
	v_mul_f32_e64 v17, v16, -v19
	v_mul_f32_e32 v18, v12, v16
	v_fmac_f32_e32 v17, v12, v15
	s_delay_alu instid0(VALU_DEP_2)
	v_fmac_f32_e32 v18, v19, v15
	ds_store_b64 v11, v[17:18]
	v_add_nc_u32_e32 v11, 0x800, v11
	s_and_not1_b32 exec_lo, exec_lo, s5
	s_cbranch_execnz .LBB88_85
.LBB88_86:
	s_set_inst_prefetch_distance 0x2
	s_or_b32 exec_lo, exec_lo, s4
                                        ; implicit-def: $vgpr10
                                        ; implicit-def: $vgpr9
                                        ; implicit-def: $vgpr1_vgpr2
.LBB88_87:
	s_or_saveexec_b32 s0, s1
	v_lshlrev_b32_e32 v15, 3, v0
	s_xor_b32 exec_lo, exec_lo, s0
	s_cbranch_execz .LBB88_89
; %bb.88:
	v_lshlrev_b64 v[3:4], 3, v[1:2]
	v_lshlrev_b64 v[1:2], 2, v[1:2]
	v_dual_mul_f32 v20, 0x80000000, v10 :: v_dual_mul_f32 v21, 0, v9
	s_delay_alu instid0(VALU_DEP_3) | instskip(NEXT) | instid1(VALU_DEP_4)
	v_add_co_u32 v3, vcc_lo, s14, v3
	v_add_co_ci_u32_e32 v4, vcc_lo, s15, v4, vcc_lo
	s_clause 0x1
	global_load_b64 v[5:6], v[3:4], off
	global_load_b64 v[7:8], v[3:4], off offset:2048
	v_add_co_u32 v3, vcc_lo, 0x1000, v3
	v_add_co_ci_u32_e32 v4, vcc_lo, 0, v4, vcc_lo
	s_clause 0x1
	global_load_b64 v[11:12], v[3:4], off
	global_load_b64 v[3:4], v[3:4], off offset:2048
	s_waitcnt vmcnt(3)
	v_sub_co_u32 v5, vcc_lo, v5, s34
	v_subrev_co_ci_u32_e32 v6, vcc_lo, 0, v6, vcc_lo
	s_waitcnt vmcnt(2)
	v_sub_co_u32 v7, vcc_lo, v7, s34
	v_subrev_co_ci_u32_e32 v8, vcc_lo, 0, v8, vcc_lo
	v_add_co_u32 v1, vcc_lo, s16, v1
	v_add_co_ci_u32_e32 v2, vcc_lo, s17, v2, vcc_lo
	v_lshlrev_b64 v[5:6], 3, v[5:6]
	s_waitcnt vmcnt(1)
	v_sub_co_u32 v11, vcc_lo, v11, s34
	v_subrev_co_ci_u32_e32 v12, vcc_lo, 0, v12, vcc_lo
	v_lshlrev_b64 v[7:8], 3, v[7:8]
	s_waitcnt vmcnt(0)
	v_sub_co_u32 v3, vcc_lo, v3, s34
	v_subrev_co_ci_u32_e32 v4, vcc_lo, 0, v4, vcc_lo
	v_add_co_u32 v5, vcc_lo, s18, v5
	v_add_co_ci_u32_e32 v6, vcc_lo, s19, v6, vcc_lo
	v_add_co_u32 v7, vcc_lo, s18, v7
	v_lshlrev_b64 v[11:12], 3, v[11:12]
	v_add_co_ci_u32_e32 v8, vcc_lo, s19, v8, vcc_lo
	s_clause 0x3
	global_load_b32 v16, v[1:2], off
	global_load_b32 v17, v[1:2], off offset:1024
	global_load_b32 v18, v[1:2], off offset:2048
	global_load_b32 v19, v[1:2], off offset:3072
	v_lshlrev_b64 v[1:2], 3, v[3:4]
	s_clause 0x1
	global_load_b64 v[3:4], v[5:6], off
	global_load_b64 v[5:6], v[7:8], off
	v_add_co_u32 v7, vcc_lo, s18, v11
	v_add_co_ci_u32_e32 v8, vcc_lo, s19, v12, vcc_lo
	v_add_co_u32 v1, vcc_lo, s18, v1
	v_add_co_ci_u32_e32 v2, vcc_lo, s19, v2, vcc_lo
	s_clause 0x1
	global_load_b64 v[7:8], v[7:8], off
	global_load_b64 v[1:2], v[1:2], off
	s_waitcnt vmcnt(7)
	v_fma_f32 v22, v9, v16, v20
	s_waitcnt vmcnt(6)
	v_fma_f32 v24, v10, v17, v21
	v_fma_f32 v16, v10, v16, v21
	;; [unrolled: 1-line block ×3, first 2 shown]
	s_waitcnt vmcnt(5)
	v_fma_f32 v25, v9, v18, v20
	s_waitcnt vmcnt(4)
	v_fmac_f32_e32 v20, v9, v19
	s_waitcnt vmcnt(2)
	v_mul_f32_e64 v9, v6, -v24
	v_fma_f32 v18, v10, v18, v21
	v_mul_f32_e64 v11, v4, -v16
	v_dual_fmac_f32 v21, v10, v19 :: v_dual_mul_f32 v10, v23, v6
	s_delay_alu instid0(VALU_DEP_4) | instskip(SKIP_1) | instid1(VALU_DEP_3)
	v_dual_fmac_f32 v9, v23, v5 :: v_dual_mul_f32 v12, v22, v4
	s_waitcnt vmcnt(1)
	v_dual_fmac_f32 v11, v22, v3 :: v_dual_mul_f32 v4, v25, v8
	s_waitcnt vmcnt(0)
	v_mul_f32_e32 v17, v20, v2
	v_fmac_f32_e32 v12, v16, v3
	v_mul_f32_e64 v3, v8, -v18
	v_mul_f32_e64 v16, v2, -v21
	v_fmac_f32_e32 v10, v24, v5
	v_dual_fmac_f32 v4, v18, v7 :: v_dual_fmac_f32 v17, v21, v1
	s_delay_alu instid0(VALU_DEP_3)
	v_dual_fmac_f32 v3, v25, v7 :: v_dual_fmac_f32 v16, v20, v1
	ds_store_2addr_stride64_b64 v15, v[11:12], v[9:10] offset1:4
	ds_store_2addr_stride64_b64 v15, v[3:4], v[16:17] offset0:8 offset1:12
.LBB88_89:
	s_or_b32 exec_lo, exec_lo, s0
	v_cmp_lt_i64_e64 s0, s[26:27], 2
	s_waitcnt lgkmcnt(0)
	s_waitcnt_vscnt null, 0x0
	s_barrier
	buffer_gl0_inv
	s_and_b32 vcc_lo, exec_lo, s0
	s_mov_b32 s0, -1
	s_cbranch_vccz .LBB88_100
; %bb.90:
	v_add_co_u32 v5, s0, s20, v0
	s_delay_alu instid0(VALU_DEP_1) | instskip(SKIP_1) | instid1(VALU_DEP_1)
	v_add_co_ci_u32_e64 v6, null, s21, 0, s0
	s_mov_b32 s1, exec_lo
	v_cmpx_gt_i64_e64 s[22:23], v[5:6]
	s_cbranch_execz .LBB88_99
; %bb.91:
	v_cmp_neq_f32_e32 vcc_lo, 0, v13
	v_cmp_neq_f32_e64 s0, 0, v14
	s_lshl_b32 s4, s28, 3
	s_mov_b32 s2, 0
	s_sub_i32 s4, 0, s4
	s_delay_alu instid0(VALU_DEP_1)
	s_or_b32 s3, vcc_lo, s0
	s_branch .LBB88_93
.LBB88_92:                              ;   in Loop: Header=BB88_93 Depth=1
	s_or_b32 exec_lo, exec_lo, s0
	v_add_co_u32 v5, vcc_lo, 0x100, v5
	v_add_co_ci_u32_e32 v6, vcc_lo, 0, v6, vcc_lo
	v_add_co_u32 v1, s0, s24, v7
	s_delay_alu instid0(VALU_DEP_1) | instskip(NEXT) | instid1(VALU_DEP_3)
	v_add_co_ci_u32_e64 v2, s0, s25, v8, s0
	v_cmp_le_i64_e32 vcc_lo, s[22:23], v[5:6]
	global_store_b64 v[1:2], v[9:10], off
	s_or_b32 s2, vcc_lo, s2
	s_delay_alu instid0(SALU_CYCLE_1)
	s_and_not1_b32 exec_lo, exec_lo, s2
	s_cbranch_execz .LBB88_99
.LBB88_93:                              ; =>This Loop Header: Depth=1
                                        ;     Child Loop BB88_95 Depth 2
	v_lshlrev_b64 v[7:8], 3, v[5:6]
	v_dual_mov_b32 v10, 0 :: v_dual_mov_b32 v9, 0
	s_mov_b32 s0, exec_lo
	s_delay_alu instid0(VALU_DEP_2) | instskip(NEXT) | instid1(VALU_DEP_3)
	v_add_co_u32 v1, vcc_lo, s12, v7
	v_add_co_ci_u32_e32 v2, vcc_lo, s13, v8, vcc_lo
	global_load_b128 v[1:4], v[1:2], off
	s_waitcnt vmcnt(0)
	v_cmpx_lt_i64_e64 v[1:2], v[3:4]
	s_cbranch_execz .LBB88_97
; %bb.94:                               ;   in Loop: Header=BB88_93 Depth=1
	v_sub_co_u32 v3, vcc_lo, v3, s28
	v_mov_b32_e32 v10, 0
	v_subrev_co_ci_u32_e32 v4, vcc_lo, s29, v4, vcc_lo
	v_sub_co_u32 v11, vcc_lo, v1, s28
	v_subrev_co_ci_u32_e32 v12, vcc_lo, s29, v2, vcc_lo
	v_lshl_add_u32 v1, v1, 3, s4
	v_mov_b32_e32 v9, v10
	s_mov_b32 s5, 0
.LBB88_95:                              ;   Parent Loop BB88_93 Depth=1
                                        ; =>  This Inner Loop Header: Depth=2
	ds_load_b64 v[16:17], v1
	v_add_co_u32 v11, vcc_lo, v11, 1
	v_add_co_ci_u32_e32 v12, vcc_lo, 0, v12, vcc_lo
	v_add_nc_u32_e32 v1, 8, v1
	s_delay_alu instid0(VALU_DEP_2)
	v_cmp_ge_i64_e32 vcc_lo, v[11:12], v[3:4]
	s_or_b32 s5, vcc_lo, s5
	s_waitcnt lgkmcnt(0)
	v_dual_add_f32 v9, v9, v16 :: v_dual_add_f32 v10, v10, v17
	s_and_not1_b32 exec_lo, exec_lo, s5
	s_cbranch_execnz .LBB88_95
; %bb.96:                               ;   in Loop: Header=BB88_93 Depth=1
	s_or_b32 exec_lo, exec_lo, s5
.LBB88_97:                              ;   in Loop: Header=BB88_93 Depth=1
	s_delay_alu instid0(SALU_CYCLE_1)
	s_or_b32 exec_lo, exec_lo, s0
	s_and_saveexec_b32 s0, s3
	s_cbranch_execz .LBB88_92
; %bb.98:                               ;   in Loop: Header=BB88_93 Depth=1
	v_add_co_u32 v1, vcc_lo, s24, v7
	v_add_co_ci_u32_e32 v2, vcc_lo, s25, v8, vcc_lo
	global_load_b64 v[1:2], v[1:2], off
	s_waitcnt vmcnt(0)
	v_fmac_f32_e32 v9, v13, v1
	v_fmac_f32_e32 v10, v14, v1
	s_delay_alu instid0(VALU_DEP_2) | instskip(NEXT) | instid1(VALU_DEP_2)
	v_fma_f32 v9, -v14, v2, v9
	v_fmac_f32_e32 v10, v13, v2
	s_branch .LBB88_92
.LBB88_99:
	s_or_b32 exec_lo, exec_lo, s1
	s_mov_b32 s0, 0
.LBB88_100:
	s_delay_alu instid0(SALU_CYCLE_1)
	s_and_not1_b32 vcc_lo, exec_lo, s0
	s_cbranch_vccnz .LBB88_125
; %bb.101:
	s_clz_i32_u32 s0, s26
	v_mov_b32_e32 v5, 0
	s_min_u32 s0, s0, 32
	s_mov_b32 s1, exec_lo
	s_sub_i32 s0, 31, s0
	s_delay_alu instid0(SALU_CYCLE_1) | instskip(SKIP_1) | instid1(VALU_DEP_2)
	v_lshrrev_b32_e32 v7, s0, v0
	v_mov_b32_e32 v6, v5
	v_add_co_u32 v1, s0, s20, v7
	s_delay_alu instid0(VALU_DEP_1) | instskip(SKIP_1) | instid1(SALU_CYCLE_1)
	v_add_co_ci_u32_e64 v2, null, s21, 0, s0
	s_add_i32 s0, s26, -1
	v_and_b32_e64 v4, s0, 0
	v_and_b32_e32 v3, s0, v0
	s_delay_alu instid0(VALU_DEP_3)
	v_cmp_le_i64_e64 s0, s[22:23], v[1:2]
	v_cmpx_gt_i64_e64 s[22:23], v[1:2]
	s_cbranch_execz .LBB88_107
; %bb.102:
	v_lshlrev_b32_e32 v0, 3, v7
	s_mov_b32 s2, exec_lo
	global_load_b128 v[5:8], v0, s[30:31]
	v_sub_co_u32 v0, vcc_lo, v3, s28
	v_subrev_co_ci_u32_e32 v10, vcc_lo, s29, v4, vcc_lo
	s_waitcnt vmcnt(0)
	v_sub_co_u32 v7, vcc_lo, v7, s28
	v_subrev_co_ci_u32_e32 v8, vcc_lo, s29, v8, vcc_lo
	v_add_co_u32 v9, vcc_lo, v5, v0
	v_mov_b32_e32 v5, 0
	v_add_co_ci_u32_e32 v10, vcc_lo, v6, v10, vcc_lo
	v_mov_b32_e32 v6, 0
	s_delay_alu instid0(VALU_DEP_2)
	v_cmpx_lt_i64_e64 v[9:10], v[7:8]
	s_cbranch_execz .LBB88_106
; %bb.103:
	v_mov_b32_e32 v6, 0
	v_lshlrev_b32_e32 v0, 3, v9
	s_lshl_b32 s4, s26, 3
	s_mov_b32 s3, 0
	s_delay_alu instid0(VALU_DEP_2)
	v_mov_b32_e32 v5, v6
.LBB88_104:                             ; =>This Inner Loop Header: Depth=1
	ds_load_b64 v[11:12], v0
	v_add_co_u32 v9, vcc_lo, v9, s26
	v_add_co_ci_u32_e32 v10, vcc_lo, s27, v10, vcc_lo
	v_add_nc_u32_e32 v0, s4, v0
	s_delay_alu instid0(VALU_DEP_2)
	v_cmp_ge_i64_e32 vcc_lo, v[9:10], v[7:8]
	s_or_b32 s3, vcc_lo, s3
	s_waitcnt lgkmcnt(0)
	v_dual_add_f32 v5, v5, v11 :: v_dual_add_f32 v6, v6, v12
	s_and_not1_b32 exec_lo, exec_lo, s3
	s_cbranch_execnz .LBB88_104
; %bb.105:
	s_or_b32 exec_lo, exec_lo, s3
.LBB88_106:
	s_delay_alu instid0(SALU_CYCLE_1)
	s_or_b32 exec_lo, exec_lo, s2
.LBB88_107:
	s_delay_alu instid0(SALU_CYCLE_1)
	s_or_b32 exec_lo, exec_lo, s1
	v_cmp_gt_i64_e64 s1, 0x81, s[26:27]
	s_waitcnt_vscnt null, 0x0
	s_barrier
	buffer_gl0_inv
	ds_store_b64 v15, v[5:6]
	s_waitcnt lgkmcnt(0)
	s_and_b32 vcc_lo, exec_lo, s1
	s_barrier
	buffer_gl0_inv
	s_cbranch_vccnz .LBB88_109
; %bb.108:
	ds_load_b64 v[7:8], v15 offset:1024
	s_waitcnt lgkmcnt(0)
	s_barrier
	buffer_gl0_inv
	v_dual_add_f32 v5, v5, v7 :: v_dual_add_f32 v6, v6, v8
	ds_store_b64 v15, v[5:6]
.LBB88_109:
	v_cmp_gt_i64_e64 s1, 0x41, s[26:27]
	s_waitcnt lgkmcnt(0)
	s_barrier
	buffer_gl0_inv
	s_and_b32 vcc_lo, exec_lo, s1
	s_cbranch_vccnz .LBB88_111
; %bb.110:
	ds_load_b64 v[7:8], v15 offset:512
	s_waitcnt lgkmcnt(0)
	s_barrier
	buffer_gl0_inv
	v_dual_add_f32 v5, v5, v7 :: v_dual_add_f32 v6, v6, v8
	ds_store_b64 v15, v[5:6]
.LBB88_111:
	v_cmp_lt_i64_e64 s1, s[26:27], 33
	s_waitcnt lgkmcnt(0)
	s_barrier
	buffer_gl0_inv
	s_and_b32 vcc_lo, exec_lo, s1
	s_cbranch_vccnz .LBB88_113
; %bb.112:
	ds_load_b64 v[7:8], v15 offset:256
	s_waitcnt lgkmcnt(0)
	s_barrier
	buffer_gl0_inv
	v_dual_add_f32 v5, v5, v7 :: v_dual_add_f32 v6, v6, v8
	ds_store_b64 v15, v[5:6]
.LBB88_113:
	v_cmp_lt_i64_e64 s1, s[26:27], 17
	;; [unrolled: 14-line block ×4, first 2 shown]
	s_waitcnt lgkmcnt(0)
	s_barrier
	buffer_gl0_inv
	s_and_b32 vcc_lo, exec_lo, s1
	s_cbranch_vccnz .LBB88_119
; %bb.118:
	ds_load_b64 v[7:8], v15 offset:32
	s_waitcnt lgkmcnt(0)
	s_barrier
	buffer_gl0_inv
	v_dual_add_f32 v5, v5, v7 :: v_dual_add_f32 v6, v6, v8
	ds_store_b64 v15, v[5:6]
.LBB88_119:
	s_cmp_eq_u64 s[26:27], 2
	s_waitcnt lgkmcnt(0)
	s_barrier
	buffer_gl0_inv
	s_cbranch_scc1 .LBB88_121
; %bb.120:
	ds_load_b64 v[7:8], v15 offset:16
	s_waitcnt lgkmcnt(0)
	s_barrier
	buffer_gl0_inv
	v_dual_add_f32 v5, v5, v7 :: v_dual_add_f32 v6, v6, v8
	ds_store_b64 v15, v[5:6]
.LBB88_121:
	s_waitcnt lgkmcnt(0)
	s_barrier
	buffer_gl0_inv
	ds_load_b64 v[7:8], v15 offset:8
	v_cmp_eq_u64_e32 vcc_lo, 0, v[3:4]
	s_xor_b32 s0, s0, -1
	s_waitcnt lgkmcnt(0)
	s_barrier
	buffer_gl0_inv
	s_and_b32 s0, vcc_lo, s0
	v_dual_add_f32 v3, v5, v7 :: v_dual_add_f32 v4, v6, v8
	ds_store_b64 v15, v[3:4]
	s_and_b32 exec_lo, exec_lo, s0
	s_cbranch_execz .LBB88_125
; %bb.122:
	v_cmp_neq_f32_e32 vcc_lo, 0, v13
	v_cmp_neq_f32_e64 s0, 0, v14
	v_lshlrev_b64 v[0:1], 3, v[1:2]
	s_delay_alu instid0(VALU_DEP_2) | instskip(NEXT) | instid1(SALU_CYCLE_1)
	s_or_b32 s1, vcc_lo, s0
	s_and_saveexec_b32 s0, s1
	s_cbranch_execz .LBB88_124
; %bb.123:
	s_delay_alu instid0(VALU_DEP_1) | instskip(NEXT) | instid1(VALU_DEP_2)
	v_add_co_u32 v5, vcc_lo, s24, v0
	v_add_co_ci_u32_e32 v6, vcc_lo, s25, v1, vcc_lo
	global_load_b64 v[5:6], v[5:6], off
	s_waitcnt vmcnt(0)
	v_fmac_f32_e32 v3, v13, v5
	v_fmac_f32_e32 v4, v14, v5
	s_delay_alu instid0(VALU_DEP_2) | instskip(NEXT) | instid1(VALU_DEP_2)
	v_fma_f32 v3, -v14, v6, v3
	v_fmac_f32_e32 v4, v13, v6
.LBB88_124:
	s_or_b32 exec_lo, exec_lo, s0
	s_delay_alu instid0(VALU_DEP_1)
	v_add_co_u32 v0, vcc_lo, s24, v0
	v_add_co_ci_u32_e32 v1, vcc_lo, s25, v1, vcc_lo
	global_store_b64 v[0:1], v[3:4], off
.LBB88_125:
	s_nop 0
	s_sendmsg sendmsg(MSG_DEALLOC_VGPRS)
	s_endpgm
	.section	.rodata,"a",@progbits
	.p2align	6, 0x0
	.amdhsa_kernel _ZN9rocsparseL22csrmvn_adaptive_kernelIllf21rocsparse_complex_numIfES2_S2_EEvbT_PKS3_PjPKT0_NS_24const_host_device_scalarIT4_EES5_S9_PKT1_PKT2_SC_PT3_21rocsparse_index_base_b
		.amdhsa_group_segment_fixed_size 8192
		.amdhsa_private_segment_fixed_size 0
		.amdhsa_kernarg_size 104
		.amdhsa_user_sgpr_count 15
		.amdhsa_user_sgpr_dispatch_ptr 0
		.amdhsa_user_sgpr_queue_ptr 0
		.amdhsa_user_sgpr_kernarg_segment_ptr 1
		.amdhsa_user_sgpr_dispatch_id 0
		.amdhsa_user_sgpr_private_segment_size 0
		.amdhsa_wavefront_size32 1
		.amdhsa_uses_dynamic_stack 0
		.amdhsa_enable_private_segment 0
		.amdhsa_system_sgpr_workgroup_id_x 1
		.amdhsa_system_sgpr_workgroup_id_y 0
		.amdhsa_system_sgpr_workgroup_id_z 0
		.amdhsa_system_sgpr_workgroup_info 0
		.amdhsa_system_vgpr_workitem_id 0
		.amdhsa_next_free_vgpr 26
		.amdhsa_next_free_sgpr 50
		.amdhsa_reserve_vcc 1
		.amdhsa_float_round_mode_32 0
		.amdhsa_float_round_mode_16_64 0
		.amdhsa_float_denorm_mode_32 3
		.amdhsa_float_denorm_mode_16_64 3
		.amdhsa_dx10_clamp 1
		.amdhsa_ieee_mode 1
		.amdhsa_fp16_overflow 0
		.amdhsa_workgroup_processor_mode 1
		.amdhsa_memory_ordered 1
		.amdhsa_forward_progress 0
		.amdhsa_shared_vgpr_count 0
		.amdhsa_exception_fp_ieee_invalid_op 0
		.amdhsa_exception_fp_denorm_src 0
		.amdhsa_exception_fp_ieee_div_zero 0
		.amdhsa_exception_fp_ieee_overflow 0
		.amdhsa_exception_fp_ieee_underflow 0
		.amdhsa_exception_fp_ieee_inexact 0
		.amdhsa_exception_int_div_zero 0
	.end_amdhsa_kernel
	.section	.text._ZN9rocsparseL22csrmvn_adaptive_kernelIllf21rocsparse_complex_numIfES2_S2_EEvbT_PKS3_PjPKT0_NS_24const_host_device_scalarIT4_EES5_S9_PKT1_PKT2_SC_PT3_21rocsparse_index_base_b,"axG",@progbits,_ZN9rocsparseL22csrmvn_adaptive_kernelIllf21rocsparse_complex_numIfES2_S2_EEvbT_PKS3_PjPKT0_NS_24const_host_device_scalarIT4_EES5_S9_PKT1_PKT2_SC_PT3_21rocsparse_index_base_b,comdat
.Lfunc_end88:
	.size	_ZN9rocsparseL22csrmvn_adaptive_kernelIllf21rocsparse_complex_numIfES2_S2_EEvbT_PKS3_PjPKT0_NS_24const_host_device_scalarIT4_EES5_S9_PKT1_PKT2_SC_PT3_21rocsparse_index_base_b, .Lfunc_end88-_ZN9rocsparseL22csrmvn_adaptive_kernelIllf21rocsparse_complex_numIfES2_S2_EEvbT_PKS3_PjPKT0_NS_24const_host_device_scalarIT4_EES5_S9_PKT1_PKT2_SC_PT3_21rocsparse_index_base_b
                                        ; -- End function
	.section	.AMDGPU.csdata,"",@progbits
; Kernel info:
; codeLenInByte = 5576
; NumSgprs: 52
; NumVgprs: 26
; ScratchSize: 0
; MemoryBound: 0
; FloatMode: 240
; IeeeMode: 1
; LDSByteSize: 8192 bytes/workgroup (compile time only)
; SGPRBlocks: 6
; VGPRBlocks: 3
; NumSGPRsForWavesPerEU: 52
; NumVGPRsForWavesPerEU: 26
; Occupancy: 16
; WaveLimiterHint : 1
; COMPUTE_PGM_RSRC2:SCRATCH_EN: 0
; COMPUTE_PGM_RSRC2:USER_SGPR: 15
; COMPUTE_PGM_RSRC2:TRAP_HANDLER: 0
; COMPUTE_PGM_RSRC2:TGID_X_EN: 1
; COMPUTE_PGM_RSRC2:TGID_Y_EN: 0
; COMPUTE_PGM_RSRC2:TGID_Z_EN: 0
; COMPUTE_PGM_RSRC2:TIDIG_COMP_CNT: 0
	.section	.text._ZN9rocsparseL27csrmvn_symm_adaptive_kernelIllf21rocsparse_complex_numIfES2_S2_EEvbT_S3_PKS3_NS_24const_host_device_scalarIT4_EES5_PKT0_PKT1_PKT2_S8_PT3_21rocsparse_index_base_b,"axG",@progbits,_ZN9rocsparseL27csrmvn_symm_adaptive_kernelIllf21rocsparse_complex_numIfES2_S2_EEvbT_S3_PKS3_NS_24const_host_device_scalarIT4_EES5_PKT0_PKT1_PKT2_S8_PT3_21rocsparse_index_base_b,comdat
	.globl	_ZN9rocsparseL27csrmvn_symm_adaptive_kernelIllf21rocsparse_complex_numIfES2_S2_EEvbT_S3_PKS3_NS_24const_host_device_scalarIT4_EES5_PKT0_PKT1_PKT2_S8_PT3_21rocsparse_index_base_b ; -- Begin function _ZN9rocsparseL27csrmvn_symm_adaptive_kernelIllf21rocsparse_complex_numIfES2_S2_EEvbT_S3_PKS3_NS_24const_host_device_scalarIT4_EES5_PKT0_PKT1_PKT2_S8_PT3_21rocsparse_index_base_b
	.p2align	8
	.type	_ZN9rocsparseL27csrmvn_symm_adaptive_kernelIllf21rocsparse_complex_numIfES2_S2_EEvbT_S3_PKS3_NS_24const_host_device_scalarIT4_EES5_PKT0_PKT1_PKT2_S8_PT3_21rocsparse_index_base_b,@function
_ZN9rocsparseL27csrmvn_symm_adaptive_kernelIllf21rocsparse_complex_numIfES2_S2_EEvbT_S3_PKS3_NS_24const_host_device_scalarIT4_EES5_PKT0_PKT1_PKT2_S8_PT3_21rocsparse_index_base_b: ; @_ZN9rocsparseL27csrmvn_symm_adaptive_kernelIllf21rocsparse_complex_numIfES2_S2_EEvbT_S3_PKS3_NS_24const_host_device_scalarIT4_EES5_PKT0_PKT1_PKT2_S8_PT3_21rocsparse_index_base_b
; %bb.0:
	s_clause 0x2
	s_load_b64 s[24:25], s[0:1], 0x58
	s_load_b64 s[6:7], s[0:1], 0x20
	;; [unrolled: 1-line block ×3, first 2 shown]
	s_mov_b32 s4, s15
	s_waitcnt lgkmcnt(0)
	s_bitcmp1_b32 s25, 0
	v_mov_b32_e32 v10, s6
	s_cselect_b32 s5, -1, 0
	s_delay_alu instid0(SALU_CYCLE_1)
	s_and_b32 vcc_lo, exec_lo, s5
	s_xor_b32 s5, s5, -1
	s_cbranch_vccz .LBB89_11
; %bb.1:
	v_cndmask_b32_e64 v2, 0, 1, s5
	v_mov_b32_e32 v11, s7
	s_and_not1_b32 vcc_lo, exec_lo, s5
	s_cbranch_vccz .LBB89_12
.LBB89_2:
	s_delay_alu instid0(VALU_DEP_2)
	v_cmp_ne_u32_e32 vcc_lo, 1, v2
	v_mov_b32_e32 v1, s2
	s_cbranch_vccz .LBB89_13
.LBB89_3:
	v_cmp_ne_u32_e32 vcc_lo, 1, v2
	v_mov_b32_e32 v2, s3
	s_cbranch_vccnz .LBB89_5
.LBB89_4:
	v_dual_mov_b32 v2, s2 :: v_dual_mov_b32 v3, s3
	flat_load_b32 v2, v[2:3] offset:4
.LBB89_5:
	s_waitcnt vmcnt(0) lgkmcnt(0)
	v_cmp_eq_f32_e32 vcc_lo, 0, v10
	v_cmp_eq_f32_e64 s2, 0, v11
	s_delay_alu instid0(VALU_DEP_1)
	s_and_b32 s5, vcc_lo, s2
	s_mov_b32 s2, -1
	s_and_saveexec_b32 s3, s5
; %bb.6:
	v_and_b32_e32 v2, 0x7fffffff, v2
	v_cmp_neq_f32_e32 vcc_lo, 1.0, v1
	s_delay_alu instid0(VALU_DEP_2) | instskip(NEXT) | instid1(VALU_DEP_1)
	v_cmp_ne_u32_e64 s2, 0, v2
	s_or_b32 s2, vcc_lo, s2
	s_delay_alu instid0(SALU_CYCLE_1)
	s_or_not1_b32 s2, s2, exec_lo
; %bb.7:
	s_or_b32 exec_lo, exec_lo, s3
	s_and_saveexec_b32 s3, s2
	s_cbranch_execz .LBB89_200
; %bb.8:
	s_load_b64 s[2:3], s[0:1], 0x18
	s_mov_b32 s6, 0
	s_ashr_i32 s5, s4, 31
	s_mov_b32 s7, s6
	v_dual_mov_b32 v1, s6 :: v_dual_lshlrev_b32 v18, 3, v0
	v_mov_b32_e32 v2, s7
	s_lshl_b64 s[4:5], s[4:5], 3
	ds_store_2addr_stride64_b64 v18, v[1:2], v[1:2] offset1:4
	ds_store_2addr_stride64_b64 v18, v[1:2], v[1:2] offset0:8 offset1:12
	s_waitcnt lgkmcnt(0)
	s_barrier
	buffer_gl0_inv
	s_add_u32 s2, s2, s4
	s_addc_u32 s3, s3, s5
	s_load_b128 s[16:19], s[2:3], 0x0
	s_clause 0x1
	s_load_b256 s[8:15], s[0:1], 0x28
	s_load_b64 s[20:21], s[0:1], 0x50
	s_waitcnt lgkmcnt(0)
	s_sub_u32 s22, s18, s16
	s_subb_u32 s23, s19, s17
	s_delay_alu instid0(SALU_CYCLE_1) | instskip(NEXT) | instid1(VALU_DEP_1)
	v_cmp_gt_i64_e64 s2, s[22:23], 2
	s_and_b32 vcc_lo, exec_lo, s2
	s_mov_b32 s2, -1
	s_cbranch_vccnz .LBB89_57
; %bb.9:
	v_cmp_gt_i64_e64 s2, s[18:19], s[16:17]
	v_sub_co_u32 v9, s3, v0, s24
	s_delay_alu instid0(VALU_DEP_1) | instskip(NEXT) | instid1(VALU_DEP_3)
	v_sub_co_ci_u32_e64 v12, null, 0, 0, s3
	s_and_b32 vcc_lo, exec_lo, s2
	s_cbranch_vccnz .LBB89_14
; %bb.10:
	s_lshl_b64 s[2:3], s[16:17], 3
	s_delay_alu instid0(SALU_CYCLE_1)
	s_add_u32 s2, s8, s2
	s_addc_u32 s3, s9, s3
	s_load_b64 s[26:27], s[2:3], 0x0
	s_cbranch_execz .LBB89_15
	s_branch .LBB89_44
.LBB89_11:
	v_dual_mov_b32 v1, s6 :: v_dual_mov_b32 v2, s7
	flat_load_b32 v10, v[1:2]
	v_cndmask_b32_e64 v2, 0, 1, s5
	v_mov_b32_e32 v11, s7
	s_and_not1_b32 vcc_lo, exec_lo, s5
	s_cbranch_vccnz .LBB89_2
.LBB89_12:
	v_dual_mov_b32 v3, s6 :: v_dual_mov_b32 v4, s7
	flat_load_b32 v11, v[3:4] offset:4
	v_cmp_ne_u32_e32 vcc_lo, 1, v2
	v_mov_b32_e32 v1, s2
	s_cbranch_vccnz .LBB89_3
.LBB89_13:
	v_dual_mov_b32 v4, s3 :: v_dual_mov_b32 v3, s2
	flat_load_b32 v1, v[3:4]
	v_cmp_ne_u32_e32 vcc_lo, 1, v2
	v_mov_b32_e32 v2, s3
	s_cbranch_vccz .LBB89_4
	s_branch .LBB89_5
.LBB89_14:
                                        ; implicit-def: $sgpr26_sgpr27
.LBB89_15:
	s_lshl_b64 s[2:3], s[16:17], 3
	v_cmp_gt_u32_e64 s4, 16, v0
	s_add_u32 s2, s8, s2
	s_addc_u32 s3, s9, s3
	v_cmp_gt_u32_e64 s5, 4, v0
	s_waitcnt lgkmcnt(0)
	s_load_b64 s[26:27], s[2:3], 0x0
	v_cmp_gt_u32_e64 s2, 0x100, v0
	v_cmp_gt_u32_e64 s3, 64, v0
	v_cmp_eq_u32_e64 s6, 0, v0
	v_mov_b32_e32 v13, 0
	s_add_u32 s25, s8, 8
	s_addc_u32 s33, s9, 0
	s_mov_b64 s[28:29], s[16:17]
	s_waitcnt lgkmcnt(0)
	s_mov_b64 s[30:31], s[26:27]
	s_branch .LBB89_17
.LBB89_16:                              ;   in Loop: Header=BB89_17 Depth=1
	s_or_b32 exec_lo, exec_lo, s7
	s_add_u32 s28, s28, 1
	s_addc_u32 s29, s29, 0
	s_delay_alu instid0(SALU_CYCLE_1) | instskip(NEXT) | instid1(VALU_DEP_1)
	v_cmp_ge_i64_e64 s7, s[28:29], s[18:19]
	s_and_b32 vcc_lo, exec_lo, s7
	s_cbranch_vccnz .LBB89_44
.LBB89_17:                              ; =>This Loop Header: Depth=1
                                        ;     Child Loop BB89_19 Depth 2
                                        ;     Child Loop BB89_33 Depth 2
	;; [unrolled: 1-line block ×5, first 2 shown]
	s_lshl_b64 s[34:35], s[28:29], 3
	s_mov_b64 s[38:39], s[30:31]
	s_add_u32 s36, s25, s34
	s_addc_u32 s37, s33, s35
	v_add_co_u32 v1, vcc_lo, s38, v9
	s_load_b64 s[30:31], s[36:37], 0x0
	v_add_co_ci_u32_e32 v2, vcc_lo, s39, v12, vcc_lo
	v_dual_mov_b32 v4, 0 :: v_dual_mov_b32 v3, 0
	s_mov_b32 s38, exec_lo
	s_waitcnt lgkmcnt(0)
	s_sub_u32 s36, s30, s24
	s_subb_u32 s37, s31, 0
	s_delay_alu instid0(SALU_CYCLE_1)
	v_cmpx_gt_i64_e64 s[36:37], v[1:2]
	s_cbranch_execz .LBB89_21
; %bb.18:                               ;   in Loop: Header=BB89_17 Depth=1
	v_lshlrev_b64 v[5:6], 3, v[1:2]
	v_lshlrev_b64 v[7:8], 2, v[1:2]
	v_mov_b32_e32 v4, 0
	s_mov_b32 s39, 0
	s_delay_alu instid0(VALU_DEP_3) | instskip(NEXT) | instid1(VALU_DEP_4)
	v_add_co_u32 v5, vcc_lo, s10, v5
	v_add_co_ci_u32_e32 v6, vcc_lo, s11, v6, vcc_lo
	s_delay_alu instid0(VALU_DEP_4)
	v_add_co_u32 v7, vcc_lo, s12, v7
	v_add_co_ci_u32_e32 v8, vcc_lo, s13, v8, vcc_lo
	v_mov_b32_e32 v3, v4
	s_set_inst_prefetch_distance 0x1
	.p2align	6
.LBB89_19:                              ;   Parent Loop BB89_17 Depth=1
                                        ; =>  This Inner Loop Header: Depth=2
	global_load_b64 v[14:15], v[5:6], off
	s_waitcnt vmcnt(0)
	v_sub_co_u32 v14, vcc_lo, v14, s24
	v_subrev_co_ci_u32_e32 v15, vcc_lo, 0, v15, vcc_lo
	s_delay_alu instid0(VALU_DEP_1) | instskip(NEXT) | instid1(VALU_DEP_1)
	v_lshlrev_b64 v[14:15], 3, v[14:15]
	v_add_co_u32 v14, vcc_lo, s14, v14
	s_delay_alu instid0(VALU_DEP_2)
	v_add_co_ci_u32_e32 v15, vcc_lo, s15, v15, vcc_lo
	v_add_co_u32 v1, vcc_lo, 0x100, v1
	global_load_b32 v16, v[7:8], off
	global_load_b64 v[14:15], v[14:15], off
	v_add_co_ci_u32_e32 v2, vcc_lo, 0, v2, vcc_lo
	v_add_co_u32 v5, vcc_lo, 0x800, v5
	v_add_co_ci_u32_e32 v6, vcc_lo, 0, v6, vcc_lo
	s_delay_alu instid0(VALU_DEP_3) | instskip(SKIP_2) | instid1(VALU_DEP_3)
	v_cmp_le_i64_e64 s7, s[36:37], v[1:2]
	v_add_co_u32 v7, vcc_lo, 0x400, v7
	v_add_co_ci_u32_e32 v8, vcc_lo, 0, v8, vcc_lo
	s_or_b32 s39, s7, s39
	s_waitcnt vmcnt(0)
	v_fmac_f32_e32 v3, v16, v14
	s_delay_alu instid0(VALU_DEP_1) | instskip(NEXT) | instid1(VALU_DEP_1)
	v_dual_fmac_f32 v4, 0, v14 :: v_dual_fmac_f32 v3, 0x80000000, v15
	v_fmac_f32_e32 v4, v16, v15
	s_and_not1_b32 exec_lo, exec_lo, s39
	s_cbranch_execnz .LBB89_19
; %bb.20:                               ;   in Loop: Header=BB89_17 Depth=1
	s_set_inst_prefetch_distance 0x2
	s_or_b32 exec_lo, exec_lo, s39
.LBB89_21:                              ;   in Loop: Header=BB89_17 Depth=1
	s_delay_alu instid0(SALU_CYCLE_1)
	s_or_b32 exec_lo, exec_lo, s38
	ds_store_b64 v18, v[3:4]
	s_waitcnt lgkmcnt(0)
	s_barrier
	buffer_gl0_inv
	s_and_saveexec_b32 s7, s2
	s_cbranch_execz .LBB89_23
; %bb.22:                               ;   in Loop: Header=BB89_17 Depth=1
	ds_load_2addr_stride64_b64 v[1:4], v18 offset1:4
	ds_load_2addr_stride64_b64 v[5:8], v18 offset0:8 offset1:12
	s_waitcnt lgkmcnt(0)
	v_dual_add_f32 v3, v5, v3 :: v_dual_add_f32 v4, v6, v4
	s_delay_alu instid0(VALU_DEP_1) | instskip(NEXT) | instid1(VALU_DEP_1)
	v_dual_add_f32 v3, v3, v7 :: v_dual_add_f32 v4, v4, v8
	v_dual_add_f32 v1, v3, v1 :: v_dual_add_f32 v2, v4, v2
	ds_store_b64 v18, v[1:2]
.LBB89_23:                              ;   in Loop: Header=BB89_17 Depth=1
	s_or_b32 exec_lo, exec_lo, s7
	s_waitcnt lgkmcnt(0)
	s_barrier
	buffer_gl0_inv
	s_and_saveexec_b32 s7, s3
	s_cbranch_execz .LBB89_25
; %bb.24:                               ;   in Loop: Header=BB89_17 Depth=1
	ds_load_2addr_stride64_b64 v[1:4], v18 offset1:1
	ds_load_2addr_stride64_b64 v[5:8], v18 offset0:2 offset1:3
	s_waitcnt lgkmcnt(0)
	v_dual_add_f32 v3, v5, v3 :: v_dual_add_f32 v4, v6, v4
	s_delay_alu instid0(VALU_DEP_1) | instskip(NEXT) | instid1(VALU_DEP_1)
	v_dual_add_f32 v3, v3, v7 :: v_dual_add_f32 v4, v4, v8
	v_dual_add_f32 v1, v3, v1 :: v_dual_add_f32 v2, v4, v2
	ds_store_b64 v18, v[1:2]
.LBB89_25:                              ;   in Loop: Header=BB89_17 Depth=1
	s_or_b32 exec_lo, exec_lo, s7
	s_waitcnt lgkmcnt(0)
	s_barrier
	buffer_gl0_inv
	s_and_saveexec_b32 s7, s4
	s_cbranch_execz .LBB89_27
; %bb.26:                               ;   in Loop: Header=BB89_17 Depth=1
	ds_load_2addr_b64 v[1:4], v18 offset1:16
	ds_load_2addr_b64 v[5:8], v18 offset0:32 offset1:48
	s_waitcnt lgkmcnt(0)
	v_dual_add_f32 v3, v5, v3 :: v_dual_add_f32 v4, v6, v4
	s_delay_alu instid0(VALU_DEP_1) | instskip(NEXT) | instid1(VALU_DEP_1)
	v_dual_add_f32 v3, v3, v7 :: v_dual_add_f32 v4, v4, v8
	v_dual_add_f32 v1, v3, v1 :: v_dual_add_f32 v2, v4, v2
	ds_store_b64 v18, v[1:2]
.LBB89_27:                              ;   in Loop: Header=BB89_17 Depth=1
	s_or_b32 exec_lo, exec_lo, s7
	s_waitcnt lgkmcnt(0)
	s_barrier
	buffer_gl0_inv
	s_and_saveexec_b32 s7, s5
	s_cbranch_execz .LBB89_29
; %bb.28:                               ;   in Loop: Header=BB89_17 Depth=1
	ds_load_2addr_b64 v[1:4], v18 offset1:4
	ds_load_2addr_b64 v[5:8], v18 offset0:8 offset1:12
	s_waitcnt lgkmcnt(0)
	v_dual_add_f32 v3, v5, v3 :: v_dual_add_f32 v4, v6, v4
	s_delay_alu instid0(VALU_DEP_1) | instskip(NEXT) | instid1(VALU_DEP_1)
	v_dual_add_f32 v3, v3, v7 :: v_dual_add_f32 v4, v4, v8
	v_dual_add_f32 v1, v3, v1 :: v_dual_add_f32 v2, v4, v2
	ds_store_b64 v18, v[1:2]
.LBB89_29:                              ;   in Loop: Header=BB89_17 Depth=1
	s_or_b32 exec_lo, exec_lo, s7
	s_waitcnt lgkmcnt(0)
	s_barrier
	buffer_gl0_inv
	s_and_saveexec_b32 s7, s6
	s_cbranch_execz .LBB89_31
; %bb.30:                               ;   in Loop: Header=BB89_17 Depth=1
	ds_load_b128 v[1:4], v13 offset:16
	ds_load_b64 v[5:6], v13 offset:8
	ds_load_b64 v[7:8], v18
	s_waitcnt lgkmcnt(1)
	v_dual_add_f32 v1, v1, v5 :: v_dual_add_f32 v2, v2, v6
	s_delay_alu instid0(VALU_DEP_1) | instskip(SKIP_1) | instid1(VALU_DEP_1)
	v_dual_add_f32 v1, v1, v3 :: v_dual_add_f32 v2, v2, v4
	s_waitcnt lgkmcnt(0)
	v_dual_add_f32 v1, v1, v7 :: v_dual_add_f32 v2, v2, v8
	ds_store_b64 v18, v[1:2]
.LBB89_31:                              ;   in Loop: Header=BB89_17 Depth=1
	s_or_b32 exec_lo, exec_lo, s7
	s_waitcnt lgkmcnt(0)
	s_barrier
	buffer_gl0_inv
	s_and_saveexec_b32 s7, s6
	s_cbranch_execz .LBB89_16
; %bb.32:                               ;   in Loop: Header=BB89_17 Depth=1
	ds_load_b64 v[1:2], v13
	v_bfrev_b32_e32 v5, 1
	s_mov_b32 s36, exec_lo
	s_waitcnt lgkmcnt(0)
	v_mul_f32_e64 v3, v2, -v11
	s_delay_alu instid0(VALU_DEP_1)
	v_fmac_f32_e32 v3, v10, v1
.LBB89_33:                              ;   Parent Loop BB89_17 Depth=1
                                        ; =>  This Inner Loop Header: Depth=2
	s_ctz_i32_b32 s37, s36
	s_delay_alu instid0(VALU_DEP_1) | instid1(SALU_CYCLE_1)
	v_readlane_b32 s38, v3, s37
	s_lshl_b32 s37, 1, s37
	s_delay_alu instid0(SALU_CYCLE_1) | instskip(NEXT) | instid1(SALU_CYCLE_1)
	s_and_not1_b32 s36, s36, s37
	s_cmp_lg_u32 s36, 0
	s_delay_alu instid0(VALU_DEP_1)
	v_add_f32_e32 v5, s38, v5
	s_cbranch_scc1 .LBB89_33
; %bb.34:                               ;   in Loop: Header=BB89_17 Depth=1
	v_mbcnt_lo_u32_b32 v3, exec_lo, 0
	s_add_u32 s34, s20, s34
	s_addc_u32 s35, s21, s35
	s_mov_b32 s36, exec_lo
	s_delay_alu instid0(VALU_DEP_1)
	v_cmpx_eq_u32_e32 0, v3
	s_xor_b32 s36, exec_lo, s36
	s_cbranch_execz .LBB89_38
; %bb.35:                               ;   in Loop: Header=BB89_17 Depth=1
	global_load_b32 v4, v13, s[34:35]
	s_mov_b32 s37, 0
.LBB89_36:                              ;   Parent Loop BB89_17 Depth=1
                                        ; =>  This Inner Loop Header: Depth=2
	s_waitcnt vmcnt(0)
	v_add_f32_e32 v3, v4, v5
	global_atomic_cmpswap_b32 v3, v13, v[3:4], s[34:35] glc
	s_waitcnt vmcnt(0)
	v_cmp_eq_u32_e32 vcc_lo, v3, v4
	v_mov_b32_e32 v4, v3
	s_or_b32 s37, vcc_lo, s37
	s_delay_alu instid0(SALU_CYCLE_1)
	s_and_not1_b32 exec_lo, exec_lo, s37
	s_cbranch_execnz .LBB89_36
; %bb.37:                               ;   in Loop: Header=BB89_17 Depth=1
	s_or_b32 exec_lo, exec_lo, s37
.LBB89_38:                              ;   in Loop: Header=BB89_17 Depth=1
	s_delay_alu instid0(SALU_CYCLE_1) | instskip(SKIP_3) | instid1(VALU_DEP_2)
	s_or_b32 exec_lo, exec_lo, s36
	v_mul_f32_e32 v2, v2, v10
	v_bfrev_b32_e32 v3, 1
	s_mov_b32 s36, exec_lo
	v_fmac_f32_e32 v2, v11, v1
.LBB89_39:                              ;   Parent Loop BB89_17 Depth=1
                                        ; =>  This Inner Loop Header: Depth=2
	s_ctz_i32_b32 s37, s36
	s_delay_alu instid0(VALU_DEP_1) | instid1(SALU_CYCLE_1)
	v_readlane_b32 s38, v2, s37
	s_lshl_b32 s37, 1, s37
	s_delay_alu instid0(SALU_CYCLE_1) | instskip(NEXT) | instid1(SALU_CYCLE_1)
	s_and_not1_b32 s36, s36, s37
	s_cmp_lg_u32 s36, 0
	s_delay_alu instid0(VALU_DEP_1)
	v_add_f32_e32 v3, s38, v3
	s_cbranch_scc1 .LBB89_39
; %bb.40:                               ;   in Loop: Header=BB89_17 Depth=1
	v_mbcnt_lo_u32_b32 v1, exec_lo, 0
	s_mov_b32 s36, exec_lo
	s_delay_alu instid0(VALU_DEP_1)
	v_cmpx_eq_u32_e32 0, v1
	s_xor_b32 s36, exec_lo, s36
	s_cbranch_execz .LBB89_16
; %bb.41:                               ;   in Loop: Header=BB89_17 Depth=1
	global_load_b32 v2, v13, s[34:35] offset:4
	s_mov_b32 s36, 0
.LBB89_42:                              ;   Parent Loop BB89_17 Depth=1
                                        ; =>  This Inner Loop Header: Depth=2
	s_waitcnt vmcnt(0)
	v_add_f32_e32 v1, v2, v3
	global_atomic_cmpswap_b32 v1, v13, v[1:2], s[34:35] offset:4 glc
	s_waitcnt vmcnt(0)
	v_cmp_eq_u32_e32 vcc_lo, v1, v2
	v_mov_b32_e32 v2, v1
	s_or_b32 s36, vcc_lo, s36
	s_delay_alu instid0(SALU_CYCLE_1)
	s_and_not1_b32 exec_lo, exec_lo, s36
	s_cbranch_execnz .LBB89_42
; %bb.43:                               ;   in Loop: Header=BB89_17 Depth=1
	s_or_b32 exec_lo, exec_lo, s36
	s_branch .LBB89_16
.LBB89_44:
	s_lshl_b64 s[2:3], s[18:19], 3
	s_waitcnt lgkmcnt(0)
	v_add_co_u32 v1, vcc_lo, s26, v9
	s_add_u32 s2, s8, s2
	s_addc_u32 s3, s9, s3
	v_add_co_ci_u32_e32 v2, vcc_lo, s27, v12, vcc_lo
	s_load_b64 s[2:3], s[2:3], 0x0
	s_waitcnt lgkmcnt(0)
	s_sub_u32 s4, s2, s24
	s_subb_u32 s5, s3, 0
	s_mov_b32 s3, exec_lo
	v_cmpx_gt_i64_e64 s[4:5], v[1:2]
	s_cbranch_execz .LBB89_56
; %bb.45:
	s_add_u32 s6, s18, -1
	s_addc_u32 s7, s19, -1
	s_add_u32 s26, s18, -2
	v_cmp_gt_i64_e64 s2, s[6:7], s[16:17]
	s_addc_u32 s27, s19, -1
	v_dual_mul_f32 v9, 0x80000000, v11 :: v_dual_mul_f32 v12, 0, v10
	s_cmp_lg_u64 s[26:27], s[16:17]
	s_mov_b32 s26, 0
	s_cselect_b32 s25, -1, 0
	s_delay_alu instid0(SALU_CYCLE_1)
	s_and_b32 s25, s2, s25
	s_branch .LBB89_47
.LBB89_46:                              ;   in Loop: Header=BB89_47 Depth=1
	s_or_b32 exec_lo, exec_lo, s2
	v_add_co_u32 v1, vcc_lo, 0x100, v1
	v_add_co_ci_u32_e32 v2, vcc_lo, 0, v2, vcc_lo
	s_delay_alu instid0(VALU_DEP_1) | instskip(SKIP_1) | instid1(SALU_CYCLE_1)
	v_cmp_le_i64_e32 vcc_lo, s[4:5], v[1:2]
	s_or_b32 s26, vcc_lo, s26
	s_and_not1_b32 exec_lo, exec_lo, s26
	s_cbranch_execz .LBB89_56
.LBB89_47:                              ; =>This Loop Header: Depth=1
                                        ;     Child Loop BB89_49 Depth 2
                                        ;     Child Loop BB89_53 Depth 2
	;; [unrolled: 1-line block ×3, first 2 shown]
	v_dual_mov_b32 v3, s16 :: v_dual_mov_b32 v4, s17
	v_dual_mov_b32 v5, s6 :: v_dual_mov_b32 v6, s7
	s_and_not1_b32 vcc_lo, exec_lo, s25
	s_cbranch_vccnz .LBB89_51
; %bb.48:                               ;   in Loop: Header=BB89_47 Depth=1
	v_dual_mov_b32 v3, s16 :: v_dual_mov_b32 v4, s17
	v_dual_mov_b32 v5, s6 :: v_dual_mov_b32 v6, s7
	s_mov_b32 s27, 0
	s_set_inst_prefetch_distance 0x1
	.p2align	6
.LBB89_49:                              ;   Parent Loop BB89_47 Depth=1
                                        ; =>  This Inner Loop Header: Depth=2
	s_delay_alu instid0(VALU_DEP_1) | instskip(NEXT) | instid1(VALU_DEP_2)
	v_add_co_u32 v7, vcc_lo, v5, v3
	v_add_co_ci_u32_e32 v8, vcc_lo, v6, v4, vcc_lo
	s_delay_alu instid0(VALU_DEP_1) | instskip(NEXT) | instid1(VALU_DEP_1)
	v_lshrrev_b32_e32 v13, 31, v8
	v_add_co_u32 v7, vcc_lo, v7, v13
	v_add_co_ci_u32_e32 v8, vcc_lo, 0, v8, vcc_lo
	s_delay_alu instid0(VALU_DEP_1) | instskip(NEXT) | instid1(VALU_DEP_1)
	v_ashrrev_i64 v[7:8], 1, v[7:8]
	v_lshlrev_b64 v[13:14], 3, v[7:8]
	s_delay_alu instid0(VALU_DEP_1) | instskip(NEXT) | instid1(VALU_DEP_2)
	v_add_co_u32 v13, vcc_lo, s8, v13
	v_add_co_ci_u32_e32 v14, vcc_lo, s9, v14, vcc_lo
	global_load_b64 v[13:14], v[13:14], off
	s_waitcnt vmcnt(0)
	v_sub_co_u32 v13, vcc_lo, v13, s24
	v_subrev_co_ci_u32_e32 v14, vcc_lo, 0, v14, vcc_lo
	s_delay_alu instid0(VALU_DEP_1) | instskip(SKIP_2) | instid1(VALU_DEP_2)
	v_cmp_gt_i64_e32 vcc_lo, v[13:14], v[1:2]
	v_dual_cndmask_b32 v6, v6, v8 :: v_dual_cndmask_b32 v5, v5, v7
	v_dual_cndmask_b32 v4, v8, v4 :: v_dual_cndmask_b32 v3, v7, v3
	v_add_co_u32 v7, vcc_lo, v5, -1
	s_delay_alu instid0(VALU_DEP_3) | instskip(NEXT) | instid1(VALU_DEP_3)
	v_add_co_ci_u32_e32 v8, vcc_lo, -1, v6, vcc_lo
	v_cmp_ge_i64_e32 vcc_lo, v[3:4], v[5:6]
	s_delay_alu instid0(VALU_DEP_2) | instskip(NEXT) | instid1(VALU_DEP_1)
	v_cmp_eq_u64_e64 s2, v[3:4], v[7:8]
	s_or_b32 s2, vcc_lo, s2
	s_delay_alu instid0(SALU_CYCLE_1) | instskip(NEXT) | instid1(SALU_CYCLE_1)
	s_and_b32 s2, exec_lo, s2
	s_or_b32 s27, s2, s27
	s_delay_alu instid0(SALU_CYCLE_1)
	s_and_not1_b32 exec_lo, exec_lo, s27
	s_cbranch_execnz .LBB89_49
; %bb.50:                               ;   in Loop: Header=BB89_47 Depth=1
	s_set_inst_prefetch_distance 0x2
	s_or_b32 exec_lo, exec_lo, s27
.LBB89_51:                              ;   in Loop: Header=BB89_47 Depth=1
	s_delay_alu instid0(VALU_DEP_1) | instskip(SKIP_2) | instid1(VALU_DEP_2)
	v_lshlrev_b64 v[7:8], 3, v[5:6]
	v_lshlrev_b64 v[13:14], 3, v[1:2]
	s_mov_b32 s2, exec_lo
	v_add_co_u32 v7, vcc_lo, s8, v7
	s_delay_alu instid0(VALU_DEP_3) | instskip(NEXT) | instid1(VALU_DEP_3)
	v_add_co_ci_u32_e32 v8, vcc_lo, s9, v8, vcc_lo
	v_add_co_u32 v13, vcc_lo, s10, v13
	s_delay_alu instid0(VALU_DEP_4)
	v_add_co_ci_u32_e32 v14, vcc_lo, s11, v14, vcc_lo
	global_load_b64 v[7:8], v[7:8], off
	global_load_b64 v[13:14], v[13:14], off
	s_waitcnt vmcnt(1)
	v_sub_co_u32 v7, vcc_lo, v7, s24
	v_subrev_co_ci_u32_e32 v8, vcc_lo, 0, v8, vcc_lo
	s_delay_alu instid0(VALU_DEP_1) | instskip(SKIP_4) | instid1(VALU_DEP_1)
	v_cmp_gt_i64_e32 vcc_lo, v[7:8], v[1:2]
	v_dual_cndmask_b32 v6, v6, v4 :: v_dual_cndmask_b32 v5, v5, v3
	s_waitcnt vmcnt(0)
	v_sub_co_u32 v3, vcc_lo, v13, s24
	v_subrev_co_ci_u32_e32 v4, vcc_lo, 0, v14, vcc_lo
	v_cmpx_ne_u64_e64 v[3:4], v[5:6]
	s_cbranch_execz .LBB89_46
; %bb.52:                               ;   in Loop: Header=BB89_47 Depth=1
	v_lshlrev_b64 v[7:8], 2, v[1:2]
	v_lshlrev_b64 v[5:6], 3, v[5:6]
	;; [unrolled: 1-line block ×3, first 2 shown]
	s_mov_b32 s27, 0
	s_delay_alu instid0(VALU_DEP_3) | instskip(NEXT) | instid1(VALU_DEP_4)
	v_add_co_u32 v7, vcc_lo, s12, v7
	v_add_co_ci_u32_e32 v8, vcc_lo, s13, v8, vcc_lo
	s_delay_alu instid0(VALU_DEP_4)
	v_add_co_u32 v5, vcc_lo, s14, v5
	v_add_co_ci_u32_e32 v6, vcc_lo, s15, v6, vcc_lo
	global_load_b32 v7, v[7:8], off
	v_add_co_u32 v3, vcc_lo, s20, v3
	global_load_b64 v[5:6], v[5:6], off
	v_add_co_ci_u32_e32 v4, vcc_lo, s21, v4, vcc_lo
	global_load_b32 v8, v[3:4], off
	s_waitcnt vmcnt(2)
	v_fma_f32 v13, v11, v7, v12
	v_fma_f32 v14, v10, v7, v9
	s_waitcnt vmcnt(1)
	s_delay_alu instid0(VALU_DEP_2) | instskip(NEXT) | instid1(VALU_DEP_1)
	v_mul_f32_e64 v15, v6, -v13
	v_fmac_f32_e32 v15, v14, v5
.LBB89_53:                              ;   Parent Loop BB89_47 Depth=1
                                        ; =>  This Inner Loop Header: Depth=2
	s_waitcnt vmcnt(0)
	s_delay_alu instid0(VALU_DEP_1)
	v_add_f32_e32 v7, v8, v15
	global_atomic_cmpswap_b32 v7, v[3:4], v[7:8], off glc
	s_waitcnt vmcnt(0)
	v_cmp_eq_u32_e32 vcc_lo, v7, v8
	v_mov_b32_e32 v8, v7
	s_or_b32 s27, vcc_lo, s27
	s_delay_alu instid0(SALU_CYCLE_1)
	s_and_not1_b32 exec_lo, exec_lo, s27
	s_cbranch_execnz .LBB89_53
; %bb.54:                               ;   in Loop: Header=BB89_47 Depth=1
	s_or_b32 exec_lo, exec_lo, s27
	global_load_b32 v7, v[3:4], off offset:4
	v_mul_f32_e32 v8, v14, v6
	s_mov_b32 s27, 0
	s_delay_alu instid0(VALU_DEP_1)
	v_fmac_f32_e32 v8, v13, v5
.LBB89_55:                              ;   Parent Loop BB89_47 Depth=1
                                        ; =>  This Inner Loop Header: Depth=2
	s_waitcnt vmcnt(0)
	s_delay_alu instid0(VALU_DEP_1)
	v_add_f32_e32 v6, v7, v8
	global_atomic_cmpswap_b32 v5, v[3:4], v[6:7], off offset:4 glc
	s_waitcnt vmcnt(0)
	v_cmp_eq_u32_e32 vcc_lo, v5, v7
	v_mov_b32_e32 v7, v5
	s_or_b32 s27, vcc_lo, s27
	s_delay_alu instid0(SALU_CYCLE_1)
	s_and_not1_b32 exec_lo, exec_lo, s27
	s_cbranch_execnz .LBB89_55
	s_branch .LBB89_46
.LBB89_56:
	s_or_b32 exec_lo, exec_lo, s3
	s_mov_b32 s2, 0
.LBB89_57:
	s_delay_alu instid0(SALU_CYCLE_1)
	s_and_b32 vcc_lo, exec_lo, s2
	s_cbranch_vccz .LBB89_200
; %bb.58:
	s_load_b32 s2, s[0:1], 0x6c
	s_mov_b32 s7, 0
	s_mov_b64 s[28:29], 0
	s_waitcnt lgkmcnt(0)
	s_and_b32 s6, s2, 0xffff
	s_delay_alu instid0(SALU_CYCLE_1) | instskip(NEXT) | instid1(VALU_DEP_1)
	v_cmp_lt_u64_e64 s2, s[6:7], s[22:23]
	s_and_b32 vcc_lo, exec_lo, s2
	s_cbranch_vccnz .LBB89_60
; %bb.59:
	v_cvt_f32_u32_e32 v1, s22
	s_sub_i32 s3, 0, s22
	s_delay_alu instid0(VALU_DEP_1) | instskip(SKIP_2) | instid1(VALU_DEP_1)
	v_rcp_iflag_f32_e32 v1, v1
	s_waitcnt_depctr 0xfff
	v_mul_f32_e32 v1, 0x4f7ffffe, v1
	v_cvt_u32_f32_e32 v1, v1
	s_delay_alu instid0(VALU_DEP_1) | instskip(NEXT) | instid1(VALU_DEP_1)
	v_readfirstlane_b32 s2, v1
	s_mul_i32 s3, s3, s2
	s_delay_alu instid0(SALU_CYCLE_1) | instskip(NEXT) | instid1(SALU_CYCLE_1)
	s_mul_hi_u32 s3, s2, s3
	s_add_i32 s2, s2, s3
	s_delay_alu instid0(SALU_CYCLE_1) | instskip(NEXT) | instid1(SALU_CYCLE_1)
	s_mul_hi_u32 s2, s6, s2
	s_mul_i32 s3, s2, s22
	s_add_i32 s4, s2, 1
	s_sub_i32 s3, s6, s3
	s_delay_alu instid0(SALU_CYCLE_1)
	s_sub_i32 s5, s3, s22
	s_cmp_ge_u32 s3, s22
	s_cselect_b32 s2, s4, s2
	s_cselect_b32 s3, s5, s3
	s_add_i32 s4, s2, 1
	s_cmp_ge_u32 s3, s22
	s_cselect_b32 s28, s4, s2
.LBB89_60:
	s_lshl_b64 s[2:3], s[16:17], 3
	v_sub_co_u32 v1, s7, v0, s24
	s_add_u32 s26, s8, s2
	s_addc_u32 s27, s9, s3
	s_load_b64 s[4:5], s[26:27], 0x0
	s_load_b128 s[0:3], s[0:1], 0x8
	v_sub_co_ci_u32_e64 v3, null, 0, 0, s7
	s_waitcnt lgkmcnt(0)
	v_add_co_u32 v2, vcc_lo, s4, v1
	s_delay_alu instid0(VALU_DEP_2) | instskip(SKIP_1) | instid1(VALU_DEP_3)
	v_add_co_ci_u32_e32 v3, vcc_lo, s5, v3, vcc_lo
	v_mov_b32_e32 v1, 0
	v_add_co_u32 v4, vcc_lo, 0x300, v2
	s_delay_alu instid0(VALU_DEP_3) | instskip(NEXT) | instid1(VALU_DEP_1)
	v_add_co_ci_u32_e32 v5, vcc_lo, 0, v3, vcc_lo
	v_cmp_le_i64_e32 vcc_lo, s[0:1], v[4:5]
	s_and_saveexec_b32 s0, vcc_lo
	s_delay_alu instid0(SALU_CYCLE_1)
	s_xor_b32 s7, exec_lo, s0
	s_cbranch_execnz .LBB89_63
; %bb.61:
	s_and_not1_saveexec_b32 s1, s7
	s_cbranch_execnz .LBB89_67
.LBB89_62:
	s_or_b32 exec_lo, exec_lo, s1
	s_delay_alu instid0(SALU_CYCLE_1)
	s_mov_b32 s1, exec_lo
	v_cmpx_gt_i64_e64 s[2:3], v[0:1]
	s_cbranch_execnz .LBB89_68
	s_branch .LBB89_70
.LBB89_63:
	s_lshl_b64 s[0:1], s[18:19], 3
	s_mov_b32 s25, exec_lo
	s_add_u32 s0, s8, s0
	s_addc_u32 s1, s9, s1
	s_load_b64 s[0:1], s[0:1], 0x0
	s_waitcnt lgkmcnt(0)
	s_sub_u32 s30, s0, s4
	s_subb_u32 s31, s1, s5
	s_delay_alu instid0(SALU_CYCLE_1)
	v_cmpx_gt_i64_e64 s[30:31], v[0:1]
	s_cbranch_execz .LBB89_66
; %bb.64:
	v_lshlrev_b64 v[6:7], 2, v[2:3]
	v_dual_mov_b32 v14, v18 :: v_dual_mov_b32 v9, v1
	v_dual_mul_f32 v12, 0x80000000, v11 :: v_dual_mul_f32 v13, 0, v10
	v_mov_b32_e32 v8, v0
	s_delay_alu instid0(VALU_DEP_4) | instskip(NEXT) | instid1(VALU_DEP_1)
	v_add_co_u32 v6, s0, s12, v6
	v_add_co_ci_u32_e64 v7, s0, s13, v7, s0
	s_mov_b32 s29, 0
	.p2align	6
.LBB89_65:                              ; =>This Inner Loop Header: Depth=1
	global_load_b32 v16, v[6:7], off
	v_add_co_u32 v8, s0, 0x100, v8
	s_delay_alu instid0(VALU_DEP_1) | instskip(SKIP_1) | instid1(VALU_DEP_1)
	v_add_co_ci_u32_e64 v9, s0, 0, v9, s0
	v_add_co_u32 v6, s0, 0x400, v6
	v_add_co_ci_u32_e64 v7, s0, 0, v7, s0
	s_delay_alu instid0(VALU_DEP_3) | instskip(NEXT) | instid1(VALU_DEP_1)
	v_cmp_le_i64_e64 s1, s[30:31], v[8:9]
	s_or_b32 s29, s1, s29
	s_waitcnt vmcnt(0)
	v_fma_f32 v15, v10, v16, v12
	v_fma_f32 v16, v11, v16, v13
	ds_store_b64 v14, v[15:16]
	v_add_nc_u32_e32 v14, 0x800, v14
	s_and_not1_b32 exec_lo, exec_lo, s29
	s_cbranch_execnz .LBB89_65
.LBB89_66:
	s_or_b32 exec_lo, exec_lo, s25
                                        ; implicit-def: $vgpr11
                                        ; implicit-def: $vgpr10
	s_and_not1_saveexec_b32 s1, s7
	s_cbranch_execz .LBB89_62
.LBB89_67:
	v_lshlrev_b64 v[6:7], 2, v[2:3]
	s_delay_alu instid0(VALU_DEP_1) | instskip(NEXT) | instid1(VALU_DEP_1)
	v_add_co_u32 v6, s0, s12, v6
	v_add_co_ci_u32_e64 v7, s0, s13, v7, s0
	s_clause 0x3
	global_load_b32 v9, v[6:7], off
	global_load_b32 v13, v[6:7], off offset:1024
	global_load_b32 v15, v[6:7], off offset:2048
	;; [unrolled: 1-line block ×3, first 2 shown]
	v_dual_mul_f32 v6, 0x80000000, v11 :: v_dual_mul_f32 v7, 0, v10
	s_waitcnt vmcnt(3)
	s_delay_alu instid0(VALU_DEP_1) | instskip(NEXT) | instid1(VALU_DEP_2)
	v_fma_f32 v8, v10, v9, v6
	v_fma_f32 v9, v11, v9, v7
	s_waitcnt vmcnt(2)
	v_fma_f32 v12, v10, v13, v6
	v_fma_f32 v13, v11, v13, v7
	s_waitcnt vmcnt(1)
	;; [unrolled: 3-line block ×3, first 2 shown]
	v_fmac_f32_e32 v6, v10, v16
	v_fmac_f32_e32 v7, v11, v16
	ds_store_2addr_stride64_b64 v18, v[8:9], v[12:13] offset1:4
	ds_store_2addr_stride64_b64 v18, v[14:15], v[6:7] offset0:8 offset1:12
	s_or_b32 exec_lo, exec_lo, s1
	s_delay_alu instid0(SALU_CYCLE_1)
	s_mov_b32 s1, exec_lo
	v_cmpx_gt_i64_e64 s[2:3], v[0:1]
	s_cbranch_execz .LBB89_70
.LBB89_68:
	v_mov_b32_e32 v7, v1
	v_lshl_add_u32 v8, v0, 3, 0x2000
	v_dual_mov_b32 v9, 0 :: v_dual_mov_b32 v6, v0
	s_mov_b32 s7, 0
.LBB89_69:                              ; =>This Inner Loop Header: Depth=1
	s_delay_alu instid0(VALU_DEP_1) | instskip(NEXT) | instid1(VALU_DEP_1)
	v_add_co_u32 v6, s0, 0x100, v6
	v_add_co_ci_u32_e64 v7, s0, 0, v7, s0
	ds_store_2addr_b32 v8, v9, v9 offset1:1
	v_add_nc_u32_e32 v8, 0x800, v8
	v_cmp_le_i64_e64 s0, s[2:3], v[6:7]
	s_delay_alu instid0(VALU_DEP_1) | instskip(NEXT) | instid1(SALU_CYCLE_1)
	s_or_b32 s7, s0, s7
	s_and_not1_b32 exec_lo, exec_lo, s7
	s_cbranch_execnz .LBB89_69
.LBB89_70:
	s_or_b32 exec_lo, exec_lo, s1
	v_cmp_ge_i64_e64 s0, s[18:19], s[2:3]
	s_sub_u32 s1, s18, s2
	s_subb_u32 s7, s19, s3
	s_waitcnt lgkmcnt(0)
	s_barrier
	buffer_gl0_inv
	s_and_b32 s0, s0, exec_lo
	s_cselect_b32 s13, s7, 0
	s_cselect_b32 s12, s1, 0
	s_and_saveexec_b32 s0, vcc_lo
	s_delay_alu instid0(SALU_CYCLE_1)
	s_xor_b32 s7, exec_lo, s0
	s_cbranch_execz .LBB89_91
; %bb.71:
	s_lshl_b64 s[0:1], s[18:19], 3
	s_mov_b32 s25, exec_lo
	s_add_u32 s0, s8, s0
	s_addc_u32 s1, s9, s1
	s_load_b64 s[0:1], s[0:1], 0x0
	s_waitcnt lgkmcnt(0)
	s_sub_u32 s30, s0, s4
	s_subb_u32 s31, s1, s5
	s_delay_alu instid0(SALU_CYCLE_1)
	v_cmpx_gt_i64_e64 s[30:31], v[0:1]
	s_cbranch_execz .LBB89_90
; %bb.72:
	s_add_u32 s34, s18, -1
	s_addc_u32 s35, s19, -1
	s_add_u32 s36, s18, -2
	v_cmp_gt_i64_e64 s29, s[34:35], s[16:17]
	s_addc_u32 s37, s19, -1
	s_mov_b64 s[38:39], 0
	s_cmp_lg_u64 s[36:37], s[16:17]
	s_cselect_b32 s33, -1, 0
	s_delay_alu instid0(VALU_DEP_1) | instid1(SALU_CYCLE_1)
	s_and_b32 s29, s29, s33
	s_sub_u32 s36, s0, s24
	s_subb_u32 s37, s1, 0
	s_mov_b32 s1, 0
	s_branch .LBB89_75
.LBB89_73:                              ;   in Loop: Header=BB89_75 Depth=1
	s_or_b32 exec_lo, exec_lo, s0
.LBB89_74:                              ;   in Loop: Header=BB89_75 Depth=1
	s_delay_alu instid0(SALU_CYCLE_1) | instskip(SKIP_4) | instid1(VALU_DEP_1)
	s_or_b32 exec_lo, exec_lo, s33
	v_lshlrev_b64 v[4:5], 3, v[4:5]
	s_add_u32 s38, s38, 0x100
	s_addc_u32 s39, s39, 0
	v_add_co_u32 v7, s0, s38, v0
	v_add_co_ci_u32_e64 v8, null, s39, 0, s0
	s_delay_alu instid0(VALU_DEP_3) | instskip(SKIP_1) | instid1(VALU_DEP_3)
	v_add_co_u32 v4, vcc_lo, s14, v4
	v_add_co_ci_u32_e32 v5, vcc_lo, s15, v5, vcc_lo
	v_cmp_le_i64_e32 vcc_lo, s[30:31], v[7:8]
	global_load_b64 v[4:5], v[4:5], off
	s_or_b32 s1, vcc_lo, s1
	s_waitcnt vmcnt(0) lgkmcnt(0)
	v_mul_f32_e32 v10, v5, v6
	v_lshlrev_b32_e32 v11, 3, v14
	ds_load_b32 v12, v11 offset:4
	s_waitcnt lgkmcnt(0)
	v_mul_f32_e64 v9, v5, -v12
	s_delay_alu instid0(VALU_DEP_1)
	v_fmac_f32_e32 v9, v6, v4
	v_fmac_f32_e32 v10, v12, v4
	ds_store_b64 v11, v[9:10]
	s_and_not1_b32 exec_lo, exec_lo, s1
	s_cbranch_execz .LBB89_90
.LBB89_75:                              ; =>This Loop Header: Depth=1
                                        ;     Child Loop BB89_77 Depth 2
                                        ;     Child Loop BB89_84 Depth 2
	;; [unrolled: 1-line block ×3, first 2 shown]
	v_add_co_u32 v6, vcc_lo, s38, v2
	v_add_co_ci_u32_e32 v7, vcc_lo, s39, v3, vcc_lo
	v_dual_mov_b32 v8, s16 :: v_dual_mov_b32 v9, s17
	v_dual_mov_b32 v10, s34 :: v_dual_mov_b32 v11, s35
	s_and_not1_b32 vcc_lo, exec_lo, s29
	s_cbranch_vccnz .LBB89_79
; %bb.76:                               ;   in Loop: Header=BB89_75 Depth=1
	v_dual_mov_b32 v8, s16 :: v_dual_mov_b32 v9, s17
	v_dual_mov_b32 v10, s34 :: v_dual_mov_b32 v11, s35
	s_mov_b32 s33, 0
	s_set_inst_prefetch_distance 0x1
	.p2align	6
.LBB89_77:                              ;   Parent Loop BB89_75 Depth=1
                                        ; =>  This Inner Loop Header: Depth=2
	s_delay_alu instid0(VALU_DEP_1) | instskip(NEXT) | instid1(VALU_DEP_2)
	v_add_co_u32 v4, vcc_lo, v10, v8
	v_add_co_ci_u32_e32 v5, vcc_lo, v11, v9, vcc_lo
	s_delay_alu instid0(VALU_DEP_1) | instskip(NEXT) | instid1(VALU_DEP_1)
	v_lshrrev_b32_e32 v12, 31, v5
	v_add_co_u32 v4, vcc_lo, v4, v12
	v_add_co_ci_u32_e32 v5, vcc_lo, 0, v5, vcc_lo
	s_delay_alu instid0(VALU_DEP_1) | instskip(NEXT) | instid1(VALU_DEP_1)
	v_ashrrev_i64 v[4:5], 1, v[4:5]
	v_lshlrev_b64 v[12:13], 3, v[4:5]
	s_delay_alu instid0(VALU_DEP_1) | instskip(NEXT) | instid1(VALU_DEP_2)
	v_add_co_u32 v12, vcc_lo, s8, v12
	v_add_co_ci_u32_e32 v13, vcc_lo, s9, v13, vcc_lo
	global_load_b64 v[12:13], v[12:13], off
	s_waitcnt vmcnt(0)
	v_sub_co_u32 v12, vcc_lo, v12, s24
	v_subrev_co_ci_u32_e32 v13, vcc_lo, 0, v13, vcc_lo
	s_delay_alu instid0(VALU_DEP_1) | instskip(SKIP_2) | instid1(VALU_DEP_2)
	v_cmp_gt_i64_e32 vcc_lo, v[12:13], v[6:7]
	v_dual_cndmask_b32 v11, v11, v5 :: v_dual_cndmask_b32 v10, v10, v4
	v_dual_cndmask_b32 v9, v5, v9 :: v_dual_cndmask_b32 v8, v4, v8
	v_add_co_u32 v4, vcc_lo, v10, -1
	s_delay_alu instid0(VALU_DEP_3) | instskip(NEXT) | instid1(VALU_DEP_3)
	v_add_co_ci_u32_e32 v5, vcc_lo, -1, v11, vcc_lo
	v_cmp_ge_i64_e32 vcc_lo, v[8:9], v[10:11]
	s_delay_alu instid0(VALU_DEP_2) | instskip(NEXT) | instid1(VALU_DEP_1)
	v_cmp_eq_u64_e64 s0, v[8:9], v[4:5]
	s_or_b32 s0, vcc_lo, s0
	s_delay_alu instid0(SALU_CYCLE_1) | instskip(NEXT) | instid1(SALU_CYCLE_1)
	s_and_b32 s0, exec_lo, s0
	s_or_b32 s33, s0, s33
	s_delay_alu instid0(SALU_CYCLE_1)
	s_and_not1_b32 exec_lo, exec_lo, s33
	s_cbranch_execnz .LBB89_77
; %bb.78:                               ;   in Loop: Header=BB89_75 Depth=1
	s_set_inst_prefetch_distance 0x2
	s_or_b32 exec_lo, exec_lo, s33
.LBB89_79:                              ;   in Loop: Header=BB89_75 Depth=1
	s_delay_alu instid0(VALU_DEP_1) | instskip(SKIP_2) | instid1(VALU_DEP_3)
	v_lshlrev_b64 v[4:5], 3, v[10:11]
	v_lshlrev_b64 v[12:13], 3, v[6:7]
	v_add_co_u32 v14, null, s38, v0
	v_add_co_u32 v4, vcc_lo, s8, v4
	s_delay_alu instid0(VALU_DEP_4) | instskip(NEXT) | instid1(VALU_DEP_4)
	v_add_co_ci_u32_e32 v5, vcc_lo, s9, v5, vcc_lo
	v_add_co_u32 v12, vcc_lo, s10, v12
	v_add_co_ci_u32_e32 v13, vcc_lo, s11, v13, vcc_lo
	global_load_b64 v[4:5], v[4:5], off
	global_load_b64 v[12:13], v[12:13], off
	s_waitcnt vmcnt(1)
	v_sub_co_u32 v4, vcc_lo, v4, s24
	v_subrev_co_ci_u32_e32 v5, vcc_lo, 0, v5, vcc_lo
	s_delay_alu instid0(VALU_DEP_1) | instskip(SKIP_2) | instid1(VALU_DEP_1)
	v_cmp_gt_i64_e32 vcc_lo, v[4:5], v[6:7]
	s_waitcnt vmcnt(0)
	v_sub_co_u32 v4, s0, v12, s24
	v_subrev_co_ci_u32_e64 v5, s0, 0, v13, s0
	v_cmp_le_i64_e64 s0, s[36:37], v[6:7]
	v_dual_cndmask_b32 v9, v11, v9 :: v_dual_cndmask_b32 v8, v10, v8
	v_lshlrev_b32_e32 v12, 3, v14
                                        ; implicit-def: $vgpr6
	s_delay_alu instid0(VALU_DEP_2) | instskip(NEXT) | instid1(VALU_DEP_4)
	v_cmp_eq_u64_e32 vcc_lo, v[4:5], v[8:9]
	s_or_b32 s0, vcc_lo, s0
	s_delay_alu instid0(SALU_CYCLE_1) | instskip(NEXT) | instid1(SALU_CYCLE_1)
	s_and_saveexec_b32 s33, s0
	s_xor_b32 s0, exec_lo, s33
	s_cbranch_execz .LBB89_81
; %bb.80:                               ;   in Loop: Header=BB89_75 Depth=1
	ds_load_b32 v6, v12
                                        ; implicit-def: $vgpr12
                                        ; implicit-def: $vgpr8_vgpr9
.LBB89_81:                              ;   in Loop: Header=BB89_75 Depth=1
	s_and_not1_saveexec_b32 s33, s0
	s_cbranch_execz .LBB89_74
; %bb.82:                               ;   in Loop: Header=BB89_75 Depth=1
	v_cmp_gt_i64_e32 vcc_lo, s[12:13], v[4:5]
	v_cmp_le_i64_e64 s0, s[18:19], v[4:5]
	v_lshlrev_b64 v[7:8], 3, v[8:9]
                                        ; implicit-def: $vgpr6
	s_delay_alu instid0(VALU_DEP_2) | instskip(NEXT) | instid1(SALU_CYCLE_1)
	s_or_b32 s0, vcc_lo, s0
	s_and_saveexec_b32 s40, s0
	s_delay_alu instid0(SALU_CYCLE_1)
	s_xor_b32 s0, exec_lo, s40
	s_cbranch_execz .LBB89_88
; %bb.83:                               ;   in Loop: Header=BB89_75 Depth=1
	s_waitcnt lgkmcnt(0)
	v_add_co_u32 v6, vcc_lo, s14, v7
	v_add_co_ci_u32_e32 v7, vcc_lo, s15, v8, vcc_lo
	v_lshlrev_b64 v[8:9], 3, v[4:5]
	s_mov_b32 s40, 0
	global_load_b64 v[10:11], v[6:7], off
	ds_load_b64 v[6:7], v12
	v_add_co_u32 v8, vcc_lo, s20, v8
	v_add_co_ci_u32_e32 v9, vcc_lo, s21, v9, vcc_lo
	global_load_b32 v13, v[8:9], off
	s_waitcnt vmcnt(1) lgkmcnt(0)
	v_mul_f32_e64 v15, v11, -v7
	s_delay_alu instid0(VALU_DEP_1)
	v_fmac_f32_e32 v15, v6, v10
.LBB89_84:                              ;   Parent Loop BB89_75 Depth=1
                                        ; =>  This Inner Loop Header: Depth=2
	s_waitcnt vmcnt(0)
	s_delay_alu instid0(VALU_DEP_1)
	v_add_f32_e32 v12, v13, v15
	global_atomic_cmpswap_b32 v12, v[8:9], v[12:13], off glc
	s_waitcnt vmcnt(0)
	v_cmp_eq_u32_e32 vcc_lo, v12, v13
	v_mov_b32_e32 v13, v12
	s_or_b32 s40, vcc_lo, s40
	s_delay_alu instid0(SALU_CYCLE_1)
	s_and_not1_b32 exec_lo, exec_lo, s40
	s_cbranch_execnz .LBB89_84
; %bb.85:                               ;   in Loop: Header=BB89_75 Depth=1
	s_or_b32 exec_lo, exec_lo, s40
	global_load_b32 v12, v[8:9], off offset:4
	v_mul_f32_e32 v13, v11, v6
	s_mov_b32 s40, 0
	s_delay_alu instid0(VALU_DEP_1)
	v_fmac_f32_e32 v13, v7, v10
.LBB89_86:                              ;   Parent Loop BB89_75 Depth=1
                                        ; =>  This Inner Loop Header: Depth=2
	s_waitcnt vmcnt(0)
	s_delay_alu instid0(VALU_DEP_1)
	v_add_f32_e32 v11, v12, v13
	global_atomic_cmpswap_b32 v7, v[8:9], v[11:12], off offset:4 glc
	s_waitcnt vmcnt(0)
	v_cmp_eq_u32_e32 vcc_lo, v7, v12
	v_mov_b32_e32 v12, v7
	s_or_b32 s40, vcc_lo, s40
	s_delay_alu instid0(SALU_CYCLE_1)
	s_and_not1_b32 exec_lo, exec_lo, s40
	s_cbranch_execnz .LBB89_86
; %bb.87:                               ;   in Loop: Header=BB89_75 Depth=1
	s_or_b32 exec_lo, exec_lo, s40
                                        ; implicit-def: $vgpr7_vgpr8
                                        ; implicit-def: $vgpr12
.LBB89_88:                              ;   in Loop: Header=BB89_75 Depth=1
	s_and_not1_saveexec_b32 s0, s0
	s_cbranch_execz .LBB89_73
; %bb.89:                               ;   in Loop: Header=BB89_75 Depth=1
	s_waitcnt lgkmcnt(0)
	v_add_co_u32 v6, vcc_lo, s14, v7
	v_add_co_ci_u32_e32 v7, vcc_lo, s15, v8, vcc_lo
	v_subrev_nc_u32_e32 v10, s12, v4
	global_load_b64 v[8:9], v[6:7], off
	ds_load_b64 v[6:7], v12
	v_lshl_add_u32 v10, v10, 3, 0x2000
	s_waitcnt vmcnt(0) lgkmcnt(0)
	v_mul_f32_e64 v11, v9, -v7
	v_mul_f32_e32 v9, v9, v6
	s_delay_alu instid0(VALU_DEP_2) | instskip(NEXT) | instid1(VALU_DEP_2)
	v_fmac_f32_e32 v11, v6, v8
	v_fmac_f32_e32 v9, v7, v8
	ds_add_f32 v10, v11
	ds_add_f32 v10, v9 offset:4
	s_branch .LBB89_73
.LBB89_90:
	s_or_b32 exec_lo, exec_lo, s25
                                        ; implicit-def: $vgpr4_vgpr5
                                        ; implicit-def: $vgpr2
.LBB89_91:
	s_and_not1_saveexec_b32 s1, s7
	s_cbranch_execz .LBB89_149
; %bb.92:
	s_add_u32 s30, s18, -1
	s_addc_u32 s31, s19, -1
	s_add_u32 s34, s18, -2
	v_cmp_le_i64_e64 s0, s[30:31], s[16:17]
	s_addc_u32 s35, s19, -1
	v_dual_mov_b32 v8, s16 :: v_dual_mov_b32 v9, s17
	s_cmp_eq_u64 s[34:35], s[16:17]
	v_dual_mov_b32 v10, s30 :: v_dual_mov_b32 v11, s31
	s_cselect_b32 s7, -1, 0
	s_delay_alu instid0(SALU_CYCLE_1) | instskip(NEXT) | instid1(SALU_CYCLE_1)
	s_or_b32 s7, s0, s7
	s_and_b32 vcc_lo, exec_lo, s7
	s_cbranch_vccnz .LBB89_96
; %bb.93:
	v_dual_mov_b32 v8, s16 :: v_dual_mov_b32 v9, s17
	v_dual_mov_b32 v10, s30 :: v_dual_mov_b32 v11, s31
	s_mov_b32 s25, 0
	s_set_inst_prefetch_distance 0x1
	.p2align	6
.LBB89_94:                              ; =>This Inner Loop Header: Depth=1
	s_delay_alu instid0(VALU_DEP_1) | instskip(NEXT) | instid1(VALU_DEP_2)
	v_add_co_u32 v6, vcc_lo, v10, v8
	v_add_co_ci_u32_e32 v7, vcc_lo, v11, v9, vcc_lo
	s_delay_alu instid0(VALU_DEP_1) | instskip(NEXT) | instid1(VALU_DEP_1)
	v_lshrrev_b32_e32 v12, 31, v7
	v_add_co_u32 v6, vcc_lo, v6, v12
	v_add_co_ci_u32_e32 v7, vcc_lo, 0, v7, vcc_lo
	s_delay_alu instid0(VALU_DEP_1) | instskip(NEXT) | instid1(VALU_DEP_1)
	v_ashrrev_i64 v[6:7], 1, v[6:7]
	v_lshlrev_b64 v[12:13], 3, v[6:7]
	s_delay_alu instid0(VALU_DEP_1) | instskip(NEXT) | instid1(VALU_DEP_2)
	v_add_co_u32 v12, vcc_lo, s8, v12
	v_add_co_ci_u32_e32 v13, vcc_lo, s9, v13, vcc_lo
	global_load_b64 v[12:13], v[12:13], off
	s_waitcnt vmcnt(0)
	v_sub_co_u32 v12, vcc_lo, v12, s24
	v_subrev_co_ci_u32_e32 v13, vcc_lo, 0, v13, vcc_lo
	s_delay_alu instid0(VALU_DEP_1) | instskip(SKIP_2) | instid1(VALU_DEP_2)
	v_cmp_gt_i64_e32 vcc_lo, v[12:13], v[2:3]
	v_dual_cndmask_b32 v11, v11, v7 :: v_dual_cndmask_b32 v10, v10, v6
	v_dual_cndmask_b32 v9, v7, v9 :: v_dual_cndmask_b32 v8, v6, v8
	v_add_co_u32 v6, vcc_lo, v10, -1
	s_delay_alu instid0(VALU_DEP_3) | instskip(NEXT) | instid1(VALU_DEP_3)
	v_add_co_ci_u32_e32 v7, vcc_lo, -1, v11, vcc_lo
	v_cmp_ge_i64_e32 vcc_lo, v[8:9], v[10:11]
	s_delay_alu instid0(VALU_DEP_2) | instskip(NEXT) | instid1(VALU_DEP_1)
	v_cmp_eq_u64_e64 s0, v[8:9], v[6:7]
	s_or_b32 s0, vcc_lo, s0
	s_delay_alu instid0(SALU_CYCLE_1) | instskip(NEXT) | instid1(SALU_CYCLE_1)
	s_and_b32 s0, exec_lo, s0
	s_or_b32 s25, s0, s25
	s_delay_alu instid0(SALU_CYCLE_1)
	s_and_not1_b32 exec_lo, exec_lo, s25
	s_cbranch_execnz .LBB89_94
; %bb.95:
	s_set_inst_prefetch_distance 0x2
	s_or_b32 exec_lo, exec_lo, s25
.LBB89_96:
	v_lshlrev_b64 v[6:7], 3, v[10:11]
	s_xor_b32 s7, s7, -1
	s_mov_b32 s25, exec_lo
	s_delay_alu instid0(VALU_DEP_1) | instskip(NEXT) | instid1(VALU_DEP_2)
	v_add_co_u32 v6, vcc_lo, s8, v6
	v_add_co_ci_u32_e32 v7, vcc_lo, s9, v7, vcc_lo
	global_load_b64 v[12:13], v[6:7], off
	v_lshlrev_b64 v[6:7], 3, v[2:3]
	s_delay_alu instid0(VALU_DEP_1) | instskip(NEXT) | instid1(VALU_DEP_2)
	v_add_co_u32 v6, vcc_lo, s10, v6
	v_add_co_ci_u32_e32 v7, vcc_lo, s11, v7, vcc_lo
	s_lshl_b64 s[10:11], s[18:19], 3
	s_delay_alu instid0(SALU_CYCLE_1)
	s_add_u32 s10, s8, s10
	global_load_b64 v[14:15], v[6:7], off
	s_addc_u32 s11, s9, s11
	s_waitcnt vmcnt(1)
	v_sub_co_u32 v12, vcc_lo, v12, s24
	v_subrev_co_ci_u32_e32 v13, vcc_lo, 0, v13, vcc_lo
	s_delay_alu instid0(VALU_DEP_1) | instskip(SKIP_4) | instid1(VALU_DEP_1)
	v_cmp_gt_i64_e32 vcc_lo, v[12:13], v[2:3]
	v_dual_cndmask_b32 v11, v11, v9 :: v_dual_cndmask_b32 v10, v10, v8
	s_waitcnt vmcnt(0)
	v_sub_co_u32 v8, vcc_lo, v14, s24
	v_subrev_co_ci_u32_e32 v9, vcc_lo, 0, v15, vcc_lo
	v_cmpx_ne_u64_e64 v[8:9], v[10:11]
	s_cbranch_execz .LBB89_106
; %bb.97:
	s_load_b64 s[34:35], s[10:11], 0x0
	s_waitcnt lgkmcnt(0)
	s_sub_u32 s34, s34, s24
	s_subb_u32 s35, s35, 0
	s_delay_alu instid0(SALU_CYCLE_1)
	v_cmp_gt_i64_e32 vcc_lo, s[34:35], v[2:3]
	s_and_b32 exec_lo, exec_lo, vcc_lo
	s_cbranch_execz .LBB89_106
; %bb.98:
	v_cmp_gt_i64_e32 vcc_lo, s[12:13], v[8:9]
	v_cmp_le_i64_e64 s0, s[18:19], v[8:9]
	v_lshlrev_b64 v[10:11], 3, v[10:11]
	s_delay_alu instid0(VALU_DEP_2) | instskip(NEXT) | instid1(SALU_CYCLE_1)
	s_or_b32 s0, vcc_lo, s0
	s_and_saveexec_b32 s29, s0
	s_delay_alu instid0(SALU_CYCLE_1)
	s_xor_b32 s0, exec_lo, s29
	s_cbranch_execz .LBB89_104
; %bb.99:
	s_delay_alu instid0(VALU_DEP_1)
	v_add_co_u32 v10, vcc_lo, s14, v10
	v_add_co_ci_u32_e32 v11, vcc_lo, s15, v11, vcc_lo
	v_lshlrev_b64 v[14:15], 3, v[8:9]
	s_mov_b32 s29, 0
	global_load_b64 v[12:13], v[10:11], off
	v_add_co_u32 v10, vcc_lo, s20, v14
	v_add_co_ci_u32_e32 v11, vcc_lo, s21, v15, vcc_lo
	ds_load_b64 v[14:15], v18
	global_load_b32 v17, v[10:11], off
	s_waitcnt vmcnt(1) lgkmcnt(0)
	v_mul_f32_e64 v19, v13, -v15
	s_delay_alu instid0(VALU_DEP_1)
	v_fmac_f32_e32 v19, v14, v12
.LBB89_100:                             ; =>This Inner Loop Header: Depth=1
	s_waitcnt vmcnt(0)
	s_delay_alu instid0(VALU_DEP_1)
	v_add_f32_e32 v16, v17, v19
	global_atomic_cmpswap_b32 v16, v[10:11], v[16:17], off glc
	s_waitcnt vmcnt(0)
	v_cmp_eq_u32_e32 vcc_lo, v16, v17
	v_mov_b32_e32 v17, v16
	s_or_b32 s29, vcc_lo, s29
	s_delay_alu instid0(SALU_CYCLE_1)
	s_and_not1_b32 exec_lo, exec_lo, s29
	s_cbranch_execnz .LBB89_100
; %bb.101:
	s_or_b32 exec_lo, exec_lo, s29
	global_load_b32 v16, v[10:11], off offset:4
	v_mul_f32_e32 v13, v13, v14
	s_mov_b32 s29, 0
	s_delay_alu instid0(VALU_DEP_1)
	v_fmac_f32_e32 v13, v15, v12
.LBB89_102:                             ; =>This Inner Loop Header: Depth=1
	s_waitcnt vmcnt(0)
	s_delay_alu instid0(VALU_DEP_1)
	v_add_f32_e32 v15, v16, v13
	global_atomic_cmpswap_b32 v12, v[10:11], v[15:16], off offset:4 glc
	s_waitcnt vmcnt(0)
	v_cmp_eq_u32_e32 vcc_lo, v12, v16
	v_mov_b32_e32 v16, v12
	s_or_b32 s29, vcc_lo, s29
	s_delay_alu instid0(SALU_CYCLE_1)
	s_and_not1_b32 exec_lo, exec_lo, s29
	s_cbranch_execnz .LBB89_102
; %bb.103:
	s_or_b32 exec_lo, exec_lo, s29
                                        ; implicit-def: $vgpr10_vgpr11
.LBB89_104:
	s_and_not1_saveexec_b32 s0, s0
	s_cbranch_execz .LBB89_106
; %bb.105:
	v_add_co_u32 v10, vcc_lo, s14, v10
	v_add_co_ci_u32_e32 v11, vcc_lo, s15, v11, vcc_lo
	ds_load_b64 v[12:13], v18
	v_subrev_nc_u32_e32 v14, s12, v8
	global_load_b64 v[10:11], v[10:11], off
	v_lshl_add_u32 v14, v14, 3, 0x2000
	s_waitcnt vmcnt(0) lgkmcnt(0)
	v_mul_f32_e64 v15, v11, -v13
	v_mul_f32_e32 v11, v11, v12
	s_delay_alu instid0(VALU_DEP_2) | instskip(NEXT) | instid1(VALU_DEP_2)
	v_fmac_f32_e32 v15, v12, v10
	v_fmac_f32_e32 v11, v13, v10
	ds_add_f32 v14, v15
	ds_add_f32 v14, v11 offset:4
.LBB89_106:
	s_or_b32 exec_lo, exec_lo, s25
	v_lshlrev_b64 v[8:9], 3, v[8:9]
	ds_load_b64 v[12:13], v18
	v_cndmask_b32_e64 v19, 0, 1, s7
	v_add_co_u32 v8, vcc_lo, s14, v8
	v_add_co_ci_u32_e32 v9, vcc_lo, s15, v9, vcc_lo
	v_add_co_u32 v10, vcc_lo, 0x100, v2
	v_add_co_ci_u32_e32 v11, vcc_lo, 0, v3, vcc_lo
	global_load_b64 v[8:9], v[8:9], off
	s_and_not1_b32 vcc_lo, exec_lo, s7
	s_waitcnt vmcnt(0) lgkmcnt(0)
	v_mul_f32_e64 v14, v9, -v13
	v_mul_f32_e32 v15, v9, v12
	s_delay_alu instid0(VALU_DEP_2) | instskip(NEXT) | instid1(VALU_DEP_2)
	v_fmac_f32_e32 v14, v12, v8
	v_dual_fmac_f32 v15, v13, v8 :: v_dual_mov_b32 v12, s30
	v_dual_mov_b32 v8, s16 :: v_dual_mov_b32 v9, s17
	v_mov_b32_e32 v13, s31
	ds_store_b64 v18, v[14:15]
	s_cbranch_vccnz .LBB89_110
; %bb.107:
	v_dual_mov_b32 v8, s16 :: v_dual_mov_b32 v9, s17
	v_dual_mov_b32 v12, s30 :: v_dual_mov_b32 v13, s31
	s_mov_b32 s7, 0
	s_set_inst_prefetch_distance 0x1
	.p2align	6
.LBB89_108:                             ; =>This Inner Loop Header: Depth=1
	s_delay_alu instid0(VALU_DEP_1) | instskip(NEXT) | instid1(VALU_DEP_2)
	v_add_co_u32 v14, vcc_lo, v12, v8
	v_add_co_ci_u32_e32 v15, vcc_lo, v13, v9, vcc_lo
	s_delay_alu instid0(VALU_DEP_1) | instskip(NEXT) | instid1(VALU_DEP_1)
	v_lshrrev_b32_e32 v16, 31, v15
	v_add_co_u32 v14, vcc_lo, v14, v16
	v_add_co_ci_u32_e32 v15, vcc_lo, 0, v15, vcc_lo
	s_delay_alu instid0(VALU_DEP_1) | instskip(NEXT) | instid1(VALU_DEP_1)
	v_ashrrev_i64 v[14:15], 1, v[14:15]
	v_lshlrev_b64 v[16:17], 3, v[14:15]
	s_delay_alu instid0(VALU_DEP_1) | instskip(NEXT) | instid1(VALU_DEP_2)
	v_add_co_u32 v16, vcc_lo, s8, v16
	v_add_co_ci_u32_e32 v17, vcc_lo, s9, v17, vcc_lo
	global_load_b64 v[16:17], v[16:17], off
	s_waitcnt vmcnt(0)
	v_sub_co_u32 v16, vcc_lo, v16, s24
	v_subrev_co_ci_u32_e32 v17, vcc_lo, 0, v17, vcc_lo
	s_delay_alu instid0(VALU_DEP_1) | instskip(SKIP_2) | instid1(VALU_DEP_2)
	v_cmp_gt_i64_e32 vcc_lo, v[16:17], v[10:11]
	v_dual_cndmask_b32 v13, v13, v15 :: v_dual_cndmask_b32 v12, v12, v14
	v_dual_cndmask_b32 v9, v15, v9 :: v_dual_cndmask_b32 v8, v14, v8
	v_add_co_u32 v14, vcc_lo, v12, -1
	s_delay_alu instid0(VALU_DEP_3) | instskip(NEXT) | instid1(VALU_DEP_3)
	v_add_co_ci_u32_e32 v15, vcc_lo, -1, v13, vcc_lo
	v_cmp_ge_i64_e32 vcc_lo, v[8:9], v[12:13]
	s_delay_alu instid0(VALU_DEP_2) | instskip(NEXT) | instid1(VALU_DEP_1)
	v_cmp_eq_u64_e64 s0, v[8:9], v[14:15]
	s_or_b32 s0, vcc_lo, s0
	s_delay_alu instid0(SALU_CYCLE_1) | instskip(NEXT) | instid1(SALU_CYCLE_1)
	s_and_b32 s0, exec_lo, s0
	s_or_b32 s7, s0, s7
	s_delay_alu instid0(SALU_CYCLE_1)
	s_and_not1_b32 exec_lo, exec_lo, s7
	s_cbranch_execnz .LBB89_108
; %bb.109:
	s_set_inst_prefetch_distance 0x2
	s_or_b32 exec_lo, exec_lo, s7
.LBB89_110:
	v_lshlrev_b64 v[14:15], 3, v[12:13]
	s_mov_b32 s7, exec_lo
	s_delay_alu instid0(VALU_DEP_1) | instskip(NEXT) | instid1(VALU_DEP_2)
	v_add_co_u32 v14, vcc_lo, s8, v14
	v_add_co_ci_u32_e32 v15, vcc_lo, s9, v15, vcc_lo
	global_load_b64 v[14:15], v[14:15], off
	global_load_b64 v[16:17], v[6:7], off offset:2048
	s_waitcnt vmcnt(1)
	v_sub_co_u32 v14, vcc_lo, v14, s24
	v_subrev_co_ci_u32_e32 v15, vcc_lo, 0, v15, vcc_lo
	s_delay_alu instid0(VALU_DEP_1) | instskip(SKIP_4) | instid1(VALU_DEP_1)
	v_cmp_gt_i64_e32 vcc_lo, v[14:15], v[10:11]
	v_dual_cndmask_b32 v13, v13, v9 :: v_dual_cndmask_b32 v12, v12, v8
	s_waitcnt vmcnt(0)
	v_sub_co_u32 v8, vcc_lo, v16, s24
	v_subrev_co_ci_u32_e32 v9, vcc_lo, 0, v17, vcc_lo
	v_cmpx_ne_u64_e64 v[8:9], v[12:13]
	s_cbranch_execz .LBB89_120
; %bb.111:
	s_load_b64 s[34:35], s[10:11], 0x0
	s_waitcnt lgkmcnt(0)
	s_sub_u32 s34, s34, s24
	s_subb_u32 s35, s35, 0
	s_delay_alu instid0(SALU_CYCLE_1)
	v_cmp_gt_i64_e32 vcc_lo, s[34:35], v[10:11]
	s_and_b32 exec_lo, exec_lo, vcc_lo
	s_cbranch_execz .LBB89_120
; %bb.112:
	v_cmp_gt_i64_e32 vcc_lo, s[12:13], v[8:9]
	v_cmp_le_i64_e64 s0, s[18:19], v[8:9]
	v_lshlrev_b64 v[10:11], 3, v[12:13]
	s_delay_alu instid0(VALU_DEP_2) | instskip(NEXT) | instid1(SALU_CYCLE_1)
	s_or_b32 s0, vcc_lo, s0
	s_and_saveexec_b32 s25, s0
	s_delay_alu instid0(SALU_CYCLE_1)
	s_xor_b32 s0, exec_lo, s25
	s_cbranch_execz .LBB89_118
; %bb.113:
	s_delay_alu instid0(VALU_DEP_1)
	v_add_co_u32 v10, vcc_lo, s14, v10
	v_add_co_ci_u32_e32 v11, vcc_lo, s15, v11, vcc_lo
	v_lshlrev_b64 v[14:15], 3, v[8:9]
	s_mov_b32 s25, 0
	global_load_b64 v[12:13], v[10:11], off
	v_add_co_u32 v10, vcc_lo, s20, v14
	v_add_co_ci_u32_e32 v11, vcc_lo, s21, v15, vcc_lo
	ds_load_b64 v[14:15], v18 offset:2048
	global_load_b32 v17, v[10:11], off
	s_waitcnt vmcnt(1) lgkmcnt(0)
	v_mul_f32_e64 v20, v13, -v15
	s_delay_alu instid0(VALU_DEP_1)
	v_fmac_f32_e32 v20, v14, v12
.LBB89_114:                             ; =>This Inner Loop Header: Depth=1
	s_waitcnt vmcnt(0)
	s_delay_alu instid0(VALU_DEP_1)
	v_add_f32_e32 v16, v17, v20
	global_atomic_cmpswap_b32 v16, v[10:11], v[16:17], off glc
	s_waitcnt vmcnt(0)
	v_cmp_eq_u32_e32 vcc_lo, v16, v17
	v_mov_b32_e32 v17, v16
	s_or_b32 s25, vcc_lo, s25
	s_delay_alu instid0(SALU_CYCLE_1)
	s_and_not1_b32 exec_lo, exec_lo, s25
	s_cbranch_execnz .LBB89_114
; %bb.115:
	s_or_b32 exec_lo, exec_lo, s25
	global_load_b32 v16, v[10:11], off offset:4
	v_mul_f32_e32 v13, v13, v14
	s_mov_b32 s25, 0
	s_delay_alu instid0(VALU_DEP_1)
	v_fmac_f32_e32 v13, v15, v12
.LBB89_116:                             ; =>This Inner Loop Header: Depth=1
	s_waitcnt vmcnt(0)
	s_delay_alu instid0(VALU_DEP_1)
	v_add_f32_e32 v15, v16, v13
	global_atomic_cmpswap_b32 v12, v[10:11], v[15:16], off offset:4 glc
	s_waitcnt vmcnt(0)
	v_cmp_eq_u32_e32 vcc_lo, v12, v16
	v_mov_b32_e32 v16, v12
	s_or_b32 s25, vcc_lo, s25
	s_delay_alu instid0(SALU_CYCLE_1)
	s_and_not1_b32 exec_lo, exec_lo, s25
	s_cbranch_execnz .LBB89_116
; %bb.117:
	s_or_b32 exec_lo, exec_lo, s25
                                        ; implicit-def: $vgpr10_vgpr11
.LBB89_118:
	s_and_not1_saveexec_b32 s0, s0
	s_cbranch_execz .LBB89_120
; %bb.119:
	v_add_co_u32 v10, vcc_lo, s14, v10
	v_add_co_ci_u32_e32 v11, vcc_lo, s15, v11, vcc_lo
	ds_load_b64 v[12:13], v18 offset:2048
	v_subrev_nc_u32_e32 v14, s12, v8
	global_load_b64 v[10:11], v[10:11], off
	v_lshl_add_u32 v14, v14, 3, 0x2000
	s_waitcnt vmcnt(0) lgkmcnt(0)
	v_mul_f32_e64 v15, v11, -v13
	v_mul_f32_e32 v11, v11, v12
	s_delay_alu instid0(VALU_DEP_2) | instskip(NEXT) | instid1(VALU_DEP_2)
	v_fmac_f32_e32 v15, v12, v10
	v_fmac_f32_e32 v11, v13, v10
	ds_add_f32 v14, v15
	ds_add_f32 v14, v11 offset:4
.LBB89_120:
	s_or_b32 exec_lo, exec_lo, s7
	v_lshlrev_b64 v[8:9], 3, v[8:9]
	ds_load_b64 v[12:13], v18 offset:2048
	v_add_co_u32 v8, vcc_lo, s14, v8
	v_add_co_ci_u32_e32 v9, vcc_lo, s15, v9, vcc_lo
	global_load_b64 v[10:11], v[8:9], off
	v_add_co_u32 v8, vcc_lo, 0x200, v2
	v_add_co_ci_u32_e32 v9, vcc_lo, 0, v3, vcc_lo
	v_cmp_ne_u32_e32 vcc_lo, 1, v19
	s_and_b32 vcc_lo, exec_lo, vcc_lo
	s_waitcnt vmcnt(0) lgkmcnt(0)
	v_mul_f32_e64 v14, v11, -v13
	s_delay_alu instid0(VALU_DEP_1) | instskip(NEXT) | instid1(VALU_DEP_1)
	v_dual_mul_f32 v15, v11, v12 :: v_dual_fmac_f32 v14, v12, v10
	v_dual_fmac_f32 v15, v13, v10 :: v_dual_mov_b32 v10, s16
	v_dual_mov_b32 v11, s17 :: v_dual_mov_b32 v12, s30
	v_mov_b32_e32 v13, s31
	ds_store_b64 v18, v[14:15] offset:2048
	s_cbranch_vccnz .LBB89_124
; %bb.121:
	v_dual_mov_b32 v10, s16 :: v_dual_mov_b32 v11, s17
	v_dual_mov_b32 v12, s30 :: v_dual_mov_b32 v13, s31
	s_mov_b32 s7, 0
	s_set_inst_prefetch_distance 0x1
	.p2align	6
.LBB89_122:                             ; =>This Inner Loop Header: Depth=1
	s_delay_alu instid0(VALU_DEP_1) | instskip(NEXT) | instid1(VALU_DEP_2)
	v_add_co_u32 v2, vcc_lo, v12, v10
	v_add_co_ci_u32_e32 v3, vcc_lo, v13, v11, vcc_lo
	s_delay_alu instid0(VALU_DEP_1) | instskip(NEXT) | instid1(VALU_DEP_1)
	v_lshrrev_b32_e32 v14, 31, v3
	v_add_co_u32 v2, vcc_lo, v2, v14
	v_add_co_ci_u32_e32 v3, vcc_lo, 0, v3, vcc_lo
	s_delay_alu instid0(VALU_DEP_1) | instskip(NEXT) | instid1(VALU_DEP_1)
	v_ashrrev_i64 v[2:3], 1, v[2:3]
	v_lshlrev_b64 v[14:15], 3, v[2:3]
	s_delay_alu instid0(VALU_DEP_1) | instskip(NEXT) | instid1(VALU_DEP_2)
	v_add_co_u32 v14, vcc_lo, s8, v14
	v_add_co_ci_u32_e32 v15, vcc_lo, s9, v15, vcc_lo
	global_load_b64 v[14:15], v[14:15], off
	s_waitcnt vmcnt(0)
	v_sub_co_u32 v14, vcc_lo, v14, s24
	v_subrev_co_ci_u32_e32 v15, vcc_lo, 0, v15, vcc_lo
	s_delay_alu instid0(VALU_DEP_1) | instskip(SKIP_2) | instid1(VALU_DEP_2)
	v_cmp_gt_i64_e32 vcc_lo, v[14:15], v[8:9]
	v_dual_cndmask_b32 v13, v13, v3 :: v_dual_cndmask_b32 v12, v12, v2
	v_dual_cndmask_b32 v11, v3, v11 :: v_dual_cndmask_b32 v10, v2, v10
	v_add_co_u32 v2, vcc_lo, v12, -1
	s_delay_alu instid0(VALU_DEP_3) | instskip(NEXT) | instid1(VALU_DEP_3)
	v_add_co_ci_u32_e32 v3, vcc_lo, -1, v13, vcc_lo
	v_cmp_ge_i64_e32 vcc_lo, v[10:11], v[12:13]
	s_delay_alu instid0(VALU_DEP_2) | instskip(NEXT) | instid1(VALU_DEP_1)
	v_cmp_eq_u64_e64 s0, v[10:11], v[2:3]
	s_or_b32 s0, vcc_lo, s0
	s_delay_alu instid0(SALU_CYCLE_1) | instskip(NEXT) | instid1(SALU_CYCLE_1)
	s_and_b32 s0, exec_lo, s0
	s_or_b32 s7, s0, s7
	s_delay_alu instid0(SALU_CYCLE_1)
	s_and_not1_b32 exec_lo, exec_lo, s7
	s_cbranch_execnz .LBB89_122
; %bb.123:
	s_set_inst_prefetch_distance 0x2
	s_or_b32 exec_lo, exec_lo, s7
.LBB89_124:
	v_lshlrev_b64 v[2:3], 3, v[12:13]
	s_mov_b32 s7, exec_lo
	s_delay_alu instid0(VALU_DEP_1) | instskip(NEXT) | instid1(VALU_DEP_2)
	v_add_co_u32 v2, vcc_lo, s8, v2
	v_add_co_ci_u32_e32 v3, vcc_lo, s9, v3, vcc_lo
	global_load_b64 v[14:15], v[2:3], off
	v_add_co_u32 v2, vcc_lo, 0x1000, v6
	v_add_co_ci_u32_e32 v3, vcc_lo, 0, v7, vcc_lo
	global_load_b64 v[6:7], v[2:3], off
	s_waitcnt vmcnt(1)
	v_sub_co_u32 v14, vcc_lo, v14, s24
	v_subrev_co_ci_u32_e32 v15, vcc_lo, 0, v15, vcc_lo
	s_delay_alu instid0(VALU_DEP_1) | instskip(SKIP_4) | instid1(VALU_DEP_1)
	v_cmp_gt_i64_e32 vcc_lo, v[14:15], v[8:9]
	v_dual_cndmask_b32 v11, v13, v11 :: v_dual_cndmask_b32 v10, v12, v10
	s_waitcnt vmcnt(0)
	v_sub_co_u32 v6, vcc_lo, v6, s24
	v_subrev_co_ci_u32_e32 v7, vcc_lo, 0, v7, vcc_lo
	v_cmpx_ne_u64_e64 v[6:7], v[10:11]
	s_cbranch_execz .LBB89_134
; %bb.125:
	s_load_b64 s[34:35], s[10:11], 0x0
	s_waitcnt lgkmcnt(0)
	s_sub_u32 s34, s34, s24
	s_subb_u32 s35, s35, 0
	s_delay_alu instid0(SALU_CYCLE_1)
	v_cmp_gt_i64_e32 vcc_lo, s[34:35], v[8:9]
	s_and_b32 exec_lo, exec_lo, vcc_lo
	s_cbranch_execz .LBB89_134
; %bb.126:
	v_cmp_gt_i64_e32 vcc_lo, s[12:13], v[6:7]
	v_cmp_le_i64_e64 s0, s[18:19], v[6:7]
	v_lshlrev_b64 v[8:9], 3, v[10:11]
	s_delay_alu instid0(VALU_DEP_2) | instskip(NEXT) | instid1(SALU_CYCLE_1)
	s_or_b32 s0, vcc_lo, s0
	s_and_saveexec_b32 s25, s0
	s_delay_alu instid0(SALU_CYCLE_1)
	s_xor_b32 s0, exec_lo, s25
	s_cbranch_execz .LBB89_132
; %bb.127:
	s_delay_alu instid0(VALU_DEP_1)
	v_add_co_u32 v8, vcc_lo, s14, v8
	v_add_co_ci_u32_e32 v9, vcc_lo, s15, v9, vcc_lo
	v_lshlrev_b64 v[12:13], 3, v[6:7]
	s_mov_b32 s25, 0
	global_load_b64 v[10:11], v[8:9], off
	v_add_co_u32 v8, vcc_lo, s20, v12
	v_add_co_ci_u32_e32 v9, vcc_lo, s21, v13, vcc_lo
	ds_load_b64 v[12:13], v18 offset:4096
	global_load_b32 v15, v[8:9], off
	s_waitcnt vmcnt(1) lgkmcnt(0)
	v_mul_f32_e64 v16, v11, -v13
	s_delay_alu instid0(VALU_DEP_1)
	v_fmac_f32_e32 v16, v12, v10
.LBB89_128:                             ; =>This Inner Loop Header: Depth=1
	s_waitcnt vmcnt(0)
	s_delay_alu instid0(VALU_DEP_1)
	v_add_f32_e32 v14, v15, v16
	global_atomic_cmpswap_b32 v14, v[8:9], v[14:15], off glc
	s_waitcnt vmcnt(0)
	v_cmp_eq_u32_e32 vcc_lo, v14, v15
	v_mov_b32_e32 v15, v14
	s_or_b32 s25, vcc_lo, s25
	s_delay_alu instid0(SALU_CYCLE_1)
	s_and_not1_b32 exec_lo, exec_lo, s25
	s_cbranch_execnz .LBB89_128
; %bb.129:
	s_or_b32 exec_lo, exec_lo, s25
	global_load_b32 v14, v[8:9], off offset:4
	v_mul_f32_e32 v11, v11, v12
	s_mov_b32 s25, 0
	s_delay_alu instid0(VALU_DEP_1)
	v_fmac_f32_e32 v11, v13, v10
.LBB89_130:                             ; =>This Inner Loop Header: Depth=1
	s_waitcnt vmcnt(0)
	s_delay_alu instid0(VALU_DEP_1)
	v_add_f32_e32 v13, v14, v11
	global_atomic_cmpswap_b32 v10, v[8:9], v[13:14], off offset:4 glc
	s_waitcnt vmcnt(0)
	v_cmp_eq_u32_e32 vcc_lo, v10, v14
	v_mov_b32_e32 v14, v10
	s_or_b32 s25, vcc_lo, s25
	s_delay_alu instid0(SALU_CYCLE_1)
	s_and_not1_b32 exec_lo, exec_lo, s25
	s_cbranch_execnz .LBB89_130
; %bb.131:
	s_or_b32 exec_lo, exec_lo, s25
                                        ; implicit-def: $vgpr8_vgpr9
.LBB89_132:
	s_and_not1_saveexec_b32 s0, s0
	s_cbranch_execz .LBB89_134
; %bb.133:
	v_add_co_u32 v8, vcc_lo, s14, v8
	v_add_co_ci_u32_e32 v9, vcc_lo, s15, v9, vcc_lo
	ds_load_b64 v[10:11], v18 offset:4096
	v_subrev_nc_u32_e32 v12, s12, v6
	global_load_b64 v[8:9], v[8:9], off
	v_lshl_add_u32 v12, v12, 3, 0x2000
	s_waitcnt vmcnt(0) lgkmcnt(0)
	v_mul_f32_e64 v13, v9, -v11
	v_mul_f32_e32 v9, v9, v10
	s_delay_alu instid0(VALU_DEP_2) | instskip(NEXT) | instid1(VALU_DEP_2)
	v_fmac_f32_e32 v13, v10, v8
	v_fmac_f32_e32 v9, v11, v8
	ds_add_f32 v12, v13
	ds_add_f32 v12, v9 offset:4
.LBB89_134:
	s_or_b32 exec_lo, exec_lo, s7
	v_lshlrev_b64 v[6:7], 3, v[6:7]
	ds_load_b64 v[8:9], v18 offset:4096
	v_add_co_u32 v6, vcc_lo, s14, v6
	v_add_co_ci_u32_e32 v7, vcc_lo, s15, v7, vcc_lo
	v_cmp_ne_u32_e32 vcc_lo, 1, v19
	global_load_b64 v[6:7], v[6:7], off
	s_and_b32 vcc_lo, exec_lo, vcc_lo
	s_waitcnt vmcnt(0) lgkmcnt(0)
	v_mul_f32_e64 v10, v7, -v9
	s_delay_alu instid0(VALU_DEP_1) | instskip(NEXT) | instid1(VALU_DEP_1)
	v_dual_mul_f32 v11, v7, v8 :: v_dual_fmac_f32 v10, v8, v6
	v_dual_fmac_f32 v11, v9, v6 :: v_dual_mov_b32 v6, s16
	v_dual_mov_b32 v7, s17 :: v_dual_mov_b32 v8, s30
	v_mov_b32_e32 v9, s31
	ds_store_b64 v18, v[10:11] offset:4096
	s_cbranch_vccnz .LBB89_138
; %bb.135:
	v_dual_mov_b32 v6, s16 :: v_dual_mov_b32 v7, s17
	v_dual_mov_b32 v8, s30 :: v_dual_mov_b32 v9, s31
	s_mov_b32 s7, 0
	s_set_inst_prefetch_distance 0x1
	.p2align	6
.LBB89_136:                             ; =>This Inner Loop Header: Depth=1
	s_delay_alu instid0(VALU_DEP_1) | instskip(NEXT) | instid1(VALU_DEP_2)
	v_add_co_u32 v10, vcc_lo, v8, v6
	v_add_co_ci_u32_e32 v11, vcc_lo, v9, v7, vcc_lo
	s_delay_alu instid0(VALU_DEP_1) | instskip(NEXT) | instid1(VALU_DEP_1)
	v_lshrrev_b32_e32 v12, 31, v11
	v_add_co_u32 v10, vcc_lo, v10, v12
	v_add_co_ci_u32_e32 v11, vcc_lo, 0, v11, vcc_lo
	s_delay_alu instid0(VALU_DEP_1) | instskip(NEXT) | instid1(VALU_DEP_1)
	v_ashrrev_i64 v[10:11], 1, v[10:11]
	v_lshlrev_b64 v[12:13], 3, v[10:11]
	s_delay_alu instid0(VALU_DEP_1) | instskip(NEXT) | instid1(VALU_DEP_2)
	v_add_co_u32 v12, vcc_lo, s8, v12
	v_add_co_ci_u32_e32 v13, vcc_lo, s9, v13, vcc_lo
	global_load_b64 v[12:13], v[12:13], off
	s_waitcnt vmcnt(0)
	v_sub_co_u32 v12, vcc_lo, v12, s24
	v_subrev_co_ci_u32_e32 v13, vcc_lo, 0, v13, vcc_lo
	s_delay_alu instid0(VALU_DEP_1) | instskip(SKIP_2) | instid1(VALU_DEP_2)
	v_cmp_gt_i64_e32 vcc_lo, v[12:13], v[4:5]
	v_dual_cndmask_b32 v9, v9, v11 :: v_dual_cndmask_b32 v8, v8, v10
	v_dual_cndmask_b32 v7, v11, v7 :: v_dual_cndmask_b32 v6, v10, v6
	v_add_co_u32 v10, vcc_lo, v8, -1
	s_delay_alu instid0(VALU_DEP_3) | instskip(NEXT) | instid1(VALU_DEP_3)
	v_add_co_ci_u32_e32 v11, vcc_lo, -1, v9, vcc_lo
	v_cmp_ge_i64_e32 vcc_lo, v[6:7], v[8:9]
	s_delay_alu instid0(VALU_DEP_2) | instskip(NEXT) | instid1(VALU_DEP_1)
	v_cmp_eq_u64_e64 s0, v[6:7], v[10:11]
	s_or_b32 s0, vcc_lo, s0
	s_delay_alu instid0(SALU_CYCLE_1) | instskip(NEXT) | instid1(SALU_CYCLE_1)
	s_and_b32 s0, exec_lo, s0
	s_or_b32 s7, s0, s7
	s_delay_alu instid0(SALU_CYCLE_1)
	s_and_not1_b32 exec_lo, exec_lo, s7
	s_cbranch_execnz .LBB89_136
; %bb.137:
	s_set_inst_prefetch_distance 0x2
	s_or_b32 exec_lo, exec_lo, s7
.LBB89_138:
	v_lshlrev_b64 v[10:11], 3, v[8:9]
	s_mov_b32 s7, exec_lo
	s_delay_alu instid0(VALU_DEP_1) | instskip(NEXT) | instid1(VALU_DEP_2)
	v_add_co_u32 v10, vcc_lo, s8, v10
	v_add_co_ci_u32_e32 v11, vcc_lo, s9, v11, vcc_lo
	global_load_b64 v[10:11], v[10:11], off
	global_load_b64 v[2:3], v[2:3], off offset:2048
	s_waitcnt vmcnt(1)
	v_sub_co_u32 v10, vcc_lo, v10, s24
	v_subrev_co_ci_u32_e32 v11, vcc_lo, 0, v11, vcc_lo
	s_delay_alu instid0(VALU_DEP_1) | instskip(SKIP_4) | instid1(VALU_DEP_1)
	v_cmp_gt_i64_e32 vcc_lo, v[10:11], v[4:5]
	v_dual_cndmask_b32 v7, v9, v7 :: v_dual_cndmask_b32 v6, v8, v6
	s_waitcnt vmcnt(0)
	v_sub_co_u32 v2, vcc_lo, v2, s24
	v_subrev_co_ci_u32_e32 v3, vcc_lo, 0, v3, vcc_lo
	v_cmpx_ne_u64_e64 v[2:3], v[6:7]
	s_cbranch_execz .LBB89_148
; %bb.139:
	s_load_b64 s[10:11], s[10:11], 0x0
	s_waitcnt lgkmcnt(0)
	s_sub_u32 s10, s10, s24
	s_subb_u32 s11, s11, 0
	s_delay_alu instid0(SALU_CYCLE_1)
	v_cmp_gt_i64_e32 vcc_lo, s[10:11], v[4:5]
	s_and_b32 exec_lo, exec_lo, vcc_lo
	s_cbranch_execz .LBB89_148
; %bb.140:
	v_cmp_gt_i64_e32 vcc_lo, s[12:13], v[2:3]
	v_cmp_le_i64_e64 s0, s[18:19], v[2:3]
	v_lshlrev_b64 v[4:5], 3, v[6:7]
	s_delay_alu instid0(VALU_DEP_2) | instskip(NEXT) | instid1(SALU_CYCLE_1)
	s_or_b32 s0, vcc_lo, s0
	s_and_saveexec_b32 s10, s0
	s_delay_alu instid0(SALU_CYCLE_1)
	s_xor_b32 s0, exec_lo, s10
	s_cbranch_execz .LBB89_146
; %bb.141:
	s_delay_alu instid0(VALU_DEP_1)
	v_add_co_u32 v4, vcc_lo, s14, v4
	v_add_co_ci_u32_e32 v5, vcc_lo, s15, v5, vcc_lo
	v_lshlrev_b64 v[8:9], 3, v[2:3]
	s_mov_b32 s10, 0
	global_load_b64 v[6:7], v[4:5], off
	v_add_co_u32 v4, vcc_lo, s20, v8
	v_add_co_ci_u32_e32 v5, vcc_lo, s21, v9, vcc_lo
	ds_load_b64 v[8:9], v18 offset:6144
	global_load_b32 v11, v[4:5], off
	s_waitcnt vmcnt(1) lgkmcnt(0)
	v_mul_f32_e64 v12, v7, -v9
	s_delay_alu instid0(VALU_DEP_1)
	v_fmac_f32_e32 v12, v8, v6
.LBB89_142:                             ; =>This Inner Loop Header: Depth=1
	s_waitcnt vmcnt(0)
	s_delay_alu instid0(VALU_DEP_1)
	v_add_f32_e32 v10, v11, v12
	global_atomic_cmpswap_b32 v10, v[4:5], v[10:11], off glc
	s_waitcnt vmcnt(0)
	v_cmp_eq_u32_e32 vcc_lo, v10, v11
	v_mov_b32_e32 v11, v10
	s_or_b32 s10, vcc_lo, s10
	s_delay_alu instid0(SALU_CYCLE_1)
	s_and_not1_b32 exec_lo, exec_lo, s10
	s_cbranch_execnz .LBB89_142
; %bb.143:
	s_or_b32 exec_lo, exec_lo, s10
	global_load_b32 v10, v[4:5], off offset:4
	v_mul_f32_e32 v7, v7, v8
	s_mov_b32 s10, 0
	s_delay_alu instid0(VALU_DEP_1)
	v_fmac_f32_e32 v7, v9, v6
.LBB89_144:                             ; =>This Inner Loop Header: Depth=1
	s_waitcnt vmcnt(0)
	s_delay_alu instid0(VALU_DEP_1)
	v_add_f32_e32 v9, v10, v7
	global_atomic_cmpswap_b32 v6, v[4:5], v[9:10], off offset:4 glc
	s_waitcnt vmcnt(0)
	v_cmp_eq_u32_e32 vcc_lo, v6, v10
	v_mov_b32_e32 v10, v6
	s_or_b32 s10, vcc_lo, s10
	s_delay_alu instid0(SALU_CYCLE_1)
	s_and_not1_b32 exec_lo, exec_lo, s10
	s_cbranch_execnz .LBB89_144
; %bb.145:
	s_or_b32 exec_lo, exec_lo, s10
                                        ; implicit-def: $vgpr4_vgpr5
.LBB89_146:
	s_and_not1_saveexec_b32 s0, s0
	s_cbranch_execz .LBB89_148
; %bb.147:
	v_add_co_u32 v4, vcc_lo, s14, v4
	v_add_co_ci_u32_e32 v5, vcc_lo, s15, v5, vcc_lo
	ds_load_b64 v[6:7], v18 offset:6144
	v_subrev_nc_u32_e32 v8, s12, v2
	global_load_b64 v[4:5], v[4:5], off
	v_lshl_add_u32 v8, v8, 3, 0x2000
	s_waitcnt vmcnt(0) lgkmcnt(0)
	v_mul_f32_e64 v9, v5, -v7
	v_mul_f32_e32 v5, v5, v6
	s_delay_alu instid0(VALU_DEP_2) | instskip(NEXT) | instid1(VALU_DEP_2)
	v_fmac_f32_e32 v9, v6, v4
	v_fmac_f32_e32 v5, v7, v4
	ds_add_f32 v8, v9
	ds_add_f32 v8, v5 offset:4
.LBB89_148:
	s_or_b32 exec_lo, exec_lo, s7
	v_lshlrev_b64 v[2:3], 3, v[2:3]
	ds_load_b64 v[4:5], v18 offset:6144
	v_add_co_u32 v2, vcc_lo, s14, v2
	v_add_co_ci_u32_e32 v3, vcc_lo, s15, v3, vcc_lo
	global_load_b64 v[2:3], v[2:3], off
	s_waitcnt vmcnt(0) lgkmcnt(0)
	v_mul_f32_e64 v6, v3, -v5
	s_delay_alu instid0(VALU_DEP_1) | instskip(NEXT) | instid1(VALU_DEP_1)
	v_dual_mul_f32 v7, v3, v4 :: v_dual_fmac_f32 v6, v4, v2
	v_fmac_f32_e32 v7, v5, v2
	ds_store_b64 v18, v[6:7] offset:6144
.LBB89_149:
	s_or_b32 exec_lo, exec_lo, s1
	v_cmp_lt_i64_e64 s0, s[18:19], s[2:3]
	s_waitcnt lgkmcnt(0)
	s_barrier
	buffer_gl0_inv
	s_and_b32 s0, s0, exec_lo
	s_cselect_b32 s1, s18, s2
	s_cselect_b32 s0, s19, s3
	s_sub_u32 s2, s1, s22
	s_subb_u32 s3, s0, s23
	s_mov_b32 s0, exec_lo
	v_cmpx_gt_i64_e64 s[2:3], v[0:1]
	s_cbranch_execz .LBB89_156
; %bb.150:
	s_lshl_b64 s[10:11], s[12:13], 3
	v_dual_mov_b32 v3, v1 :: v_dual_mov_b32 v2, v0
	s_add_u32 s7, s20, s10
	s_addc_u32 s10, s21, s11
	s_mov_b32 s11, 0
	s_set_inst_prefetch_distance 0x1
	.p2align	6
.LBB89_151:                             ; =>This Loop Header: Depth=1
                                        ;     Child Loop BB89_152 Depth 2
                                        ;     Child Loop BB89_154 Depth 2
	v_lshlrev_b64 v[4:5], 3, v[2:3]
	v_lshl_add_u32 v6, v2, 3, 0x2000
	s_mov_b32 s12, 0
	ds_load_2addr_b32 v[6:7], v6 offset1:1
	v_add_co_u32 v4, vcc_lo, s7, v4
	v_add_co_ci_u32_e32 v5, vcc_lo, s10, v5, vcc_lo
	global_load_b32 v9, v[4:5], off
.LBB89_152:                             ;   Parent Loop BB89_151 Depth=1
                                        ; =>  This Inner Loop Header: Depth=2
	s_waitcnt vmcnt(0) lgkmcnt(0)
	v_add_f32_e32 v8, v9, v6
	global_atomic_cmpswap_b32 v8, v[4:5], v[8:9], off glc
	s_waitcnt vmcnt(0)
	v_cmp_eq_u32_e32 vcc_lo, v8, v9
	v_mov_b32_e32 v9, v8
	s_or_b32 s12, vcc_lo, s12
	s_delay_alu instid0(SALU_CYCLE_1)
	s_and_not1_b32 exec_lo, exec_lo, s12
	s_cbranch_execnz .LBB89_152
; %bb.153:                              ;   in Loop: Header=BB89_151 Depth=1
	s_or_b32 exec_lo, exec_lo, s12
	global_load_b32 v9, v[4:5], off offset:4
	s_mov_b32 s12, 0
.LBB89_154:                             ;   Parent Loop BB89_151 Depth=1
                                        ; =>  This Inner Loop Header: Depth=2
	s_waitcnt vmcnt(0)
	v_add_f32_e32 v8, v9, v7
	global_atomic_cmpswap_b32 v6, v[4:5], v[8:9], off offset:4 glc
	s_waitcnt vmcnt(0)
	v_cmp_eq_u32_e32 vcc_lo, v6, v9
	v_mov_b32_e32 v9, v6
	s_or_b32 s12, vcc_lo, s12
	s_delay_alu instid0(SALU_CYCLE_1)
	s_and_not1_b32 exec_lo, exec_lo, s12
	s_cbranch_execnz .LBB89_154
; %bb.155:                              ;   in Loop: Header=BB89_151 Depth=1
	s_or_b32 exec_lo, exec_lo, s12
	v_add_co_u32 v2, vcc_lo, 0x100, v2
	v_add_co_ci_u32_e32 v3, vcc_lo, 0, v3, vcc_lo
	s_delay_alu instid0(VALU_DEP_1) | instskip(SKIP_1) | instid1(SALU_CYCLE_1)
	v_cmp_le_i64_e32 vcc_lo, s[2:3], v[2:3]
	s_or_b32 s11, vcc_lo, s11
	s_and_not1_b32 exec_lo, exec_lo, s11
	s_cbranch_execnz .LBB89_151
.LBB89_156:
	s_set_inst_prefetch_distance 0x2
	s_or_b32 exec_lo, exec_lo, s0
	s_add_i32 s0, s28, -1
	v_add_co_u32 v6, s10, s16, v0
	s_ashr_i32 s3, s0, 1
	v_add_co_ci_u32_e64 v7, null, s17, 0, s10
	s_or_b32 s0, s3, s0
	s_delay_alu instid0(SALU_CYCLE_1) | instskip(SKIP_4) | instid1(SALU_CYCLE_1)
	s_ashr_i32 s3, s0, 2
	s_barrier
	s_or_b32 s0, s3, s0
	buffer_gl0_inv
	s_ashr_i32 s3, s0, 4
	s_or_b32 s0, s3, s0
	s_delay_alu instid0(SALU_CYCLE_1) | instskip(NEXT) | instid1(SALU_CYCLE_1)
	s_ashr_i32 s3, s0, 8
	s_or_b32 s0, s3, s0
	s_delay_alu instid0(SALU_CYCLE_1) | instskip(NEXT) | instid1(SALU_CYCLE_1)
	s_ashr_i32 s3, s0, 16
	s_or_b32 s3, s3, s0
	s_mov_b32 s0, -1
	s_add_i32 s3, s3, 1
	s_delay_alu instid0(SALU_CYCLE_1) | instskip(NEXT) | instid1(SALU_CYCLE_1)
	s_ashr_i32 s7, s3, 1
	s_cmp_gt_i32 s7, 1
	s_cbranch_scc1 .LBB89_169
; %bb.157:
	s_mov_b32 s0, exec_lo
	v_cmpx_gt_i64_e64 s[18:19], v[6:7]
	s_cbranch_execz .LBB89_168
; %bb.158:
	s_sub_i32 s1, s1, s18
	v_dual_mov_b32 v9, v7 :: v_dual_mov_b32 v8, v6
	s_lshl_b32 s11, s4, 3
	s_lshl_b32 s1, s1, 3
	s_mov_b32 s10, 0
	s_addk_i32 s1, 0x2000
	s_sub_i32 s11, 0, s11
.LBB89_159:                             ; =>This Loop Header: Depth=1
                                        ;     Child Loop BB89_161 Depth 2
                                        ;     Child Loop BB89_164 Depth 2
	;; [unrolled: 1-line block ×3, first 2 shown]
	v_lshlrev_b64 v[10:11], 3, v[8:9]
	v_dual_mov_b32 v14, 0 :: v_dual_mov_b32 v15, 0
	s_mov_b32 s12, exec_lo
	s_delay_alu instid0(VALU_DEP_2) | instskip(NEXT) | instid1(VALU_DEP_3)
	v_add_co_u32 v2, vcc_lo, s8, v10
	v_add_co_ci_u32_e32 v3, vcc_lo, s9, v11, vcc_lo
	global_load_b128 v[2:5], v[2:3], off
	s_waitcnt vmcnt(0)
	v_cmpx_lt_i64_e64 v[2:3], v[4:5]
	s_cbranch_execz .LBB89_163
; %bb.160:                              ;   in Loop: Header=BB89_159 Depth=1
	v_sub_co_u32 v4, vcc_lo, v4, s4
	v_subrev_co_ci_u32_e32 v5, vcc_lo, s5, v5, vcc_lo
	v_sub_co_u32 v12, vcc_lo, v2, s4
	v_subrev_co_ci_u32_e32 v13, vcc_lo, s5, v3, vcc_lo
	v_lshl_add_u32 v2, v2, 3, s11
	v_dual_mov_b32 v14, 0 :: v_dual_mov_b32 v15, 0
	s_mov_b32 s13, 0
.LBB89_161:                             ;   Parent Loop BB89_159 Depth=1
                                        ; =>  This Inner Loop Header: Depth=2
	ds_load_b64 v[16:17], v2
	v_add_co_u32 v12, vcc_lo, v12, 1
	v_add_co_ci_u32_e32 v13, vcc_lo, 0, v13, vcc_lo
	v_add_nc_u32_e32 v2, 8, v2
	s_delay_alu instid0(VALU_DEP_2)
	v_cmp_ge_i64_e32 vcc_lo, v[12:13], v[4:5]
	s_or_b32 s13, vcc_lo, s13
	s_waitcnt lgkmcnt(0)
	v_dual_add_f32 v15, v15, v16 :: v_dual_add_f32 v14, v14, v17
	s_and_not1_b32 exec_lo, exec_lo, s13
	s_cbranch_execnz .LBB89_161
; %bb.162:                              ;   in Loop: Header=BB89_159 Depth=1
	s_or_b32 exec_lo, exec_lo, s13
.LBB89_163:                             ;   in Loop: Header=BB89_159 Depth=1
	s_delay_alu instid0(SALU_CYCLE_1)
	s_or_b32 exec_lo, exec_lo, s12
	v_add_co_u32 v2, vcc_lo, s20, v10
	v_add_co_ci_u32_e32 v3, vcc_lo, s21, v11, vcc_lo
	v_lshl_add_u32 v4, v8, 3, s1
	s_mov_b32 s12, 0
	global_load_b32 v11, v[2:3], off
	ds_load_2addr_b32 v[4:5], v4 offset1:1
	s_waitcnt lgkmcnt(0)
	v_add_f32_e32 v4, v15, v4
.LBB89_164:                             ;   Parent Loop BB89_159 Depth=1
                                        ; =>  This Inner Loop Header: Depth=2
	s_waitcnt vmcnt(0)
	s_delay_alu instid0(VALU_DEP_1)
	v_add_f32_e32 v10, v11, v4
	global_atomic_cmpswap_b32 v10, v[2:3], v[10:11], off glc
	s_waitcnt vmcnt(0)
	v_cmp_eq_u32_e32 vcc_lo, v10, v11
	v_mov_b32_e32 v11, v10
	s_or_b32 s12, vcc_lo, s12
	s_delay_alu instid0(SALU_CYCLE_1)
	s_and_not1_b32 exec_lo, exec_lo, s12
	s_cbranch_execnz .LBB89_164
; %bb.165:                              ;   in Loop: Header=BB89_159 Depth=1
	s_or_b32 exec_lo, exec_lo, s12
	global_load_b32 v11, v[2:3], off offset:4
	v_add_f32_e32 v4, v14, v5
	s_mov_b32 s12, 0
.LBB89_166:                             ;   Parent Loop BB89_159 Depth=1
                                        ; =>  This Inner Loop Header: Depth=2
	s_waitcnt vmcnt(0)
	s_delay_alu instid0(VALU_DEP_1)
	v_add_f32_e32 v10, v11, v4
	global_atomic_cmpswap_b32 v5, v[2:3], v[10:11], off offset:4 glc
	s_waitcnt vmcnt(0)
	v_cmp_eq_u32_e32 vcc_lo, v5, v11
	v_mov_b32_e32 v11, v5
	s_or_b32 s12, vcc_lo, s12
	s_delay_alu instid0(SALU_CYCLE_1)
	s_and_not1_b32 exec_lo, exec_lo, s12
	s_cbranch_execnz .LBB89_166
; %bb.167:                              ;   in Loop: Header=BB89_159 Depth=1
	s_or_b32 exec_lo, exec_lo, s12
	v_add_co_u32 v8, vcc_lo, v8, s6
	v_add_co_ci_u32_e32 v9, vcc_lo, 0, v9, vcc_lo
	s_delay_alu instid0(VALU_DEP_1) | instskip(SKIP_1) | instid1(SALU_CYCLE_1)
	v_cmp_le_i64_e32 vcc_lo, s[18:19], v[8:9]
	s_or_b32 s10, vcc_lo, s10
	s_and_not1_b32 exec_lo, exec_lo, s10
	s_cbranch_execnz .LBB89_159
.LBB89_168:
	s_or_b32 exec_lo, exec_lo, s0
	s_mov_b32 s0, 0
.LBB89_169:
	s_delay_alu instid0(SALU_CYCLE_1)
	s_and_not1_b32 vcc_lo, exec_lo, s0
	s_cbranch_vccnz .LBB89_200
; %bb.170:
	v_cvt_f32_u32_e32 v13, s7
	s_sub_i32 s1, 0, s7
	v_mov_b32_e32 v11, 0
	s_delay_alu instid0(VALU_DEP_2) | instskip(SKIP_2) | instid1(VALU_DEP_1)
	v_rcp_iflag_f32_e32 v2, v13
	s_waitcnt_depctr 0xfff
	v_mul_f32_e32 v2, 0x4f7ffffe, v2
	v_cvt_u32_f32_e32 v2, v2
	s_delay_alu instid0(VALU_DEP_1) | instskip(NEXT) | instid1(VALU_DEP_1)
	v_mul_lo_u32 v3, s1, v2
	v_mul_hi_u32 v3, v2, v3
	s_delay_alu instid0(VALU_DEP_1) | instskip(NEXT) | instid1(VALU_DEP_1)
	v_add_nc_u32_e32 v2, v2, v3
	v_mul_hi_u32 v2, v0, v2
	s_delay_alu instid0(VALU_DEP_1) | instskip(SKIP_1) | instid1(VALU_DEP_2)
	v_mul_lo_u32 v3, v2, s7
	v_add_nc_u32_e32 v4, 1, v2
	v_sub_nc_u32_e32 v3, v0, v3
	s_delay_alu instid0(VALU_DEP_1) | instskip(SKIP_1) | instid1(VALU_DEP_2)
	v_subrev_nc_u32_e32 v5, s7, v3
	v_cmp_le_u32_e32 vcc_lo, s7, v3
	v_dual_cndmask_b32 v2, v2, v4 :: v_dual_cndmask_b32 v3, v3, v5
	s_delay_alu instid0(VALU_DEP_1) | instskip(NEXT) | instid1(VALU_DEP_2)
	v_add_nc_u32_e32 v4, 1, v2
	v_cmp_le_u32_e32 vcc_lo, s7, v3
	s_delay_alu instid0(VALU_DEP_2) | instskip(NEXT) | instid1(VALU_DEP_1)
	v_cndmask_b32_e32 v10, v2, v4, vcc_lo
	v_lshlrev_b64 v[2:3], 3, v[10:11]
	s_delay_alu instid0(VALU_DEP_1) | instskip(NEXT) | instid1(VALU_DEP_2)
	v_add_co_u32 v2, vcc_lo, s26, v2
	v_add_co_ci_u32_e32 v3, vcc_lo, s27, v3, vcc_lo
	global_load_b128 v[2:5], v[2:3], off
	s_waitcnt vmcnt(0)
	v_sub_co_u32 v8, vcc_lo, v2, s4
	v_subrev_co_ci_u32_e32 v9, vcc_lo, s5, v3, vcc_lo
	v_sub_co_u32 v16, vcc_lo, v4, s4
	v_subrev_co_ci_u32_e32 v17, vcc_lo, s5, v5, vcc_lo
	v_mov_b32_e32 v4, v11
	s_delay_alu instid0(VALU_DEP_3) | instskip(NEXT) | instid1(VALU_DEP_3)
	v_sub_co_u32 v12, vcc_lo, v16, v8
	v_sub_co_ci_u32_e32 v5, vcc_lo, v17, v9, vcc_lo
	s_delay_alu instid0(VALU_DEP_1) | instskip(SKIP_1) | instid1(SALU_CYCLE_1)
	v_cmp_ne_u64_e32 vcc_lo, 0, v[4:5]
                                        ; implicit-def: $vgpr3_vgpr4
	s_and_saveexec_b32 s0, vcc_lo
	s_xor_b32 s5, exec_lo, s0
	s_cbranch_execz .LBB89_172
; %bb.171:
	v_cvt_f32_ubyte0_e32 v3, 0
	s_sub_u32 s0, 0, s7
	s_subb_u32 s6, 0, 0
	s_delay_alu instid0(VALU_DEP_1) | instskip(NEXT) | instid1(VALU_DEP_1)
	v_fmamk_f32 v3, v3, 0x4f800000, v13
	v_rcp_f32_e32 v3, v3
	s_waitcnt_depctr 0xfff
	v_mul_f32_e32 v3, 0x5f7ffffc, v3
	s_delay_alu instid0(VALU_DEP_1) | instskip(NEXT) | instid1(VALU_DEP_1)
	v_mul_f32_e32 v4, 0x2f800000, v3
	v_trunc_f32_e32 v4, v4
	s_delay_alu instid0(VALU_DEP_1) | instskip(SKIP_1) | instid1(VALU_DEP_2)
	v_fmamk_f32 v3, v4, 0xcf800000, v3
	v_cvt_u32_f32_e32 v4, v4
	v_cvt_u32_f32_e32 v3, v3
	s_delay_alu instid0(VALU_DEP_2) | instskip(NEXT) | instid1(VALU_DEP_2)
	v_mul_lo_u32 v13, s0, v4
	v_mul_hi_u32 v14, s0, v3
	v_mul_lo_u32 v15, s6, v3
	s_delay_alu instid0(VALU_DEP_2) | instskip(SKIP_1) | instid1(VALU_DEP_2)
	v_add_nc_u32_e32 v13, v14, v13
	v_mul_lo_u32 v14, s0, v3
	v_add_nc_u32_e32 v13, v13, v15
	s_delay_alu instid0(VALU_DEP_2) | instskip(NEXT) | instid1(VALU_DEP_2)
	v_mul_hi_u32 v15, v3, v14
	v_mul_lo_u32 v19, v3, v13
	v_mul_hi_u32 v20, v3, v13
	v_mul_hi_u32 v21, v4, v14
	v_mul_lo_u32 v14, v4, v14
	v_mul_hi_u32 v22, v4, v13
	v_mul_lo_u32 v13, v4, v13
	v_add_co_u32 v15, vcc_lo, v15, v19
	v_add_co_ci_u32_e32 v19, vcc_lo, 0, v20, vcc_lo
	s_delay_alu instid0(VALU_DEP_2) | instskip(NEXT) | instid1(VALU_DEP_2)
	v_add_co_u32 v14, vcc_lo, v15, v14
	v_add_co_ci_u32_e32 v14, vcc_lo, v19, v21, vcc_lo
	v_add_co_ci_u32_e32 v15, vcc_lo, 0, v22, vcc_lo
	v_ashrrev_i32_e32 v21, 31, v5
	s_delay_alu instid0(VALU_DEP_3) | instskip(NEXT) | instid1(VALU_DEP_3)
	v_add_co_u32 v13, vcc_lo, v14, v13
	v_add_co_ci_u32_e32 v14, vcc_lo, 0, v15, vcc_lo
	s_delay_alu instid0(VALU_DEP_2) | instskip(NEXT) | instid1(VALU_DEP_2)
	v_add_co_u32 v3, vcc_lo, v3, v13
	v_add_co_ci_u32_e32 v4, vcc_lo, v4, v14, vcc_lo
	s_delay_alu instid0(VALU_DEP_2) | instskip(SKIP_1) | instid1(VALU_DEP_3)
	v_mul_hi_u32 v13, s0, v3
	v_mul_lo_u32 v15, s6, v3
	v_mul_lo_u32 v14, s0, v4
	s_delay_alu instid0(VALU_DEP_1) | instskip(SKIP_1) | instid1(VALU_DEP_2)
	v_add_nc_u32_e32 v13, v13, v14
	v_mul_lo_u32 v14, s0, v3
	v_add_nc_u32_e32 v13, v13, v15
	s_delay_alu instid0(VALU_DEP_2) | instskip(NEXT) | instid1(VALU_DEP_2)
	v_mul_hi_u32 v15, v3, v14
	v_mul_lo_u32 v19, v3, v13
	v_mul_hi_u32 v20, v3, v13
	v_mul_hi_u32 v22, v4, v14
	v_mul_lo_u32 v14, v4, v14
	v_mul_hi_u32 v23, v4, v13
	v_mul_lo_u32 v13, v4, v13
	v_add_co_u32 v15, vcc_lo, v15, v19
	v_add_co_ci_u32_e32 v19, vcc_lo, 0, v20, vcc_lo
	s_delay_alu instid0(VALU_DEP_2) | instskip(NEXT) | instid1(VALU_DEP_2)
	v_add_co_u32 v14, vcc_lo, v15, v14
	v_add_co_ci_u32_e32 v14, vcc_lo, v19, v22, vcc_lo
	v_add_co_ci_u32_e32 v15, vcc_lo, 0, v23, vcc_lo
	v_add_co_u32 v12, vcc_lo, v12, v21
	v_add_co_ci_u32_e32 v5, vcc_lo, v5, v21, vcc_lo
	s_delay_alu instid0(VALU_DEP_4) | instskip(NEXT) | instid1(VALU_DEP_4)
	v_add_co_u32 v13, vcc_lo, v14, v13
	v_add_co_ci_u32_e32 v14, vcc_lo, 0, v15, vcc_lo
	s_delay_alu instid0(VALU_DEP_4) | instskip(NEXT) | instid1(VALU_DEP_3)
	v_xor_b32_e32 v19, v12, v21
	v_add_co_u32 v15, vcc_lo, v3, v13
	s_delay_alu instid0(VALU_DEP_3) | instskip(SKIP_1) | instid1(VALU_DEP_3)
	v_add_co_ci_u32_e32 v20, vcc_lo, v4, v14, vcc_lo
	v_xor_b32_e32 v5, v5, v21
	v_mul_hi_u32 v22, v19, v15
	s_delay_alu instid0(VALU_DEP_3) | instskip(NEXT) | instid1(VALU_DEP_3)
	v_mad_u64_u32 v[3:4], null, v19, v20, 0
	v_mad_u64_u32 v[12:13], null, v5, v15, 0
	;; [unrolled: 1-line block ×3, first 2 shown]
	s_delay_alu instid0(VALU_DEP_3) | instskip(NEXT) | instid1(VALU_DEP_4)
	v_add_co_u32 v3, vcc_lo, v22, v3
	v_add_co_ci_u32_e32 v4, vcc_lo, 0, v4, vcc_lo
	s_delay_alu instid0(VALU_DEP_2) | instskip(NEXT) | instid1(VALU_DEP_2)
	v_add_co_u32 v3, vcc_lo, v3, v12
	v_add_co_ci_u32_e32 v3, vcc_lo, v4, v13, vcc_lo
	v_add_co_ci_u32_e32 v4, vcc_lo, 0, v15, vcc_lo
	s_delay_alu instid0(VALU_DEP_2) | instskip(NEXT) | instid1(VALU_DEP_2)
	v_add_co_u32 v14, vcc_lo, v3, v14
	v_add_co_ci_u32_e32 v15, vcc_lo, 0, v4, vcc_lo
	s_delay_alu instid0(VALU_DEP_2) | instskip(NEXT) | instid1(VALU_DEP_1)
	v_mad_u64_u32 v[3:4], null, s7, v14, 0
	v_mad_u64_u32 v[12:13], null, s7, v15, v[4:5]
	s_delay_alu instid0(VALU_DEP_2) | instskip(NEXT) | instid1(VALU_DEP_2)
	v_sub_co_u32 v3, vcc_lo, v19, v3
	v_sub_co_ci_u32_e32 v4, vcc_lo, v5, v12, vcc_lo
	s_delay_alu instid0(VALU_DEP_2) | instskip(NEXT) | instid1(VALU_DEP_2)
	v_sub_co_u32 v5, vcc_lo, v3, s7
	v_subrev_co_ci_u32_e32 v12, vcc_lo, 0, v4, vcc_lo
	s_delay_alu instid0(VALU_DEP_2)
	v_cmp_le_u32_e32 vcc_lo, s7, v5
	v_cmp_eq_u32_e64 s0, 0, v4
	v_cndmask_b32_e64 v5, 0, -1, vcc_lo
	v_add_co_u32 v13, vcc_lo, v14, 2
	v_add_co_ci_u32_e32 v19, vcc_lo, 0, v15, vcc_lo
	v_cmp_le_u32_e32 vcc_lo, s7, v3
	v_cndmask_b32_e64 v3, 0, -1, vcc_lo
	v_cmp_eq_u32_e32 vcc_lo, 0, v12
	s_delay_alu instid0(VALU_DEP_2) | instskip(SKIP_3) | instid1(VALU_DEP_3)
	v_cndmask_b32_e64 v3, -1, v3, s0
	v_cndmask_b32_e32 v5, -1, v5, vcc_lo
	v_add_co_u32 v12, vcc_lo, v14, 1
	v_add_co_ci_u32_e32 v20, vcc_lo, 0, v15, vcc_lo
	v_cmp_ne_u32_e32 vcc_lo, 0, v5
	s_delay_alu instid0(VALU_DEP_2) | instskip(NEXT) | instid1(VALU_DEP_4)
	v_cndmask_b32_e32 v4, v20, v19, vcc_lo
	v_cndmask_b32_e32 v5, v12, v13, vcc_lo
	v_cmp_ne_u32_e32 vcc_lo, 0, v3
                                        ; implicit-def: $vgpr12
	s_delay_alu instid0(VALU_DEP_2) | instskip(NEXT) | instid1(VALU_DEP_1)
	v_dual_cndmask_b32 v3, v15, v4 :: v_dual_cndmask_b32 v4, v14, v5
	v_xor_b32_e32 v5, v3, v21
	s_delay_alu instid0(VALU_DEP_2) | instskip(NEXT) | instid1(VALU_DEP_1)
	v_xor_b32_e32 v4, v4, v21
	v_sub_co_u32 v3, vcc_lo, v4, v21
	s_delay_alu instid0(VALU_DEP_3)
	v_sub_co_ci_u32_e32 v4, vcc_lo, v5, v21, vcc_lo
.LBB89_172:
	s_and_not1_saveexec_b32 s0, s5
	s_cbranch_execz .LBB89_174
; %bb.173:
	v_cvt_f32_u32_e32 v3, s7
	s_delay_alu instid0(VALU_DEP_1) | instskip(SKIP_2) | instid1(VALU_DEP_1)
	v_rcp_iflag_f32_e32 v3, v3
	s_waitcnt_depctr 0xfff
	v_mul_f32_e32 v3, 0x4f7ffffe, v3
	v_cvt_u32_f32_e32 v3, v3
	s_delay_alu instid0(VALU_DEP_1) | instskip(NEXT) | instid1(VALU_DEP_1)
	v_mul_lo_u32 v4, s1, v3
	v_mul_hi_u32 v4, v3, v4
	s_delay_alu instid0(VALU_DEP_1) | instskip(NEXT) | instid1(VALU_DEP_1)
	v_add_nc_u32_e32 v3, v3, v4
	v_mul_hi_u32 v3, v12, v3
	s_delay_alu instid0(VALU_DEP_1) | instskip(SKIP_1) | instid1(VALU_DEP_2)
	v_mul_lo_u32 v4, v3, s7
	v_add_nc_u32_e32 v5, 1, v3
	v_sub_nc_u32_e32 v4, v12, v4
	s_delay_alu instid0(VALU_DEP_1) | instskip(SKIP_1) | instid1(VALU_DEP_2)
	v_subrev_nc_u32_e32 v12, s7, v4
	v_cmp_le_u32_e32 vcc_lo, s7, v4
	v_dual_cndmask_b32 v4, v4, v12 :: v_dual_cndmask_b32 v3, v3, v5
	s_delay_alu instid0(VALU_DEP_1) | instskip(NEXT) | instid1(VALU_DEP_2)
	v_cmp_le_u32_e32 vcc_lo, s7, v4
	v_dual_mov_b32 v4, 0 :: v_dual_add_nc_u32 v5, 1, v3
	s_delay_alu instid0(VALU_DEP_1)
	v_cndmask_b32_e32 v3, v3, v5, vcc_lo
.LBB89_174:
	s_or_b32 exec_lo, exec_lo, s0
	v_cmp_gt_i64_e32 vcc_lo, s[22:23], v[10:11]
	v_dual_mov_b32 v11, 0 :: v_dual_mov_b32 v10, 0
	s_and_saveexec_b32 s5, vcc_lo
	s_cbranch_execz .LBB89_188
; %bb.175:
	s_add_i32 s0, s7, -1
	v_mov_b32_e32 v10, 0
	v_dual_mov_b32 v11, 0 :: v_dual_and_b32 v12, s0, v0
	s_mov_b32 s6, exec_lo
	v_cmpx_lt_i64_e32 0, v[3:4]
	s_cbranch_execz .LBB89_185
; %bb.176:
	v_dual_mov_b32 v10, 0 :: v_dual_mov_b32 v13, 0
	v_dual_mov_b32 v14, 0 :: v_dual_mov_b32 v11, 0
	s_mov_b32 s8, exec_lo
	v_cmpx_lt_u64_e32 3, v[3:4]
	s_cbranch_execz .LBB89_180
; %bb.177:
	v_dual_mov_b32 v11, 0 :: v_dual_and_b32 v14, 0x7fffffff, v4
	v_add_nc_u32_e32 v5, v12, v2
	v_and_b32_e32 v13, -4, v3
	s_lshl_b32 s9, s7, 5
	s_delay_alu instid0(VALU_DEP_3) | instskip(SKIP_4) | instid1(VALU_DEP_1)
	v_mov_b32_e32 v10, v11
	s_lshl_b32 s11, s7, 3
	v_subrev_nc_u32_e32 v5, s4, v5
	s_mov_b32 s10, 0
	s_mov_b64 s[0:1], 0
	v_lshlrev_b32_e32 v5, 3, v5
	.p2align	6
.LBB89_178:                             ; =>This Inner Loop Header: Depth=1
	ds_load_b64 v[19:20], v5
	v_add_nc_u32_e32 v15, s11, v5
	s_add_u32 s0, s0, 4
	s_addc_u32 s1, s1, 0
	v_add_nc_u32_e32 v5, s9, v5
	v_cmp_eq_u64_e32 vcc_lo, s[0:1], v[13:14]
	s_or_b32 s10, vcc_lo, s10
	s_waitcnt lgkmcnt(0)
	v_add_f32_e32 v10, v10, v19
	v_add_nc_u32_e32 v25, s11, v15
	ds_load_b64 v[21:22], v15
	ds_load_b64 v[23:24], v25
	s_waitcnt lgkmcnt(1)
	v_add_f32_e32 v10, v10, v21
	s_waitcnt lgkmcnt(0)
	s_delay_alu instid0(VALU_DEP_1) | instskip(SKIP_3) | instid1(VALU_DEP_1)
	v_dual_add_f32 v10, v10, v23 :: v_dual_add_nc_u32 v15, s11, v25
	ds_load_b64 v[25:26], v15
	s_waitcnt lgkmcnt(0)
	v_dual_add_f32 v11, v11, v20 :: v_dual_add_f32 v10, v10, v25
	v_add_f32_e32 v11, v11, v22
	s_delay_alu instid0(VALU_DEP_1) | instskip(NEXT) | instid1(VALU_DEP_1)
	v_add_f32_e32 v11, v11, v24
	v_add_f32_e32 v11, v11, v26
	s_and_not1_b32 exec_lo, exec_lo, s10
	s_cbranch_execnz .LBB89_178
; %bb.179:
	s_or_b32 exec_lo, exec_lo, s10
.LBB89_180:
	s_delay_alu instid0(SALU_CYCLE_1) | instskip(SKIP_2) | instid1(VALU_DEP_1)
	s_or_b32 exec_lo, exec_lo, s8
	v_dual_mov_b32 v15, 0 :: v_dual_and_b32 v14, 3, v3
	s_mov_b32 s0, exec_lo
	v_cmpx_ne_u64_e32 0, v[14:15]
	s_cbranch_execz .LBB89_184
; %bb.181:
	v_mul_lo_u32 v5, s7, v13
	s_mov_b32 s1, 0
	s_delay_alu instid0(VALU_DEP_1) | instskip(NEXT) | instid1(VALU_DEP_1)
	v_add3_u32 v2, v12, v5, v2
	v_subrev_nc_u32_e32 v2, s4, v2
	s_lshl_b32 s4, s7, 3
	s_delay_alu instid0(VALU_DEP_1)
	v_lshlrev_b32_e32 v2, 3, v2
.LBB89_182:                             ; =>This Inner Loop Header: Depth=1
	ds_load_b64 v[19:20], v2
	v_add_co_u32 v14, vcc_lo, v14, -1
	v_add_co_ci_u32_e32 v15, vcc_lo, -1, v15, vcc_lo
	v_add_nc_u32_e32 v2, s4, v2
	s_delay_alu instid0(VALU_DEP_2)
	v_cmp_eq_u64_e32 vcc_lo, 0, v[14:15]
	s_or_b32 s1, vcc_lo, s1
	s_waitcnt lgkmcnt(0)
	v_dual_add_f32 v11, v11, v20 :: v_dual_add_f32 v10, v10, v19
	s_and_not1_b32 exec_lo, exec_lo, s1
	s_cbranch_execnz .LBB89_182
; %bb.183:
	s_or_b32 exec_lo, exec_lo, s1
.LBB89_184:
	s_delay_alu instid0(SALU_CYCLE_1)
	s_or_b32 exec_lo, exec_lo, s0
.LBB89_185:
	s_delay_alu instid0(SALU_CYCLE_1) | instskip(SKIP_3) | instid1(VALU_DEP_2)
	s_or_b32 exec_lo, exec_lo, s6
	v_mad_u64_u32 v[14:15], null, v3, s7, v[8:9]
	v_mov_b32_e32 v13, 0
	s_mov_b32 s0, exec_lo
	v_mov_b32_e32 v2, v15
	s_delay_alu instid0(VALU_DEP_1) | instskip(NEXT) | instid1(VALU_DEP_4)
	v_mad_u64_u32 v[8:9], null, v4, s7, v[2:3]
	v_sub_co_u32 v2, vcc_lo, v16, v14
	s_delay_alu instid0(VALU_DEP_2) | instskip(NEXT) | instid1(VALU_DEP_1)
	v_mov_b32_e32 v3, v8
	v_sub_co_ci_u32_e32 v3, vcc_lo, v17, v3, vcc_lo
	s_delay_alu instid0(VALU_DEP_1)
	v_cmpx_gt_i64_e64 v[2:3], v[12:13]
	s_cbranch_execz .LBB89_187
; %bb.186:
	v_add_lshl_u32 v2, v12, v14, 3
	ds_load_b64 v[2:3], v2
	s_waitcnt lgkmcnt(0)
	v_dual_add_f32 v10, v10, v2 :: v_dual_add_f32 v11, v11, v3
.LBB89_187:
	s_or_b32 exec_lo, exec_lo, s0
.LBB89_188:
	s_delay_alu instid0(SALU_CYCLE_1)
	s_or_b32 exec_lo, exec_lo, s5
	v_cmp_gt_i64_e32 vcc_lo, s[22:23], v[0:1]
	s_barrier
	buffer_gl0_inv
	ds_store_b64 v18, v[10:11]
	s_waitcnt lgkmcnt(0)
	s_barrier
	buffer_gl0_inv
	s_and_b32 exec_lo, exec_lo, vcc_lo
	s_cbranch_execz .LBB89_200
; %bb.189:
	v_mul_lo_u32 v1, s7, v0
	v_mov_b32_e32 v5, 0
	s_cmp_lt_u32 s7, 8
	s_cbranch_scc1 .LBB89_192
; %bb.190:
	s_delay_alu instid0(VALU_DEP_2)
	v_dual_mov_b32 v5, 0 :: v_dual_lshlrev_b32 v2, 3, v1
	v_mov_b32_e32 v8, 0
	s_and_b32 s0, s7, 0x7ffffff8
	s_mov_b32 s1, 0
	.p2align	6
.LBB89_191:                             ; =>This Inner Loop Header: Depth=1
	ds_load_2addr_b64 v[9:12], v2 offset1:1
	ds_load_2addr_b64 v[13:16], v2 offset0:2 offset1:3
	ds_load_2addr_b64 v[17:20], v2 offset0:4 offset1:5
	s_add_i32 s1, s1, 8
	s_delay_alu instid0(SALU_CYCLE_1) | instskip(SKIP_2) | instid1(VALU_DEP_1)
	s_cmp_eq_u32 s0, s1
	s_waitcnt lgkmcnt(2)
	v_dual_add_f32 v3, v5, v9 :: v_dual_add_f32 v4, v8, v10
	v_dual_add_f32 v3, v3, v11 :: v_dual_add_f32 v4, v4, v12
	ds_load_2addr_b64 v[8:11], v2 offset0:6 offset1:7
	s_waitcnt lgkmcnt(2)
	v_dual_add_f32 v3, v3, v13 :: v_dual_add_nc_u32 v2, 64, v2
	s_delay_alu instid0(VALU_DEP_1) | instskip(SKIP_1) | instid1(VALU_DEP_1)
	v_dual_add_f32 v4, v4, v14 :: v_dual_add_f32 v3, v3, v15
	s_waitcnt lgkmcnt(1)
	v_dual_add_f32 v4, v4, v16 :: v_dual_add_f32 v3, v3, v17
	s_delay_alu instid0(VALU_DEP_1) | instskip(NEXT) | instid1(VALU_DEP_1)
	v_dual_add_f32 v4, v4, v18 :: v_dual_add_f32 v3, v3, v19
	v_add_f32_e32 v4, v4, v20
	s_waitcnt lgkmcnt(0)
	s_delay_alu instid0(VALU_DEP_1) | instskip(NEXT) | instid1(VALU_DEP_1)
	v_dual_add_f32 v3, v3, v8 :: v_dual_add_f32 v4, v4, v9
	v_dual_add_f32 v5, v3, v10 :: v_dual_add_f32 v8, v4, v11
	s_cbranch_scc0 .LBB89_191
	s_branch .LBB89_193
.LBB89_192:
	v_mov_b32_e32 v8, 0
	s_mov_b32 s0, 0
.LBB89_193:
	s_bfe_u32 s1, s3, 0x30001
	s_delay_alu instid0(SALU_CYCLE_1)
	s_cmp_eq_u32 s1, 0
	s_cbranch_scc1 .LBB89_196
; %bb.194:
	v_add_lshl_u32 v1, s0, v1, 3
.LBB89_195:                             ; =>This Inner Loop Header: Depth=1
	ds_load_b64 v[2:3], v1
	v_add_nc_u32_e32 v1, 8, v1
	s_add_i32 s1, s1, -1
	s_delay_alu instid0(SALU_CYCLE_1)
	s_cmp_lg_u32 s1, 0
	s_waitcnt lgkmcnt(0)
	v_dual_add_f32 v8, v8, v3 :: v_dual_add_f32 v5, v5, v2
	s_cbranch_scc1 .LBB89_195
.LBB89_196:
	v_lshlrev_b64 v[1:2], 3, v[6:7]
	v_lshlrev_b32_e32 v0, 3, v0
	s_lshl_b32 s0, s2, 3
	s_delay_alu instid0(VALU_DEP_1) | instid1(SALU_CYCLE_1)
	v_add3_u32 v0, 0x2000, s0, v0
	s_delay_alu instid0(VALU_DEP_3) | instskip(NEXT) | instid1(VALU_DEP_4)
	v_add_co_u32 v1, vcc_lo, s20, v1
	v_add_co_ci_u32_e32 v2, vcc_lo, s21, v2, vcc_lo
	ds_load_2addr_b32 v[3:4], v0 offset1:1
	s_mov_b32 s0, 0
	global_load_b32 v6, v[1:2], off
	s_waitcnt lgkmcnt(0)
	v_add_f32_e32 v0, v5, v3
.LBB89_197:                             ; =>This Inner Loop Header: Depth=1
	s_waitcnt vmcnt(0)
	s_delay_alu instid0(VALU_DEP_1)
	v_add_f32_e32 v5, v6, v0
	global_atomic_cmpswap_b32 v3, v[1:2], v[5:6], off glc
	s_waitcnt vmcnt(0)
	v_cmp_eq_u32_e32 vcc_lo, v3, v6
	v_mov_b32_e32 v6, v3
	s_or_b32 s0, vcc_lo, s0
	s_delay_alu instid0(SALU_CYCLE_1)
	s_and_not1_b32 exec_lo, exec_lo, s0
	s_cbranch_execnz .LBB89_197
; %bb.198:
	s_or_b32 exec_lo, exec_lo, s0
	global_load_b32 v5, v[1:2], off offset:4
	v_add_f32_e32 v0, v8, v4
	s_mov_b32 s0, 0
.LBB89_199:                             ; =>This Inner Loop Header: Depth=1
	s_waitcnt vmcnt(0)
	s_delay_alu instid0(VALU_DEP_1)
	v_add_f32_e32 v4, v5, v0
	global_atomic_cmpswap_b32 v3, v[1:2], v[4:5], off offset:4 glc
	s_waitcnt vmcnt(0)
	v_cmp_eq_u32_e32 vcc_lo, v3, v5
	v_mov_b32_e32 v5, v3
	s_or_b32 s0, vcc_lo, s0
	s_delay_alu instid0(SALU_CYCLE_1)
	s_and_not1_b32 exec_lo, exec_lo, s0
	s_cbranch_execnz .LBB89_199
.LBB89_200:
	s_endpgm
	.section	.rodata,"a",@progbits
	.p2align	6, 0x0
	.amdhsa_kernel _ZN9rocsparseL27csrmvn_symm_adaptive_kernelIllf21rocsparse_complex_numIfES2_S2_EEvbT_S3_PKS3_NS_24const_host_device_scalarIT4_EES5_PKT0_PKT1_PKT2_S8_PT3_21rocsparse_index_base_b
		.amdhsa_group_segment_fixed_size 8192
		.amdhsa_private_segment_fixed_size 0
		.amdhsa_kernarg_size 352
		.amdhsa_user_sgpr_count 15
		.amdhsa_user_sgpr_dispatch_ptr 0
		.amdhsa_user_sgpr_queue_ptr 0
		.amdhsa_user_sgpr_kernarg_segment_ptr 1
		.amdhsa_user_sgpr_dispatch_id 0
		.amdhsa_user_sgpr_private_segment_size 0
		.amdhsa_wavefront_size32 1
		.amdhsa_uses_dynamic_stack 0
		.amdhsa_enable_private_segment 0
		.amdhsa_system_sgpr_workgroup_id_x 1
		.amdhsa_system_sgpr_workgroup_id_y 0
		.amdhsa_system_sgpr_workgroup_id_z 0
		.amdhsa_system_sgpr_workgroup_info 0
		.amdhsa_system_vgpr_workitem_id 0
		.amdhsa_next_free_vgpr 27
		.amdhsa_next_free_sgpr 41
		.amdhsa_reserve_vcc 1
		.amdhsa_float_round_mode_32 0
		.amdhsa_float_round_mode_16_64 0
		.amdhsa_float_denorm_mode_32 3
		.amdhsa_float_denorm_mode_16_64 3
		.amdhsa_dx10_clamp 1
		.amdhsa_ieee_mode 1
		.amdhsa_fp16_overflow 0
		.amdhsa_workgroup_processor_mode 1
		.amdhsa_memory_ordered 1
		.amdhsa_forward_progress 0
		.amdhsa_shared_vgpr_count 0
		.amdhsa_exception_fp_ieee_invalid_op 0
		.amdhsa_exception_fp_denorm_src 0
		.amdhsa_exception_fp_ieee_div_zero 0
		.amdhsa_exception_fp_ieee_overflow 0
		.amdhsa_exception_fp_ieee_underflow 0
		.amdhsa_exception_fp_ieee_inexact 0
		.amdhsa_exception_int_div_zero 0
	.end_amdhsa_kernel
	.section	.text._ZN9rocsparseL27csrmvn_symm_adaptive_kernelIllf21rocsparse_complex_numIfES2_S2_EEvbT_S3_PKS3_NS_24const_host_device_scalarIT4_EES5_PKT0_PKT1_PKT2_S8_PT3_21rocsparse_index_base_b,"axG",@progbits,_ZN9rocsparseL27csrmvn_symm_adaptive_kernelIllf21rocsparse_complex_numIfES2_S2_EEvbT_S3_PKS3_NS_24const_host_device_scalarIT4_EES5_PKT0_PKT1_PKT2_S8_PT3_21rocsparse_index_base_b,comdat
.Lfunc_end89:
	.size	_ZN9rocsparseL27csrmvn_symm_adaptive_kernelIllf21rocsparse_complex_numIfES2_S2_EEvbT_S3_PKS3_NS_24const_host_device_scalarIT4_EES5_PKT0_PKT1_PKT2_S8_PT3_21rocsparse_index_base_b, .Lfunc_end89-_ZN9rocsparseL27csrmvn_symm_adaptive_kernelIllf21rocsparse_complex_numIfES2_S2_EEvbT_S3_PKS3_NS_24const_host_device_scalarIT4_EES5_PKT0_PKT1_PKT2_S8_PT3_21rocsparse_index_base_b
                                        ; -- End function
	.section	.AMDGPU.csdata,"",@progbits
; Kernel info:
; codeLenInByte = 10848
; NumSgprs: 43
; NumVgprs: 27
; ScratchSize: 0
; MemoryBound: 0
; FloatMode: 240
; IeeeMode: 1
; LDSByteSize: 8192 bytes/workgroup (compile time only)
; SGPRBlocks: 5
; VGPRBlocks: 3
; NumSGPRsForWavesPerEU: 43
; NumVGPRsForWavesPerEU: 27
; Occupancy: 16
; WaveLimiterHint : 1
; COMPUTE_PGM_RSRC2:SCRATCH_EN: 0
; COMPUTE_PGM_RSRC2:USER_SGPR: 15
; COMPUTE_PGM_RSRC2:TRAP_HANDLER: 0
; COMPUTE_PGM_RSRC2:TGID_X_EN: 1
; COMPUTE_PGM_RSRC2:TGID_Y_EN: 0
; COMPUTE_PGM_RSRC2:TGID_Z_EN: 0
; COMPUTE_PGM_RSRC2:TIDIG_COMP_CNT: 0
	.section	.text._ZL33csrmvn_symm_large_adaptive_kernelIllf21rocsparse_complex_numIfES1_S1_EvbT_PKS2_N9rocsparse24const_host_device_scalarIT4_EES4_PKT0_PKT1_PKT2_S8_PT3_21rocsparse_index_base_b,"axG",@progbits,_ZL33csrmvn_symm_large_adaptive_kernelIllf21rocsparse_complex_numIfES1_S1_EvbT_PKS2_N9rocsparse24const_host_device_scalarIT4_EES4_PKT0_PKT1_PKT2_S8_PT3_21rocsparse_index_base_b,comdat
	.globl	_ZL33csrmvn_symm_large_adaptive_kernelIllf21rocsparse_complex_numIfES1_S1_EvbT_PKS2_N9rocsparse24const_host_device_scalarIT4_EES4_PKT0_PKT1_PKT2_S8_PT3_21rocsparse_index_base_b ; -- Begin function _ZL33csrmvn_symm_large_adaptive_kernelIllf21rocsparse_complex_numIfES1_S1_EvbT_PKS2_N9rocsparse24const_host_device_scalarIT4_EES4_PKT0_PKT1_PKT2_S8_PT3_21rocsparse_index_base_b
	.p2align	8
	.type	_ZL33csrmvn_symm_large_adaptive_kernelIllf21rocsparse_complex_numIfES1_S1_EvbT_PKS2_N9rocsparse24const_host_device_scalarIT4_EES4_PKT0_PKT1_PKT2_S8_PT3_21rocsparse_index_base_b,@function
_ZL33csrmvn_symm_large_adaptive_kernelIllf21rocsparse_complex_numIfES1_S1_EvbT_PKS2_N9rocsparse24const_host_device_scalarIT4_EES4_PKT0_PKT1_PKT2_S8_PT3_21rocsparse_index_base_b: ; @_ZL33csrmvn_symm_large_adaptive_kernelIllf21rocsparse_complex_numIfES1_S1_EvbT_PKS2_N9rocsparse24const_host_device_scalarIT4_EES4_PKT0_PKT1_PKT2_S8_PT3_21rocsparse_index_base_b
; %bb.0:
	s_clause 0x2
	s_load_b64 s[6:7], s[0:1], 0x50
	s_load_b64 s[8:9], s[0:1], 0x18
	;; [unrolled: 1-line block ×3, first 2 shown]
	s_mov_b32 s4, s15
	s_waitcnt lgkmcnt(0)
	s_bitcmp1_b32 s7, 0
	v_mov_b32_e32 v8, s8
	s_cselect_b32 s5, -1, 0
	s_delay_alu instid0(SALU_CYCLE_1)
	s_and_b32 vcc_lo, exec_lo, s5
	s_xor_b32 s5, s5, -1
	s_cbranch_vccz .LBB90_10
; %bb.1:
	v_cndmask_b32_e64 v2, 0, 1, s5
	v_mov_b32_e32 v9, s9
	s_and_not1_b32 vcc_lo, exec_lo, s5
	s_cbranch_vccz .LBB90_11
.LBB90_2:
	s_delay_alu instid0(VALU_DEP_2)
	v_cmp_ne_u32_e32 vcc_lo, 1, v2
	v_mov_b32_e32 v1, s2
	s_cbranch_vccz .LBB90_12
.LBB90_3:
	v_cmp_ne_u32_e32 vcc_lo, 1, v2
	v_mov_b32_e32 v2, s3
	s_cbranch_vccnz .LBB90_5
.LBB90_4:
	v_dual_mov_b32 v2, s2 :: v_dual_mov_b32 v3, s3
	flat_load_b32 v2, v[2:3] offset:4
.LBB90_5:
	s_waitcnt vmcnt(0) lgkmcnt(0)
	v_cmp_eq_f32_e32 vcc_lo, 0, v8
	v_cmp_eq_f32_e64 s2, 0, v9
	s_delay_alu instid0(VALU_DEP_1)
	s_and_b32 s5, vcc_lo, s2
	s_mov_b32 s2, -1
	s_and_saveexec_b32 s3, s5
; %bb.6:
	v_and_b32_e32 v2, 0x7fffffff, v2
	v_cmp_neq_f32_e32 vcc_lo, 1.0, v1
	s_delay_alu instid0(VALU_DEP_2) | instskip(NEXT) | instid1(VALU_DEP_1)
	v_cmp_ne_u32_e64 s2, 0, v2
	s_or_b32 s2, vcc_lo, s2
	s_delay_alu instid0(SALU_CYCLE_1)
	s_or_not1_b32 s2, s2, exec_lo
; %bb.7:
	s_or_b32 exec_lo, exec_lo, s3
	s_and_saveexec_b32 s3, s2
	s_cbranch_execz .LBB90_55
; %bb.8:
	s_load_b64 s[8:9], s[0:1], 0x10
	s_mov_b32 s2, 0
	s_ashr_i32 s5, s4, 31
	s_mov_b32 s3, s2
	v_dual_mov_b32 v1, s2 :: v_dual_lshlrev_b32 v10, 3, v0
	v_mov_b32_e32 v2, s3
	s_lshl_b64 s[4:5], s[4:5], 3
	ds_store_2addr_stride64_b64 v10, v[1:2], v[1:2] offset1:4
	ds_store_2addr_stride64_b64 v10, v[1:2], v[1:2] offset0:8 offset1:12
	s_waitcnt lgkmcnt(0)
	s_barrier
	buffer_gl0_inv
	s_add_u32 s4, s8, s4
	s_addc_u32 s5, s9, s5
	s_load_b128 s[16:19], s[4:5], 0x0
	s_clause 0x1
	s_load_b256 s[8:15], s[0:1], 0x20
	s_load_b64 s[20:21], s[0:1], 0x48
	v_sub_co_u32 v11, s1, v0, s6
	s_delay_alu instid0(VALU_DEP_1) | instskip(SKIP_2) | instid1(VALU_DEP_1)
	v_sub_co_ci_u32_e64 v12, null, 0, 0, s1
	s_waitcnt lgkmcnt(0)
	v_cmp_lt_i64_e64 s0, s[16:17], s[18:19]
	s_and_b32 vcc_lo, exec_lo, s0
	s_cbranch_vccnz .LBB90_13
; %bb.9:
	s_lshl_b64 s[0:1], s[16:17], 3
	s_delay_alu instid0(SALU_CYCLE_1)
	s_add_u32 s0, s8, s0
	s_addc_u32 s1, s9, s1
	s_load_b64 s[22:23], s[0:1], 0x0
	s_and_not1_b32 vcc_lo, exec_lo, s2
	s_cbranch_vccz .LBB90_14
	s_branch .LBB90_43
.LBB90_10:
	v_dual_mov_b32 v1, s8 :: v_dual_mov_b32 v2, s9
	flat_load_b32 v8, v[1:2]
	v_cndmask_b32_e64 v2, 0, 1, s5
	v_mov_b32_e32 v9, s9
	s_and_not1_b32 vcc_lo, exec_lo, s5
	s_cbranch_vccnz .LBB90_2
.LBB90_11:
	v_dual_mov_b32 v3, s8 :: v_dual_mov_b32 v4, s9
	flat_load_b32 v9, v[3:4] offset:4
	v_cmp_ne_u32_e32 vcc_lo, 1, v2
	v_mov_b32_e32 v1, s2
	s_cbranch_vccnz .LBB90_3
.LBB90_12:
	v_dual_mov_b32 v4, s3 :: v_dual_mov_b32 v3, s2
	flat_load_b32 v1, v[3:4]
	v_cmp_ne_u32_e32 vcc_lo, 1, v2
	v_mov_b32_e32 v2, s3
	s_cbranch_vccz .LBB90_4
	s_branch .LBB90_5
.LBB90_13:
                                        ; implicit-def: $sgpr22_sgpr23
.LBB90_14:
	s_lshl_b64 s[0:1], s[16:17], 3
	v_cmp_gt_u32_e64 s2, 16, v0
	s_add_u32 s0, s8, s0
	s_addc_u32 s1, s9, s1
	v_cmp_gt_u32_e64 s3, 4, v0
	s_waitcnt lgkmcnt(0)
	s_load_b64 s[22:23], s[0:1], 0x0
	v_cmp_gt_u32_e64 s0, 0x100, v0
	v_cmp_gt_u32_e64 s1, 64, v0
	v_cmp_eq_u32_e64 s4, 0, v0
	v_mov_b32_e32 v13, 0
	s_add_u32 s7, s8, 8
	s_addc_u32 s33, s9, 0
	s_mov_b64 s[24:25], s[16:17]
	s_waitcnt lgkmcnt(0)
	s_mov_b64 s[26:27], s[22:23]
	s_branch .LBB90_16
.LBB90_15:                              ;   in Loop: Header=BB90_16 Depth=1
	s_or_b32 exec_lo, exec_lo, s5
	s_add_u32 s24, s24, 1
	s_addc_u32 s25, s25, 0
	s_delay_alu instid0(SALU_CYCLE_1) | instskip(NEXT) | instid1(VALU_DEP_1)
	v_cmp_ge_i64_e64 s5, s[24:25], s[18:19]
	s_and_b32 vcc_lo, exec_lo, s5
	s_cbranch_vccnz .LBB90_43
.LBB90_16:                              ; =>This Loop Header: Depth=1
                                        ;     Child Loop BB90_18 Depth 2
                                        ;     Child Loop BB90_32 Depth 2
	;; [unrolled: 1-line block ×5, first 2 shown]
	s_lshl_b64 s[28:29], s[24:25], 3
	s_mov_b64 s[34:35], s[26:27]
	s_add_u32 s30, s7, s28
	s_addc_u32 s31, s33, s29
	v_add_co_u32 v0, vcc_lo, s34, v11
	s_load_b64 s[26:27], s[30:31], 0x0
	v_add_co_ci_u32_e32 v1, vcc_lo, s35, v12, vcc_lo
	v_dual_mov_b32 v3, 0 :: v_dual_mov_b32 v2, 0
	s_mov_b32 s34, exec_lo
	s_waitcnt lgkmcnt(0)
	s_sub_u32 s30, s26, s6
	s_subb_u32 s31, s27, 0
	s_delay_alu instid0(SALU_CYCLE_1)
	v_cmpx_gt_i64_e64 s[30:31], v[0:1]
	s_cbranch_execz .LBB90_20
; %bb.17:                               ;   in Loop: Header=BB90_16 Depth=1
	v_lshlrev_b64 v[4:5], 3, v[0:1]
	v_lshlrev_b64 v[6:7], 2, v[0:1]
	v_mov_b32_e32 v3, 0
	s_mov_b32 s35, 0
	s_delay_alu instid0(VALU_DEP_3) | instskip(NEXT) | instid1(VALU_DEP_4)
	v_add_co_u32 v4, vcc_lo, s10, v4
	v_add_co_ci_u32_e32 v5, vcc_lo, s11, v5, vcc_lo
	s_delay_alu instid0(VALU_DEP_4)
	v_add_co_u32 v6, vcc_lo, s12, v6
	v_add_co_ci_u32_e32 v7, vcc_lo, s13, v7, vcc_lo
	v_mov_b32_e32 v2, v3
	s_set_inst_prefetch_distance 0x1
	.p2align	6
.LBB90_18:                              ;   Parent Loop BB90_16 Depth=1
                                        ; =>  This Inner Loop Header: Depth=2
	global_load_b64 v[14:15], v[4:5], off
	s_waitcnt vmcnt(0)
	v_sub_co_u32 v14, vcc_lo, v14, s6
	v_subrev_co_ci_u32_e32 v15, vcc_lo, 0, v15, vcc_lo
	s_delay_alu instid0(VALU_DEP_1) | instskip(NEXT) | instid1(VALU_DEP_1)
	v_lshlrev_b64 v[14:15], 3, v[14:15]
	v_add_co_u32 v14, vcc_lo, s14, v14
	s_delay_alu instid0(VALU_DEP_2)
	v_add_co_ci_u32_e32 v15, vcc_lo, s15, v15, vcc_lo
	v_add_co_u32 v0, vcc_lo, 0x100, v0
	global_load_b32 v16, v[6:7], off
	global_load_b64 v[14:15], v[14:15], off
	v_add_co_ci_u32_e32 v1, vcc_lo, 0, v1, vcc_lo
	v_add_co_u32 v4, vcc_lo, 0x800, v4
	v_add_co_ci_u32_e32 v5, vcc_lo, 0, v5, vcc_lo
	s_delay_alu instid0(VALU_DEP_3) | instskip(SKIP_2) | instid1(VALU_DEP_3)
	v_cmp_le_i64_e64 s5, s[30:31], v[0:1]
	v_add_co_u32 v6, vcc_lo, 0x400, v6
	v_add_co_ci_u32_e32 v7, vcc_lo, 0, v7, vcc_lo
	s_or_b32 s35, s5, s35
	s_waitcnt vmcnt(0)
	v_fmac_f32_e32 v2, v16, v14
	s_delay_alu instid0(VALU_DEP_1) | instskip(NEXT) | instid1(VALU_DEP_1)
	v_dual_fmac_f32 v3, 0, v14 :: v_dual_fmac_f32 v2, 0x80000000, v15
	v_fmac_f32_e32 v3, v16, v15
	s_and_not1_b32 exec_lo, exec_lo, s35
	s_cbranch_execnz .LBB90_18
; %bb.19:                               ;   in Loop: Header=BB90_16 Depth=1
	s_set_inst_prefetch_distance 0x2
	s_or_b32 exec_lo, exec_lo, s35
.LBB90_20:                              ;   in Loop: Header=BB90_16 Depth=1
	s_delay_alu instid0(SALU_CYCLE_1)
	s_or_b32 exec_lo, exec_lo, s34
	ds_store_b64 v10, v[2:3]
	s_waitcnt lgkmcnt(0)
	s_barrier
	buffer_gl0_inv
	s_and_saveexec_b32 s5, s0
	s_cbranch_execz .LBB90_22
; %bb.21:                               ;   in Loop: Header=BB90_16 Depth=1
	ds_load_2addr_stride64_b64 v[0:3], v10 offset1:4
	ds_load_2addr_stride64_b64 v[4:7], v10 offset0:8 offset1:12
	s_waitcnt lgkmcnt(0)
	v_dual_add_f32 v2, v4, v2 :: v_dual_add_f32 v3, v5, v3
	s_delay_alu instid0(VALU_DEP_1) | instskip(NEXT) | instid1(VALU_DEP_1)
	v_dual_add_f32 v2, v2, v6 :: v_dual_add_f32 v3, v3, v7
	v_dual_add_f32 v0, v2, v0 :: v_dual_add_f32 v1, v3, v1
	ds_store_b64 v10, v[0:1]
.LBB90_22:                              ;   in Loop: Header=BB90_16 Depth=1
	s_or_b32 exec_lo, exec_lo, s5
	s_waitcnt lgkmcnt(0)
	s_barrier
	buffer_gl0_inv
	s_and_saveexec_b32 s5, s1
	s_cbranch_execz .LBB90_24
; %bb.23:                               ;   in Loop: Header=BB90_16 Depth=1
	ds_load_2addr_stride64_b64 v[0:3], v10 offset1:1
	ds_load_2addr_stride64_b64 v[4:7], v10 offset0:2 offset1:3
	s_waitcnt lgkmcnt(0)
	v_dual_add_f32 v2, v4, v2 :: v_dual_add_f32 v3, v5, v3
	s_delay_alu instid0(VALU_DEP_1) | instskip(NEXT) | instid1(VALU_DEP_1)
	v_dual_add_f32 v2, v2, v6 :: v_dual_add_f32 v3, v3, v7
	v_dual_add_f32 v0, v2, v0 :: v_dual_add_f32 v1, v3, v1
	ds_store_b64 v10, v[0:1]
.LBB90_24:                              ;   in Loop: Header=BB90_16 Depth=1
	s_or_b32 exec_lo, exec_lo, s5
	s_waitcnt lgkmcnt(0)
	s_barrier
	buffer_gl0_inv
	s_and_saveexec_b32 s5, s2
	s_cbranch_execz .LBB90_26
; %bb.25:                               ;   in Loop: Header=BB90_16 Depth=1
	ds_load_2addr_b64 v[0:3], v10 offset1:16
	ds_load_2addr_b64 v[4:7], v10 offset0:32 offset1:48
	s_waitcnt lgkmcnt(0)
	v_dual_add_f32 v2, v4, v2 :: v_dual_add_f32 v3, v5, v3
	s_delay_alu instid0(VALU_DEP_1) | instskip(NEXT) | instid1(VALU_DEP_1)
	v_dual_add_f32 v2, v2, v6 :: v_dual_add_f32 v3, v3, v7
	v_dual_add_f32 v0, v2, v0 :: v_dual_add_f32 v1, v3, v1
	ds_store_b64 v10, v[0:1]
.LBB90_26:                              ;   in Loop: Header=BB90_16 Depth=1
	s_or_b32 exec_lo, exec_lo, s5
	s_waitcnt lgkmcnt(0)
	s_barrier
	buffer_gl0_inv
	s_and_saveexec_b32 s5, s3
	s_cbranch_execz .LBB90_28
; %bb.27:                               ;   in Loop: Header=BB90_16 Depth=1
	ds_load_2addr_b64 v[0:3], v10 offset1:4
	ds_load_2addr_b64 v[4:7], v10 offset0:8 offset1:12
	s_waitcnt lgkmcnt(0)
	v_dual_add_f32 v2, v4, v2 :: v_dual_add_f32 v3, v5, v3
	s_delay_alu instid0(VALU_DEP_1) | instskip(NEXT) | instid1(VALU_DEP_1)
	v_dual_add_f32 v2, v2, v6 :: v_dual_add_f32 v3, v3, v7
	v_dual_add_f32 v0, v2, v0 :: v_dual_add_f32 v1, v3, v1
	ds_store_b64 v10, v[0:1]
.LBB90_28:                              ;   in Loop: Header=BB90_16 Depth=1
	s_or_b32 exec_lo, exec_lo, s5
	s_waitcnt lgkmcnt(0)
	s_barrier
	buffer_gl0_inv
	s_and_saveexec_b32 s5, s4
	s_cbranch_execz .LBB90_30
; %bb.29:                               ;   in Loop: Header=BB90_16 Depth=1
	ds_load_b128 v[0:3], v13 offset:16
	ds_load_b64 v[4:5], v13 offset:8
	ds_load_b64 v[6:7], v10
	s_waitcnt lgkmcnt(1)
	v_dual_add_f32 v0, v0, v4 :: v_dual_add_f32 v1, v1, v5
	s_delay_alu instid0(VALU_DEP_1) | instskip(SKIP_1) | instid1(VALU_DEP_1)
	v_dual_add_f32 v0, v0, v2 :: v_dual_add_f32 v1, v1, v3
	s_waitcnt lgkmcnt(0)
	v_dual_add_f32 v0, v0, v6 :: v_dual_add_f32 v1, v1, v7
	ds_store_b64 v10, v[0:1]
.LBB90_30:                              ;   in Loop: Header=BB90_16 Depth=1
	s_or_b32 exec_lo, exec_lo, s5
	s_waitcnt lgkmcnt(0)
	s_barrier
	buffer_gl0_inv
	s_and_saveexec_b32 s5, s4
	s_cbranch_execz .LBB90_15
; %bb.31:                               ;   in Loop: Header=BB90_16 Depth=1
	ds_load_b64 v[0:1], v13
	v_bfrev_b32_e32 v4, 1
	s_mov_b32 s30, exec_lo
	s_waitcnt lgkmcnt(0)
	v_mul_f32_e64 v2, v1, -v9
	s_delay_alu instid0(VALU_DEP_1)
	v_fmac_f32_e32 v2, v8, v0
.LBB90_32:                              ;   Parent Loop BB90_16 Depth=1
                                        ; =>  This Inner Loop Header: Depth=2
	s_ctz_i32_b32 s31, s30
	s_delay_alu instid0(VALU_DEP_1) | instid1(SALU_CYCLE_1)
	v_readlane_b32 s34, v2, s31
	s_lshl_b32 s31, 1, s31
	s_delay_alu instid0(SALU_CYCLE_1) | instskip(NEXT) | instid1(SALU_CYCLE_1)
	s_and_not1_b32 s30, s30, s31
	s_cmp_lg_u32 s30, 0
	s_delay_alu instid0(VALU_DEP_1)
	v_add_f32_e32 v4, s34, v4
	s_cbranch_scc1 .LBB90_32
; %bb.33:                               ;   in Loop: Header=BB90_16 Depth=1
	v_mbcnt_lo_u32_b32 v2, exec_lo, 0
	s_add_u32 s28, s20, s28
	s_addc_u32 s29, s21, s29
	s_mov_b32 s30, exec_lo
	s_delay_alu instid0(VALU_DEP_1)
	v_cmpx_eq_u32_e32 0, v2
	s_xor_b32 s30, exec_lo, s30
	s_cbranch_execz .LBB90_37
; %bb.34:                               ;   in Loop: Header=BB90_16 Depth=1
	global_load_b32 v3, v13, s[28:29]
	s_mov_b32 s31, 0
.LBB90_35:                              ;   Parent Loop BB90_16 Depth=1
                                        ; =>  This Inner Loop Header: Depth=2
	s_waitcnt vmcnt(0)
	v_add_f32_e32 v2, v3, v4
	global_atomic_cmpswap_b32 v2, v13, v[2:3], s[28:29] glc
	s_waitcnt vmcnt(0)
	v_cmp_eq_u32_e32 vcc_lo, v2, v3
	v_mov_b32_e32 v3, v2
	s_or_b32 s31, vcc_lo, s31
	s_delay_alu instid0(SALU_CYCLE_1)
	s_and_not1_b32 exec_lo, exec_lo, s31
	s_cbranch_execnz .LBB90_35
; %bb.36:                               ;   in Loop: Header=BB90_16 Depth=1
	s_or_b32 exec_lo, exec_lo, s31
.LBB90_37:                              ;   in Loop: Header=BB90_16 Depth=1
	s_delay_alu instid0(SALU_CYCLE_1) | instskip(SKIP_3) | instid1(VALU_DEP_2)
	s_or_b32 exec_lo, exec_lo, s30
	v_mul_f32_e32 v1, v1, v8
	v_bfrev_b32_e32 v2, 1
	s_mov_b32 s30, exec_lo
	v_fmac_f32_e32 v1, v9, v0
.LBB90_38:                              ;   Parent Loop BB90_16 Depth=1
                                        ; =>  This Inner Loop Header: Depth=2
	s_ctz_i32_b32 s31, s30
	s_delay_alu instid0(VALU_DEP_1) | instid1(SALU_CYCLE_1)
	v_readlane_b32 s34, v1, s31
	s_lshl_b32 s31, 1, s31
	s_delay_alu instid0(SALU_CYCLE_1) | instskip(NEXT) | instid1(SALU_CYCLE_1)
	s_and_not1_b32 s30, s30, s31
	s_cmp_lg_u32 s30, 0
	s_delay_alu instid0(VALU_DEP_1)
	v_add_f32_e32 v2, s34, v2
	s_cbranch_scc1 .LBB90_38
; %bb.39:                               ;   in Loop: Header=BB90_16 Depth=1
	v_mbcnt_lo_u32_b32 v0, exec_lo, 0
	s_mov_b32 s30, exec_lo
	s_delay_alu instid0(VALU_DEP_1)
	v_cmpx_eq_u32_e32 0, v0
	s_xor_b32 s30, exec_lo, s30
	s_cbranch_execz .LBB90_15
; %bb.40:                               ;   in Loop: Header=BB90_16 Depth=1
	global_load_b32 v1, v13, s[28:29] offset:4
	s_mov_b32 s30, 0
.LBB90_41:                              ;   Parent Loop BB90_16 Depth=1
                                        ; =>  This Inner Loop Header: Depth=2
	s_waitcnt vmcnt(0)
	v_add_f32_e32 v0, v1, v2
	global_atomic_cmpswap_b32 v0, v13, v[0:1], s[28:29] offset:4 glc
	s_waitcnt vmcnt(0)
	v_cmp_eq_u32_e32 vcc_lo, v0, v1
	v_mov_b32_e32 v1, v0
	s_or_b32 s30, vcc_lo, s30
	s_delay_alu instid0(SALU_CYCLE_1)
	s_and_not1_b32 exec_lo, exec_lo, s30
	s_cbranch_execnz .LBB90_41
; %bb.42:                               ;   in Loop: Header=BB90_16 Depth=1
	s_or_b32 exec_lo, exec_lo, s30
	s_branch .LBB90_15
.LBB90_43:
	s_lshl_b64 s[0:1], s[18:19], 3
	s_waitcnt lgkmcnt(0)
	v_add_co_u32 v0, vcc_lo, s22, v11
	s_add_u32 s0, s8, s0
	s_addc_u32 s1, s9, s1
	v_add_co_ci_u32_e32 v1, vcc_lo, s23, v12, vcc_lo
	s_load_b64 s[0:1], s[0:1], 0x0
	s_waitcnt lgkmcnt(0)
	s_sub_u32 s2, s0, s6
	s_subb_u32 s3, s1, 0
	s_delay_alu instid0(SALU_CYCLE_1)
	v_cmp_gt_i64_e32 vcc_lo, s[2:3], v[0:1]
	s_and_b32 exec_lo, exec_lo, vcc_lo
	s_cbranch_execz .LBB90_55
; %bb.44:
	s_add_u32 s4, s18, -1
	s_addc_u32 s5, s19, -1
	s_add_u32 s0, s18, -2
	v_cmp_gt_i64_e64 s7, s[4:5], s[16:17]
	s_addc_u32 s1, s19, -1
	v_dual_mul_f32 v10, 0x80000000, v9 :: v_dual_mul_f32 v11, 0, v8
	s_cmp_lg_u64 s[0:1], s[16:17]
	s_cselect_b32 s0, -1, 0
	s_delay_alu instid0(VALU_DEP_2) | instid1(SALU_CYCLE_1)
	s_and_b32 s1, s7, s0
	s_mov_b32 s7, 0
	s_branch .LBB90_46
.LBB90_45:                              ;   in Loop: Header=BB90_46 Depth=1
	s_or_b32 exec_lo, exec_lo, s0
	v_add_co_u32 v0, vcc_lo, 0x100, v0
	v_add_co_ci_u32_e32 v1, vcc_lo, 0, v1, vcc_lo
	s_delay_alu instid0(VALU_DEP_1) | instskip(SKIP_1) | instid1(SALU_CYCLE_1)
	v_cmp_le_i64_e32 vcc_lo, s[2:3], v[0:1]
	s_or_b32 s7, vcc_lo, s7
	s_and_not1_b32 exec_lo, exec_lo, s7
	s_cbranch_execz .LBB90_55
.LBB90_46:                              ; =>This Loop Header: Depth=1
                                        ;     Child Loop BB90_48 Depth 2
                                        ;     Child Loop BB90_52 Depth 2
	;; [unrolled: 1-line block ×3, first 2 shown]
	v_dual_mov_b32 v2, s16 :: v_dual_mov_b32 v3, s17
	v_dual_mov_b32 v4, s4 :: v_dual_mov_b32 v5, s5
	s_and_not1_b32 vcc_lo, exec_lo, s1
	s_cbranch_vccnz .LBB90_50
; %bb.47:                               ;   in Loop: Header=BB90_46 Depth=1
	v_dual_mov_b32 v2, s16 :: v_dual_mov_b32 v3, s17
	v_dual_mov_b32 v4, s4 :: v_dual_mov_b32 v5, s5
	s_mov_b32 s18, 0
	s_set_inst_prefetch_distance 0x1
	.p2align	6
.LBB90_48:                              ;   Parent Loop BB90_46 Depth=1
                                        ; =>  This Inner Loop Header: Depth=2
	s_delay_alu instid0(VALU_DEP_1) | instskip(NEXT) | instid1(VALU_DEP_2)
	v_add_co_u32 v6, vcc_lo, v4, v2
	v_add_co_ci_u32_e32 v7, vcc_lo, v5, v3, vcc_lo
	s_delay_alu instid0(VALU_DEP_1) | instskip(NEXT) | instid1(VALU_DEP_1)
	v_lshrrev_b32_e32 v12, 31, v7
	v_add_co_u32 v6, vcc_lo, v6, v12
	v_add_co_ci_u32_e32 v7, vcc_lo, 0, v7, vcc_lo
	s_delay_alu instid0(VALU_DEP_1) | instskip(NEXT) | instid1(VALU_DEP_1)
	v_ashrrev_i64 v[6:7], 1, v[6:7]
	v_lshlrev_b64 v[12:13], 3, v[6:7]
	s_delay_alu instid0(VALU_DEP_1) | instskip(NEXT) | instid1(VALU_DEP_2)
	v_add_co_u32 v12, vcc_lo, s8, v12
	v_add_co_ci_u32_e32 v13, vcc_lo, s9, v13, vcc_lo
	global_load_b64 v[12:13], v[12:13], off
	s_waitcnt vmcnt(0)
	v_sub_co_u32 v12, vcc_lo, v12, s6
	v_subrev_co_ci_u32_e32 v13, vcc_lo, 0, v13, vcc_lo
	s_delay_alu instid0(VALU_DEP_1) | instskip(SKIP_2) | instid1(VALU_DEP_2)
	v_cmp_gt_i64_e32 vcc_lo, v[12:13], v[0:1]
	v_dual_cndmask_b32 v5, v5, v7 :: v_dual_cndmask_b32 v4, v4, v6
	v_dual_cndmask_b32 v3, v7, v3 :: v_dual_cndmask_b32 v2, v6, v2
	v_add_co_u32 v6, vcc_lo, v4, -1
	s_delay_alu instid0(VALU_DEP_3) | instskip(NEXT) | instid1(VALU_DEP_3)
	v_add_co_ci_u32_e32 v7, vcc_lo, -1, v5, vcc_lo
	v_cmp_ge_i64_e32 vcc_lo, v[2:3], v[4:5]
	s_delay_alu instid0(VALU_DEP_2) | instskip(NEXT) | instid1(VALU_DEP_1)
	v_cmp_eq_u64_e64 s0, v[2:3], v[6:7]
	s_or_b32 s0, vcc_lo, s0
	s_delay_alu instid0(SALU_CYCLE_1) | instskip(NEXT) | instid1(SALU_CYCLE_1)
	s_and_b32 s0, exec_lo, s0
	s_or_b32 s18, s0, s18
	s_delay_alu instid0(SALU_CYCLE_1)
	s_and_not1_b32 exec_lo, exec_lo, s18
	s_cbranch_execnz .LBB90_48
; %bb.49:                               ;   in Loop: Header=BB90_46 Depth=1
	s_set_inst_prefetch_distance 0x2
	s_or_b32 exec_lo, exec_lo, s18
.LBB90_50:                              ;   in Loop: Header=BB90_46 Depth=1
	s_delay_alu instid0(VALU_DEP_1) | instskip(SKIP_2) | instid1(VALU_DEP_2)
	v_lshlrev_b64 v[6:7], 3, v[4:5]
	v_lshlrev_b64 v[12:13], 3, v[0:1]
	s_mov_b32 s0, exec_lo
	v_add_co_u32 v6, vcc_lo, s8, v6
	s_delay_alu instid0(VALU_DEP_3) | instskip(NEXT) | instid1(VALU_DEP_3)
	v_add_co_ci_u32_e32 v7, vcc_lo, s9, v7, vcc_lo
	v_add_co_u32 v12, vcc_lo, s10, v12
	s_delay_alu instid0(VALU_DEP_4)
	v_add_co_ci_u32_e32 v13, vcc_lo, s11, v13, vcc_lo
	global_load_b64 v[6:7], v[6:7], off
	global_load_b64 v[12:13], v[12:13], off
	s_waitcnt vmcnt(1)
	v_sub_co_u32 v6, vcc_lo, v6, s6
	v_subrev_co_ci_u32_e32 v7, vcc_lo, 0, v7, vcc_lo
	s_delay_alu instid0(VALU_DEP_1) | instskip(SKIP_4) | instid1(VALU_DEP_1)
	v_cmp_gt_i64_e32 vcc_lo, v[6:7], v[0:1]
	v_dual_cndmask_b32 v5, v5, v3 :: v_dual_cndmask_b32 v4, v4, v2
	s_waitcnt vmcnt(0)
	v_sub_co_u32 v2, vcc_lo, v12, s6
	v_subrev_co_ci_u32_e32 v3, vcc_lo, 0, v13, vcc_lo
	v_cmpx_ne_u64_e64 v[2:3], v[4:5]
	s_cbranch_execz .LBB90_45
; %bb.51:                               ;   in Loop: Header=BB90_46 Depth=1
	v_lshlrev_b64 v[6:7], 2, v[0:1]
	v_lshlrev_b64 v[4:5], 3, v[4:5]
	;; [unrolled: 1-line block ×3, first 2 shown]
	s_mov_b32 s18, 0
	s_delay_alu instid0(VALU_DEP_3) | instskip(NEXT) | instid1(VALU_DEP_4)
	v_add_co_u32 v6, vcc_lo, s12, v6
	v_add_co_ci_u32_e32 v7, vcc_lo, s13, v7, vcc_lo
	s_delay_alu instid0(VALU_DEP_4)
	v_add_co_u32 v4, vcc_lo, s14, v4
	v_add_co_ci_u32_e32 v5, vcc_lo, s15, v5, vcc_lo
	global_load_b32 v6, v[6:7], off
	v_add_co_u32 v2, vcc_lo, s20, v2
	global_load_b64 v[4:5], v[4:5], off
	v_add_co_ci_u32_e32 v3, vcc_lo, s21, v3, vcc_lo
	global_load_b32 v7, v[2:3], off
	s_waitcnt vmcnt(2)
	v_fma_f32 v12, v9, v6, v11
	v_fma_f32 v13, v8, v6, v10
	s_waitcnt vmcnt(1)
	s_delay_alu instid0(VALU_DEP_2) | instskip(NEXT) | instid1(VALU_DEP_1)
	v_mul_f32_e64 v14, v5, -v12
	v_fmac_f32_e32 v14, v13, v4
.LBB90_52:                              ;   Parent Loop BB90_46 Depth=1
                                        ; =>  This Inner Loop Header: Depth=2
	s_waitcnt vmcnt(0)
	s_delay_alu instid0(VALU_DEP_1)
	v_add_f32_e32 v6, v7, v14
	global_atomic_cmpswap_b32 v6, v[2:3], v[6:7], off glc
	s_waitcnt vmcnt(0)
	v_cmp_eq_u32_e32 vcc_lo, v6, v7
	v_mov_b32_e32 v7, v6
	s_or_b32 s18, vcc_lo, s18
	s_delay_alu instid0(SALU_CYCLE_1)
	s_and_not1_b32 exec_lo, exec_lo, s18
	s_cbranch_execnz .LBB90_52
; %bb.53:                               ;   in Loop: Header=BB90_46 Depth=1
	s_or_b32 exec_lo, exec_lo, s18
	global_load_b32 v6, v[2:3], off offset:4
	v_mul_f32_e32 v7, v13, v5
	s_mov_b32 s18, 0
	s_delay_alu instid0(VALU_DEP_1)
	v_fmac_f32_e32 v7, v12, v4
.LBB90_54:                              ;   Parent Loop BB90_46 Depth=1
                                        ; =>  This Inner Loop Header: Depth=2
	s_waitcnt vmcnt(0)
	s_delay_alu instid0(VALU_DEP_1)
	v_add_f32_e32 v5, v6, v7
	global_atomic_cmpswap_b32 v4, v[2:3], v[5:6], off offset:4 glc
	s_waitcnt vmcnt(0)
	v_cmp_eq_u32_e32 vcc_lo, v4, v6
	v_mov_b32_e32 v6, v4
	s_or_b32 s18, vcc_lo, s18
	s_delay_alu instid0(SALU_CYCLE_1)
	s_and_not1_b32 exec_lo, exec_lo, s18
	s_cbranch_execnz .LBB90_54
	s_branch .LBB90_45
.LBB90_55:
	s_endpgm
	.section	.rodata,"a",@progbits
	.p2align	6, 0x0
	.amdhsa_kernel _ZL33csrmvn_symm_large_adaptive_kernelIllf21rocsparse_complex_numIfES1_S1_EvbT_PKS2_N9rocsparse24const_host_device_scalarIT4_EES4_PKT0_PKT1_PKT2_S8_PT3_21rocsparse_index_base_b
		.amdhsa_group_segment_fixed_size 8192
		.amdhsa_private_segment_fixed_size 0
		.amdhsa_kernarg_size 88
		.amdhsa_user_sgpr_count 15
		.amdhsa_user_sgpr_dispatch_ptr 0
		.amdhsa_user_sgpr_queue_ptr 0
		.amdhsa_user_sgpr_kernarg_segment_ptr 1
		.amdhsa_user_sgpr_dispatch_id 0
		.amdhsa_user_sgpr_private_segment_size 0
		.amdhsa_wavefront_size32 1
		.amdhsa_uses_dynamic_stack 0
		.amdhsa_enable_private_segment 0
		.amdhsa_system_sgpr_workgroup_id_x 1
		.amdhsa_system_sgpr_workgroup_id_y 0
		.amdhsa_system_sgpr_workgroup_id_z 0
		.amdhsa_system_sgpr_workgroup_info 0
		.amdhsa_system_vgpr_workitem_id 0
		.amdhsa_next_free_vgpr 17
		.amdhsa_next_free_sgpr 36
		.amdhsa_reserve_vcc 1
		.amdhsa_float_round_mode_32 0
		.amdhsa_float_round_mode_16_64 0
		.amdhsa_float_denorm_mode_32 3
		.amdhsa_float_denorm_mode_16_64 3
		.amdhsa_dx10_clamp 1
		.amdhsa_ieee_mode 1
		.amdhsa_fp16_overflow 0
		.amdhsa_workgroup_processor_mode 1
		.amdhsa_memory_ordered 1
		.amdhsa_forward_progress 0
		.amdhsa_shared_vgpr_count 0
		.amdhsa_exception_fp_ieee_invalid_op 0
		.amdhsa_exception_fp_denorm_src 0
		.amdhsa_exception_fp_ieee_div_zero 0
		.amdhsa_exception_fp_ieee_overflow 0
		.amdhsa_exception_fp_ieee_underflow 0
		.amdhsa_exception_fp_ieee_inexact 0
		.amdhsa_exception_int_div_zero 0
	.end_amdhsa_kernel
	.section	.text._ZL33csrmvn_symm_large_adaptive_kernelIllf21rocsparse_complex_numIfES1_S1_EvbT_PKS2_N9rocsparse24const_host_device_scalarIT4_EES4_PKT0_PKT1_PKT2_S8_PT3_21rocsparse_index_base_b,"axG",@progbits,_ZL33csrmvn_symm_large_adaptive_kernelIllf21rocsparse_complex_numIfES1_S1_EvbT_PKS2_N9rocsparse24const_host_device_scalarIT4_EES4_PKT0_PKT1_PKT2_S8_PT3_21rocsparse_index_base_b,comdat
.Lfunc_end90:
	.size	_ZL33csrmvn_symm_large_adaptive_kernelIllf21rocsparse_complex_numIfES1_S1_EvbT_PKS2_N9rocsparse24const_host_device_scalarIT4_EES4_PKT0_PKT1_PKT2_S8_PT3_21rocsparse_index_base_b, .Lfunc_end90-_ZL33csrmvn_symm_large_adaptive_kernelIllf21rocsparse_complex_numIfES1_S1_EvbT_PKS2_N9rocsparse24const_host_device_scalarIT4_EES4_PKT0_PKT1_PKT2_S8_PT3_21rocsparse_index_base_b
                                        ; -- End function
	.section	.AMDGPU.csdata,"",@progbits
; Kernel info:
; codeLenInByte = 2536
; NumSgprs: 38
; NumVgprs: 17
; ScratchSize: 0
; MemoryBound: 0
; FloatMode: 240
; IeeeMode: 1
; LDSByteSize: 8192 bytes/workgroup (compile time only)
; SGPRBlocks: 4
; VGPRBlocks: 2
; NumSGPRsForWavesPerEU: 38
; NumVGPRsForWavesPerEU: 17
; Occupancy: 16
; WaveLimiterHint : 1
; COMPUTE_PGM_RSRC2:SCRATCH_EN: 0
; COMPUTE_PGM_RSRC2:USER_SGPR: 15
; COMPUTE_PGM_RSRC2:TRAP_HANDLER: 0
; COMPUTE_PGM_RSRC2:TGID_X_EN: 1
; COMPUTE_PGM_RSRC2:TGID_Y_EN: 0
; COMPUTE_PGM_RSRC2:TGID_Z_EN: 0
; COMPUTE_PGM_RSRC2:TIDIG_COMP_CNT: 0
	.section	.text._ZN9rocsparseL22csrmvn_adaptive_kernelIiifdddEEvbT_PKS1_PjPKT0_NS_24const_host_device_scalarIT4_EES3_S7_PKT1_PKT2_SA_PT3_21rocsparse_index_base_b,"axG",@progbits,_ZN9rocsparseL22csrmvn_adaptive_kernelIiifdddEEvbT_PKS1_PjPKT0_NS_24const_host_device_scalarIT4_EES3_S7_PKT1_PKT2_SA_PT3_21rocsparse_index_base_b,comdat
	.globl	_ZN9rocsparseL22csrmvn_adaptive_kernelIiifdddEEvbT_PKS1_PjPKT0_NS_24const_host_device_scalarIT4_EES3_S7_PKT1_PKT2_SA_PT3_21rocsparse_index_base_b ; -- Begin function _ZN9rocsparseL22csrmvn_adaptive_kernelIiifdddEEvbT_PKS1_PjPKT0_NS_24const_host_device_scalarIT4_EES3_S7_PKT1_PKT2_SA_PT3_21rocsparse_index_base_b
	.p2align	8
	.type	_ZN9rocsparseL22csrmvn_adaptive_kernelIiifdddEEvbT_PKS1_PjPKT0_NS_24const_host_device_scalarIT4_EES3_S7_PKT1_PKT2_SA_PT3_21rocsparse_index_base_b,@function
_ZN9rocsparseL22csrmvn_adaptive_kernelIiifdddEEvbT_PKS1_PjPKT0_NS_24const_host_device_scalarIT4_EES3_S7_PKT1_PKT2_SA_PT3_21rocsparse_index_base_b: ; @_ZN9rocsparseL22csrmvn_adaptive_kernelIiifdddEEvbT_PKS1_PjPKT0_NS_24const_host_device_scalarIT4_EES3_S7_PKT1_PKT2_SA_PT3_21rocsparse_index_base_b
; %bb.0:
	s_clause 0x2
	s_load_b64 s[26:27], s[0:1], 0x58
	s_load_b64 s[4:5], s[0:1], 0x20
	;; [unrolled: 1-line block ×3, first 2 shown]
	s_mov_b32 s30, s15
	s_waitcnt lgkmcnt(0)
	s_bitcmp1_b32 s27, 0
	v_dual_mov_b32 v8, s5 :: v_dual_mov_b32 v7, s4
	s_cselect_b32 s6, -1, 0
	s_delay_alu instid0(SALU_CYCLE_1)
	s_and_b32 vcc_lo, exec_lo, s6
	s_xor_b32 s6, s6, -1
	s_cbranch_vccnz .LBB91_2
; %bb.1:
	v_dual_mov_b32 v1, s4 :: v_dual_mov_b32 v2, s5
	flat_load_b64 v[7:8], v[1:2]
.LBB91_2:
	v_dual_mov_b32 v6, s3 :: v_dual_mov_b32 v5, s2
	s_and_not1_b32 vcc_lo, exec_lo, s6
	s_cbranch_vccnz .LBB91_4
; %bb.3:
	v_dual_mov_b32 v1, s2 :: v_dual_mov_b32 v2, s3
	flat_load_b64 v[5:6], v[1:2]
.LBB91_4:
	s_waitcnt vmcnt(0) lgkmcnt(0)
	v_cmp_neq_f64_e32 vcc_lo, 0, v[7:8]
	v_cmp_neq_f64_e64 s2, 1.0, v[5:6]
	s_delay_alu instid0(VALU_DEP_1) | instskip(NEXT) | instid1(SALU_CYCLE_1)
	s_or_b32 s2, vcc_lo, s2
	s_and_saveexec_b32 s3, s2
	s_cbranch_execz .LBB91_116
; %bb.5:
	s_clause 0x2
	s_load_b64 s[2:3], s[0:1], 0x8
	s_load_b64 s[4:5], s[0:1], 0x18
	;; [unrolled: 1-line block ×3, first 2 shown]
	s_ashr_i32 s31, s30, 31
	s_delay_alu instid0(SALU_CYCLE_1)
	s_lshl_b64 s[34:35], s[30:31], 2
	s_waitcnt lgkmcnt(0)
	s_add_u32 s2, s2, s34
	s_addc_u32 s3, s3, s35
	s_load_b64 s[22:23], s[2:3], 0x0
	s_load_b256 s[12:19], s[0:1], 0x28
	s_mov_b32 s3, -1
	s_waitcnt lgkmcnt(0)
	s_sub_i32 s2, s23, s22
	s_add_u32 s4, s4, s34
	s_addc_u32 s5, s5, s35
	s_ashr_i32 s29, s22, 31
	s_mov_b32 s28, s22
	s_delay_alu instid0(SALU_CYCLE_1) | instskip(NEXT) | instid1(SALU_CYCLE_1)
	s_lshl_b64 s[6:7], s[28:29], 2
	s_add_u32 s24, s12, s6
	s_addc_u32 s25, s13, s7
	s_load_b32 s27, s[4:5], 0x0
	s_load_b32 s31, s[24:25], 0x0
	s_cmp_lt_i32 s2, 2
	s_cbranch_scc0 .LBB91_72
; %bb.6:
	s_cmp_lg_u32 s2, 1
	s_cselect_b32 s2, -1, 0
	s_waitcnt lgkmcnt(0)
	s_cmp_lg_u32 s27, 0
	s_cselect_b32 s3, -1, 0
	s_delay_alu instid0(SALU_CYCLE_1) | instskip(NEXT) | instid1(SALU_CYCLE_1)
	s_or_b32 s2, s2, s3
	s_and_b32 vcc_lo, exec_lo, s2
	s_mov_b32 s2, -1
	s_cbranch_vccnz .LBB91_35
; %bb.7:
	s_cmp_le_i32 s23, s22
	s_cbranch_scc1 .LBB91_34
; %bb.8:
	v_cmp_neq_f64_e32 vcc_lo, 0, v[5:6]
	v_subrev_nc_u32_e32 v4, s26, v0
	v_dual_mov_b32 v14, 0 :: v_dual_lshlrev_b32 v13, 3, v0
	v_cmp_gt_u32_e64 s2, 0x80, v0
	v_cmp_gt_u32_e64 s3, 64, v0
	;; [unrolled: 1-line block ×7, first 2 shown]
	v_cmp_eq_u32_e64 s9, 0, v0
	s_add_u32 s33, s12, 4
	s_addc_u32 s38, s13, 0
	s_mov_b32 s39, s31
	s_mov_b32 s36, s22
	s_branch .LBB91_11
.LBB91_9:                               ;   in Loop: Header=BB91_11 Depth=1
	s_or_b32 exec_lo, exec_lo, s11
	s_lshl_b64 s[40:41], s[36:37], 3
	s_delay_alu instid0(SALU_CYCLE_1)
	s_add_u32 s40, s20, s40
	s_addc_u32 s41, s21, s41
	s_waitcnt lgkmcnt(0)
	global_store_b64 v14, v[1:2], s[40:41]
.LBB91_10:                              ;   in Loop: Header=BB91_11 Depth=1
	s_or_b32 exec_lo, exec_lo, s10
	s_add_i32 s36, s36, 1
	s_delay_alu instid0(SALU_CYCLE_1)
	s_cmp_ge_i32 s36, s23
	s_cbranch_scc1 .LBB91_34
.LBB91_11:                              ; =>This Loop Header: Depth=1
                                        ;     Child Loop BB91_13 Depth 2
	s_ashr_i32 s37, s36, 31
	s_mov_b32 s40, s39
	s_lshl_b64 s[10:11], s[36:37], 2
	v_dual_mov_b32 v2, 0 :: v_dual_add_nc_u32 v1, s40, v4
	s_add_u32 s10, s33, s10
	s_addc_u32 s11, s38, s11
	v_mov_b32_e32 v3, 0
	s_load_b32 s39, s[10:11], 0x0
	s_mov_b32 s40, exec_lo
	s_waitcnt lgkmcnt(0)
	s_sub_i32 s41, s39, s26
	s_delay_alu instid0(SALU_CYCLE_1)
	v_cmpx_gt_i32_e64 s41, v1
	s_cbranch_execz .LBB91_15
; %bb.12:                               ;   in Loop: Header=BB91_11 Depth=1
	v_ashrrev_i32_e32 v2, 31, v1
	s_mov_b32 s42, 0
	s_delay_alu instid0(VALU_DEP_1) | instskip(SKIP_2) | instid1(VALU_DEP_3)
	v_lshlrev_b64 v[11:12], 2, v[1:2]
	v_mov_b32_e32 v2, 0
	v_mov_b32_e32 v3, 0
	v_add_co_u32 v9, s10, s16, v11
	s_delay_alu instid0(VALU_DEP_1) | instskip(SKIP_1) | instid1(VALU_DEP_1)
	v_add_co_ci_u32_e64 v10, s10, s17, v12, s10
	v_add_co_u32 v11, s10, s14, v11
	v_add_co_ci_u32_e64 v12, s10, s15, v12, s10
	s_set_inst_prefetch_distance 0x1
	.p2align	6
.LBB91_13:                              ;   Parent Loop BB91_11 Depth=1
                                        ; =>  This Inner Loop Header: Depth=2
	global_load_b32 v15, v[11:12], off
	global_load_b32 v17, v[9:10], off
	v_add_nc_u32_e32 v1, 0x100, v1
	v_add_co_u32 v11, s11, 0x400, v11
	s_delay_alu instid0(VALU_DEP_1) | instskip(SKIP_4) | instid1(VALU_DEP_2)
	v_add_co_ci_u32_e64 v12, s11, 0, v12, s11
	s_waitcnt vmcnt(1)
	v_subrev_nc_u32_e32 v15, s26, v15
	s_waitcnt vmcnt(0)
	v_cvt_f64_f32_e32 v[17:18], v17
	v_ashrrev_i32_e32 v16, 31, v15
	s_delay_alu instid0(VALU_DEP_1) | instskip(NEXT) | instid1(VALU_DEP_1)
	v_lshlrev_b64 v[15:16], 3, v[15:16]
	v_add_co_u32 v15, s10, s18, v15
	s_delay_alu instid0(VALU_DEP_1) | instskip(SKIP_1) | instid1(VALU_DEP_1)
	v_add_co_ci_u32_e64 v16, s10, s19, v16, s10
	v_add_co_u32 v9, s10, 0x400, v9
	v_add_co_ci_u32_e64 v10, s10, 0, v10, s10
	global_load_b64 v[15:16], v[15:16], off
	v_cmp_le_i32_e64 s10, s41, v1
	s_delay_alu instid0(VALU_DEP_1) | instskip(SKIP_2) | instid1(VALU_DEP_1)
	s_or_b32 s42, s10, s42
	v_mul_f64 v[17:18], v[7:8], v[17:18]
	s_waitcnt vmcnt(0)
	v_fma_f64 v[2:3], v[17:18], v[15:16], v[2:3]
	s_and_not1_b32 exec_lo, exec_lo, s42
	s_cbranch_execnz .LBB91_13
; %bb.14:                               ;   in Loop: Header=BB91_11 Depth=1
	s_set_inst_prefetch_distance 0x2
	s_or_b32 exec_lo, exec_lo, s42
.LBB91_15:                              ;   in Loop: Header=BB91_11 Depth=1
	s_delay_alu instid0(SALU_CYCLE_1)
	s_or_b32 exec_lo, exec_lo, s40
	ds_store_b64 v13, v[2:3]
	s_waitcnt lgkmcnt(0)
	s_waitcnt_vscnt null, 0x0
	s_barrier
	buffer_gl0_inv
	s_and_saveexec_b32 s10, s2
	s_cbranch_execz .LBB91_17
; %bb.16:                               ;   in Loop: Header=BB91_11 Depth=1
	ds_load_2addr_stride64_b64 v[9:12], v13 offset1:2
	s_waitcnt lgkmcnt(0)
	v_add_f64 v[1:2], v[9:10], v[11:12]
	ds_store_b64 v13, v[1:2]
.LBB91_17:                              ;   in Loop: Header=BB91_11 Depth=1
	s_or_b32 exec_lo, exec_lo, s10
	s_waitcnt lgkmcnt(0)
	s_barrier
	buffer_gl0_inv
	s_and_saveexec_b32 s10, s3
	s_cbranch_execz .LBB91_19
; %bb.18:                               ;   in Loop: Header=BB91_11 Depth=1
	ds_load_2addr_stride64_b64 v[9:12], v13 offset1:1
	s_waitcnt lgkmcnt(0)
	v_add_f64 v[1:2], v[9:10], v[11:12]
	ds_store_b64 v13, v[1:2]
.LBB91_19:                              ;   in Loop: Header=BB91_11 Depth=1
	s_or_b32 exec_lo, exec_lo, s10
	s_waitcnt lgkmcnt(0)
	s_barrier
	buffer_gl0_inv
	s_and_saveexec_b32 s10, s4
	s_cbranch_execz .LBB91_21
; %bb.20:                               ;   in Loop: Header=BB91_11 Depth=1
	ds_load_2addr_b64 v[9:12], v13 offset1:32
	s_waitcnt lgkmcnt(0)
	v_add_f64 v[1:2], v[9:10], v[11:12]
	ds_store_b64 v13, v[1:2]
.LBB91_21:                              ;   in Loop: Header=BB91_11 Depth=1
	s_or_b32 exec_lo, exec_lo, s10
	s_waitcnt lgkmcnt(0)
	s_barrier
	buffer_gl0_inv
	s_and_saveexec_b32 s10, s5
	s_cbranch_execz .LBB91_23
; %bb.22:                               ;   in Loop: Header=BB91_11 Depth=1
	ds_load_2addr_b64 v[9:12], v13 offset1:16
	s_waitcnt lgkmcnt(0)
	v_add_f64 v[1:2], v[9:10], v[11:12]
	ds_store_b64 v13, v[1:2]
.LBB91_23:                              ;   in Loop: Header=BB91_11 Depth=1
	;; [unrolled: 12-line block ×5, first 2 shown]
	s_or_b32 exec_lo, exec_lo, s10
	s_waitcnt lgkmcnt(0)
	s_barrier
	buffer_gl0_inv
	s_and_saveexec_b32 s10, s9
	s_cbranch_execz .LBB91_31
; %bb.30:                               ;   in Loop: Header=BB91_11 Depth=1
	ds_load_b128 v[9:12], v14
	s_waitcnt lgkmcnt(0)
	v_add_f64 v[1:2], v[9:10], v[11:12]
	ds_store_b64 v14, v[1:2]
.LBB91_31:                              ;   in Loop: Header=BB91_11 Depth=1
	s_or_b32 exec_lo, exec_lo, s10
	s_waitcnt lgkmcnt(0)
	s_barrier
	buffer_gl0_inv
	s_and_saveexec_b32 s10, s9
	s_cbranch_execz .LBB91_10
; %bb.32:                               ;   in Loop: Header=BB91_11 Depth=1
	ds_load_b64 v[1:2], v14
	s_and_saveexec_b32 s11, vcc_lo
	s_cbranch_execz .LBB91_9
; %bb.33:                               ;   in Loop: Header=BB91_11 Depth=1
	s_lshl_b64 s[40:41], s[36:37], 3
	s_delay_alu instid0(SALU_CYCLE_1)
	s_add_u32 s40, s20, s40
	s_addc_u32 s41, s21, s41
	global_load_b64 v[9:10], v14, s[40:41]
	s_waitcnt vmcnt(0) lgkmcnt(0)
	v_fma_f64 v[1:2], v[5:6], v[9:10], v[1:2]
	s_branch .LBB91_9
.LBB91_34:
	s_mov_b32 s2, 0
.LBB91_35:
	s_delay_alu instid0(SALU_CYCLE_1)
	s_and_not1_b32 vcc_lo, exec_lo, s2
	s_cbranch_vccnz .LBB91_71
; %bb.36:
	s_load_b64 s[6:7], s[0:1], 0x10
	s_sub_i32 s8, s30, s27
	v_mov_b32_e32 v1, 0
	v_or_b32_e32 v3, s27, v0
	v_mov_b32_e32 v2, 0
	s_mov_b32 s11, exec_lo
	s_waitcnt lgkmcnt(0)
	s_add_u32 s4, s6, s34
	s_addc_u32 s5, s7, s35
	s_load_b32 s10, s[4:5], 0x0
	v_cmpx_eq_u32_e32 0, v3
	s_cbranch_execz .LBB91_40
; %bb.37:
	v_add_f64 v[1:2], v[5:6], -1.0
	s_lshl_b64 s[2:3], s[28:29], 3
	s_mov_b32 s30, exec_lo
	s_add_u32 s2, s20, s2
	s_addc_u32 s3, s21, s3
	v_mbcnt_lo_u32_b32 v3, s30, 0
	s_load_b64 s[2:3], s[2:3], 0x0
	s_mov_b32 s33, exec_lo
	s_waitcnt vmcnt(0) expcnt(0) lgkmcnt(0)
	s_waitcnt_vscnt null, 0x0
	v_cmpx_eq_u32_e32 0, v3
	s_cbranch_execz .LBB91_39
; %bb.38:
	s_ashr_i32 s9, s8, 31
	s_delay_alu instid0(SALU_CYCLE_1) | instskip(NEXT) | instid1(SALU_CYCLE_1)
	s_lshl_b64 s[34:35], s[8:9], 2
	s_add_u32 s34, s6, s34
	s_addc_u32 s35, s7, s35
	s_bcnt1_i32_b32 s9, s30
	s_delay_alu instid0(SALU_CYCLE_1) | instskip(NEXT) | instid1(SALU_CYCLE_1)
	s_and_b32 s9, s9, 1
	v_dual_mov_b32 v3, 0 :: v_dual_mov_b32 v4, s9
	global_atomic_xor_b32 v3, v4, s[34:35]
.LBB91_39:
	s_or_b32 exec_lo, exec_lo, s33
	s_delay_alu instid0(VALU_DEP_3)
	v_mul_f64 v[1:2], v[1:2], s[2:3]
.LBB91_40:
	s_or_b32 exec_lo, exec_lo, s11
	s_load_b32 s2, s[24:25], 0x4
	s_mul_i32 s3, s27, 0xc00
	s_sub_i32 s9, s31, s26
	s_delay_alu instid0(SALU_CYCLE_1)
	s_add_i32 s9, s9, s3
	s_mov_b32 s3, exec_lo
	v_add_nc_u32_e32 v3, s9, v0
	s_waitcnt lgkmcnt(0)
	s_sub_i32 s2, s2, s26
	s_delay_alu instid0(VALU_DEP_1) | instid1(SALU_CYCLE_1)
	v_cmpx_gt_i32_e64 s2, v3
	s_cbranch_execz .LBB91_44
; %bb.41:
	v_ashrrev_i32_e32 v4, 31, v3
	s_addk_i32 s9, 0xc00
	s_mov_b32 s11, 0
	s_min_i32 s9, s9, s2
	s_delay_alu instid0(VALU_DEP_1) | instskip(NEXT) | instid1(VALU_DEP_1)
	v_lshlrev_b64 v[11:12], 2, v[3:4]
	v_add_co_u32 v9, vcc_lo, s16, v11
	s_delay_alu instid0(VALU_DEP_2)
	v_add_co_ci_u32_e32 v10, vcc_lo, s17, v12, vcc_lo
	v_add_co_u32 v11, vcc_lo, s14, v11
	v_add_co_ci_u32_e32 v12, vcc_lo, s15, v12, vcc_lo
	s_set_inst_prefetch_distance 0x1
	.p2align	6
.LBB91_42:                              ; =>This Inner Loop Header: Depth=1
	global_load_b32 v4, v[11:12], off
	global_load_b32 v15, v[9:10], off
	v_add_nc_u32_e32 v3, 0x100, v3
	v_add_co_u32 v11, s2, 0x400, v11
	s_delay_alu instid0(VALU_DEP_1) | instskip(SKIP_4) | instid1(VALU_DEP_2)
	v_add_co_ci_u32_e64 v12, s2, 0, v12, s2
	s_waitcnt vmcnt(1)
	v_subrev_nc_u32_e32 v13, s26, v4
	s_waitcnt vmcnt(0)
	v_cvt_f64_f32_e32 v[15:16], v15
	v_ashrrev_i32_e32 v14, 31, v13
	s_delay_alu instid0(VALU_DEP_1) | instskip(NEXT) | instid1(VALU_DEP_1)
	v_lshlrev_b64 v[13:14], 3, v[13:14]
	v_add_co_u32 v13, vcc_lo, s18, v13
	s_delay_alu instid0(VALU_DEP_2)
	v_add_co_ci_u32_e32 v14, vcc_lo, s19, v14, vcc_lo
	v_add_co_u32 v9, vcc_lo, 0x400, v9
	v_add_co_ci_u32_e32 v10, vcc_lo, 0, v10, vcc_lo
	global_load_b64 v[13:14], v[13:14], off
	v_cmp_le_i32_e32 vcc_lo, s9, v3
	s_or_b32 s11, vcc_lo, s11
	v_mul_f64 v[15:16], v[7:8], v[15:16]
	s_waitcnt vmcnt(0)
	s_delay_alu instid0(VALU_DEP_1)
	v_fma_f64 v[1:2], v[15:16], v[13:14], v[1:2]
	s_and_not1_b32 exec_lo, exec_lo, s11
	s_cbranch_execnz .LBB91_42
; %bb.43:
	s_set_inst_prefetch_distance 0x2
	s_or_b32 exec_lo, exec_lo, s11
.LBB91_44:
	s_delay_alu instid0(SALU_CYCLE_1)
	s_or_b32 exec_lo, exec_lo, s3
	v_lshlrev_b32_e32 v3, 3, v0
	s_mov_b32 s2, exec_lo
	ds_store_b64 v3, v[1:2]
	s_waitcnt lgkmcnt(0)
	s_waitcnt_vscnt null, 0x0
	s_barrier
	buffer_gl0_inv
	v_cmpx_gt_u32_e32 0x80, v0
	s_cbranch_execz .LBB91_46
; %bb.45:
	ds_load_2addr_stride64_b64 v[9:12], v3 offset1:2
	s_waitcnt lgkmcnt(0)
	v_add_f64 v[1:2], v[9:10], v[11:12]
	ds_store_b64 v3, v[1:2]
.LBB91_46:
	s_or_b32 exec_lo, exec_lo, s2
	s_delay_alu instid0(SALU_CYCLE_1)
	s_mov_b32 s2, exec_lo
	s_waitcnt lgkmcnt(0)
	s_barrier
	buffer_gl0_inv
	v_cmpx_gt_u32_e32 64, v0
	s_cbranch_execz .LBB91_48
; %bb.47:
	ds_load_2addr_stride64_b64 v[9:12], v3 offset1:1
	s_waitcnt lgkmcnt(0)
	v_add_f64 v[1:2], v[9:10], v[11:12]
	ds_store_b64 v3, v[1:2]
.LBB91_48:
	s_or_b32 exec_lo, exec_lo, s2
	s_delay_alu instid0(SALU_CYCLE_1)
	s_mov_b32 s2, exec_lo
	s_waitcnt lgkmcnt(0)
	s_barrier
	buffer_gl0_inv
	v_cmpx_gt_u32_e32 32, v0
	s_cbranch_execz .LBB91_50
; %bb.49:
	ds_load_2addr_b64 v[9:12], v3 offset1:32
	s_waitcnt lgkmcnt(0)
	v_add_f64 v[1:2], v[9:10], v[11:12]
	ds_store_b64 v3, v[1:2]
.LBB91_50:
	s_or_b32 exec_lo, exec_lo, s2
	s_delay_alu instid0(SALU_CYCLE_1)
	s_mov_b32 s2, exec_lo
	s_waitcnt lgkmcnt(0)
	s_barrier
	buffer_gl0_inv
	v_cmpx_gt_u32_e32 16, v0
	s_cbranch_execz .LBB91_52
; %bb.51:
	ds_load_2addr_b64 v[9:12], v3 offset1:16
	s_waitcnt lgkmcnt(0)
	v_add_f64 v[1:2], v[9:10], v[11:12]
	ds_store_b64 v3, v[1:2]
.LBB91_52:
	;; [unrolled: 14-line block ×5, first 2 shown]
	s_or_b32 exec_lo, exec_lo, s2
	v_cmp_eq_u32_e32 vcc_lo, 0, v0
	s_waitcnt lgkmcnt(0)
	s_barrier
	buffer_gl0_inv
	s_and_saveexec_b32 s2, vcc_lo
	s_cbranch_execz .LBB91_60
; %bb.59:
	v_mov_b32_e32 v9, 0
	ds_load_b128 v[1:4], v9
	s_waitcnt lgkmcnt(0)
	v_add_f64 v[1:2], v[1:2], v[3:4]
	ds_store_b64 v9, v[1:2]
.LBB91_60:
	s_or_b32 exec_lo, exec_lo, s2
	s_waitcnt lgkmcnt(0)
	s_barrier
	buffer_gl0_inv
	s_and_saveexec_b32 s11, vcc_lo
	s_cbranch_execz .LBB91_70
; %bb.61:
	s_cmp_eq_u32 s27, 0
	s_cbranch_scc1 .LBB91_67
; %bb.62:
	s_ashr_i32 s9, s8, 31
	v_mov_b32_e32 v1, 0
	s_lshl_b64 s[2:3], s[8:9], 2
	s_delay_alu instid0(SALU_CYCLE_1)
	s_add_u32 s2, s6, s2
	s_addc_u32 s3, s7, s3
	s_branch .LBB91_64
.LBB91_63:                              ;   in Loop: Header=BB91_64 Depth=1
	s_or_b32 exec_lo, exec_lo, s6
	s_waitcnt vmcnt(0)
	v_readfirstlane_b32 s6, v2
	s_delay_alu instid0(VALU_DEP_1)
	s_cmp_eq_u32 s6, s10
	s_cbranch_scc0 .LBB91_66
.LBB91_64:                              ; =>This Inner Loop Header: Depth=1
	v_mbcnt_lo_u32_b32 v2, exec_lo, 0
	s_delay_alu instid0(VALU_DEP_1)
	v_cmp_eq_u32_e32 vcc_lo, 0, v2
                                        ; implicit-def: $vgpr2
	s_and_saveexec_b32 s6, vcc_lo
	s_cbranch_execz .LBB91_63
; %bb.65:                               ;   in Loop: Header=BB91_64 Depth=1
	global_load_b32 v2, v1, s[2:3] glc
	s_branch .LBB91_63
.LBB91_66:
	v_mov_b32_e32 v1, 0
	global_load_b32 v2, v1, s[4:5]
	s_waitcnt vmcnt(0)
	v_xor_b32_e32 v2, 1, v2
	global_store_b32 v1, v2, s[4:5]
.LBB91_67:
	s_mov_b32 s4, exec_lo
	s_delay_alu instid0(SALU_CYCLE_1) | instskip(NEXT) | instid1(VALU_DEP_1)
	v_mbcnt_lo_u32_b32 v1, s4, 0
	v_cmp_eq_u32_e32 vcc_lo, 0, v1
	s_and_b32 s2, exec_lo, vcc_lo
	s_delay_alu instid0(SALU_CYCLE_1)
	s_mov_b32 exec_lo, s2
	s_cbranch_execz .LBB91_70
; %bb.68:
	s_lshl_b64 s[2:3], s[28:29], 3
	v_mov_b32_e32 v11, 0
	s_add_u32 s2, s20, s2
	s_addc_u32 s3, s21, s3
	s_bcnt1_i32_b32 s4, s4
	global_load_b64 v[3:4], v11, s[2:3]
	ds_load_b64 v[9:10], v11
	v_cvt_f64_u32_e32 v[1:2], s4
	s_mov_b32 s4, 0
	s_waitcnt lgkmcnt(0)
	s_delay_alu instid0(VALU_DEP_1)
	v_mul_f64 v[9:10], v[9:10], v[1:2]
.LBB91_69:                              ; =>This Inner Loop Header: Depth=1
	s_waitcnt vmcnt(0)
	s_delay_alu instid0(VALU_DEP_1)
	v_add_f64 v[1:2], v[3:4], v[9:10]
	global_atomic_cmpswap_b64 v[1:2], v11, v[1:4], s[2:3] glc
	s_waitcnt vmcnt(0)
	v_cmp_eq_u64_e32 vcc_lo, v[1:2], v[3:4]
	v_dual_mov_b32 v4, v2 :: v_dual_mov_b32 v3, v1
	s_or_b32 s4, vcc_lo, s4
	s_delay_alu instid0(SALU_CYCLE_1)
	s_and_not1_b32 exec_lo, exec_lo, s4
	s_cbranch_execnz .LBB91_69
.LBB91_70:
	s_or_b32 exec_lo, exec_lo, s11
.LBB91_71:
	s_mov_b32 s3, 0
.LBB91_72:
	s_delay_alu instid0(SALU_CYCLE_1)
	s_and_not1_b32 vcc_lo, exec_lo, s3
	s_cbranch_vccnz .LBB91_116
; %bb.73:
	s_load_b32 s0, s[0:1], 0x4
	v_subrev_nc_u32_e32 v1, s26, v0
	s_waitcnt lgkmcnt(0)
	s_delay_alu instid0(VALU_DEP_1) | instskip(NEXT) | instid1(VALU_DEP_1)
	v_add_nc_u32_e32 v1, s31, v1
	v_add_nc_u32_e32 v2, 0x300, v1
	s_delay_alu instid0(VALU_DEP_1) | instskip(SKIP_1) | instid1(SALU_CYCLE_1)
	v_cmp_le_i32_e32 vcc_lo, s0, v2
	s_and_saveexec_b32 s0, vcc_lo
	s_xor_b32 s0, exec_lo, s0
	s_cbranch_execz .LBB91_78
; %bb.74:
	s_ashr_i32 s3, s23, 31
	s_mov_b32 s2, s23
	s_delay_alu instid0(SALU_CYCLE_1) | instskip(NEXT) | instid1(SALU_CYCLE_1)
	s_lshl_b64 s[2:3], s[2:3], 2
	s_add_u32 s2, s12, s2
	s_addc_u32 s3, s13, s3
	s_load_b32 s1, s[2:3], 0x0
	s_mov_b32 s2, exec_lo
	s_waitcnt lgkmcnt(0)
	s_sub_i32 s1, s1, s26
	s_delay_alu instid0(SALU_CYCLE_1)
	v_cmpx_gt_i32_e64 s1, v1
	s_cbranch_execz .LBB91_77
; %bb.75:
	v_lshlrev_b32_e32 v3, 3, v0
	s_mov_b32 s3, 0
	s_set_inst_prefetch_distance 0x1
	.p2align	6
.LBB91_76:                              ; =>This Inner Loop Header: Depth=1
	v_ashrrev_i32_e32 v2, 31, v1
	s_delay_alu instid0(VALU_DEP_1) | instskip(SKIP_1) | instid1(VALU_DEP_2)
	v_lshlrev_b64 v[9:10], 2, v[1:2]
	v_add_nc_u32_e32 v1, 0x100, v1
	v_add_co_u32 v11, vcc_lo, s14, v9
	s_delay_alu instid0(VALU_DEP_3)
	v_add_co_ci_u32_e32 v12, vcc_lo, s15, v10, vcc_lo
	v_add_co_u32 v9, vcc_lo, s16, v9
	v_add_co_ci_u32_e32 v10, vcc_lo, s17, v10, vcc_lo
	global_load_b32 v2, v[11:12], off
	global_load_b32 v4, v[9:10], off
	s_waitcnt vmcnt(1)
	v_subrev_nc_u32_e32 v9, s26, v2
	s_waitcnt vmcnt(0)
	v_cvt_f64_f32_e32 v[11:12], v4
	s_delay_alu instid0(VALU_DEP_2) | instskip(NEXT) | instid1(VALU_DEP_1)
	v_ashrrev_i32_e32 v10, 31, v9
	v_lshlrev_b64 v[9:10], 3, v[9:10]
	s_delay_alu instid0(VALU_DEP_1) | instskip(NEXT) | instid1(VALU_DEP_2)
	v_add_co_u32 v9, vcc_lo, s18, v9
	v_add_co_ci_u32_e32 v10, vcc_lo, s19, v10, vcc_lo
	v_cmp_le_i32_e32 vcc_lo, s1, v1
	global_load_b64 v[9:10], v[9:10], off
	s_or_b32 s3, vcc_lo, s3
	v_mul_f64 v[11:12], v[7:8], v[11:12]
	s_waitcnt vmcnt(0)
	s_delay_alu instid0(VALU_DEP_1)
	v_mul_f64 v[9:10], v[11:12], v[9:10]
	ds_store_b64 v3, v[9:10]
	v_add_nc_u32_e32 v3, 0x800, v3
	s_and_not1_b32 exec_lo, exec_lo, s3
	s_cbranch_execnz .LBB91_76
.LBB91_77:
	s_set_inst_prefetch_distance 0x2
	s_or_b32 exec_lo, exec_lo, s2
                                        ; implicit-def: $vgpr1
                                        ; implicit-def: $vgpr7_vgpr8
.LBB91_78:
	s_or_saveexec_b32 s0, s0
	v_lshlrev_b32_e32 v9, 3, v0
	s_xor_b32 exec_lo, exec_lo, s0
	s_cbranch_execz .LBB91_80
; %bb.79:
	v_ashrrev_i32_e32 v2, 31, v1
	s_delay_alu instid0(VALU_DEP_1) | instskip(NEXT) | instid1(VALU_DEP_1)
	v_lshlrev_b64 v[1:2], 2, v[1:2]
	v_add_co_u32 v3, vcc_lo, s14, v1
	s_delay_alu instid0(VALU_DEP_2)
	v_add_co_ci_u32_e32 v4, vcc_lo, s15, v2, vcc_lo
	v_add_co_u32 v1, vcc_lo, s16, v1
	v_add_co_ci_u32_e32 v2, vcc_lo, s17, v2, vcc_lo
	s_clause 0x3
	global_load_b32 v10, v[3:4], off
	global_load_b32 v11, v[3:4], off offset:1024
	global_load_b32 v12, v[3:4], off offset:2048
	;; [unrolled: 1-line block ×3, first 2 shown]
	s_clause 0x3
	global_load_b32 v14, v[1:2], off
	global_load_b32 v16, v[1:2], off offset:1024
	global_load_b32 v18, v[1:2], off offset:2048
	global_load_b32 v20, v[1:2], off offset:3072
	s_waitcnt vmcnt(7)
	v_subrev_nc_u32_e32 v1, s26, v10
	s_waitcnt vmcnt(6)
	v_subrev_nc_u32_e32 v3, s26, v11
	s_waitcnt vmcnt(5)
	v_subrev_nc_u32_e32 v10, s26, v12
	s_waitcnt vmcnt(4)
	v_subrev_nc_u32_e32 v12, s26, v4
	s_waitcnt vmcnt(3)
	v_cvt_f64_f32_e32 v[14:15], v14
	v_ashrrev_i32_e32 v2, 31, v1
	v_ashrrev_i32_e32 v4, 31, v3
	;; [unrolled: 1-line block ×4, first 2 shown]
	s_waitcnt vmcnt(2)
	v_cvt_f64_f32_e32 v[16:17], v16
	v_lshlrev_b64 v[1:2], 3, v[1:2]
	v_lshlrev_b64 v[3:4], 3, v[3:4]
	;; [unrolled: 1-line block ×4, first 2 shown]
	s_waitcnt vmcnt(1)
	v_cvt_f64_f32_e32 v[18:19], v18
	s_waitcnt vmcnt(0)
	v_cvt_f64_f32_e32 v[20:21], v20
	v_add_co_u32 v1, vcc_lo, s18, v1
	v_add_co_ci_u32_e32 v2, vcc_lo, s19, v2, vcc_lo
	v_add_co_u32 v3, vcc_lo, s18, v3
	v_add_co_ci_u32_e32 v4, vcc_lo, s19, v4, vcc_lo
	;; [unrolled: 2-line block ×4, first 2 shown]
	s_clause 0x3
	global_load_b64 v[1:2], v[1:2], off
	global_load_b64 v[3:4], v[3:4], off
	;; [unrolled: 1-line block ×4, first 2 shown]
	v_mul_f64 v[14:15], v[7:8], v[14:15]
	v_mul_f64 v[16:17], v[7:8], v[16:17]
	;; [unrolled: 1-line block ×4, first 2 shown]
	s_waitcnt vmcnt(3)
	s_delay_alu instid0(VALU_DEP_4) | instskip(SKIP_1) | instid1(VALU_DEP_4)
	v_mul_f64 v[1:2], v[14:15], v[1:2]
	s_waitcnt vmcnt(2)
	v_mul_f64 v[3:4], v[16:17], v[3:4]
	s_waitcnt vmcnt(1)
	s_delay_alu instid0(VALU_DEP_4) | instskip(SKIP_1) | instid1(VALU_DEP_4)
	v_mul_f64 v[10:11], v[18:19], v[10:11]
	s_waitcnt vmcnt(0)
	v_mul_f64 v[7:8], v[7:8], v[12:13]
	ds_store_2addr_stride64_b64 v9, v[1:2], v[3:4] offset1:4
	ds_store_2addr_stride64_b64 v9, v[10:11], v[7:8] offset0:8 offset1:12
.LBB91_80:
	s_or_b32 exec_lo, exec_lo, s0
	s_cmp_lt_i32 s27, 2
	s_mov_b32 s0, -1
	s_waitcnt lgkmcnt(0)
	s_waitcnt_vscnt null, 0x0
	s_barrier
	buffer_gl0_inv
	s_cbranch_scc0 .LBB91_91
; %bb.81:
	v_add_nc_u32_e32 v1, s22, v0
	s_mov_b32 s2, exec_lo
	s_delay_alu instid0(VALU_DEP_1)
	v_cmpx_gt_i32_e64 s23, v1
	s_cbranch_execz .LBB91_90
; %bb.82:
	v_cmp_neq_f64_e32 vcc_lo, 0, v[5:6]
	s_lshl_b32 s0, s31, 3
	s_mov_b32 s3, 0
	s_sub_i32 s4, 0, s0
	s_branch .LBB91_84
.LBB91_83:                              ;   in Loop: Header=BB91_84 Depth=1
	s_or_b32 exec_lo, exec_lo, s1
	v_add_nc_u32_e32 v1, 0x100, v1
	s_delay_alu instid0(VALU_DEP_2) | instskip(NEXT) | instid1(VALU_DEP_1)
	v_add_co_u32 v7, s1, s20, v7
	v_add_co_ci_u32_e64 v8, s1, s21, v8, s1
	s_delay_alu instid0(VALU_DEP_3) | instskip(SKIP_2) | instid1(SALU_CYCLE_1)
	v_cmp_le_i32_e64 s0, s23, v1
	global_store_b64 v[7:8], v[3:4], off
	s_or_b32 s3, s0, s3
	s_and_not1_b32 exec_lo, exec_lo, s3
	s_cbranch_execz .LBB91_90
.LBB91_84:                              ; =>This Loop Header: Depth=1
                                        ;     Child Loop BB91_86 Depth 2
	v_ashrrev_i32_e32 v2, 31, v1
	s_mov_b32 s1, exec_lo
	s_delay_alu instid0(VALU_DEP_1) | instskip(NEXT) | instid1(VALU_DEP_1)
	v_lshlrev_b64 v[3:4], 2, v[1:2]
	v_add_co_u32 v3, s0, s12, v3
	s_delay_alu instid0(VALU_DEP_1)
	v_add_co_ci_u32_e64 v4, s0, s13, v4, s0
	global_load_b64 v[7:8], v[3:4], off
	v_mov_b32_e32 v3, 0
	v_mov_b32_e32 v4, 0
	s_waitcnt vmcnt(0)
	v_cmpx_lt_i32_e64 v7, v8
	s_cbranch_execz .LBB91_88
; %bb.85:                               ;   in Loop: Header=BB91_84 Depth=1
	v_mov_b32_e32 v3, 0
	v_subrev_nc_u32_e32 v8, s31, v8
	v_subrev_nc_u32_e32 v10, s31, v7
	v_mov_b32_e32 v4, 0
	v_lshl_add_u32 v7, v7, 3, s4
	s_mov_b32 s5, 0
.LBB91_86:                              ;   Parent Loop BB91_84 Depth=1
                                        ; =>  This Inner Loop Header: Depth=2
	ds_load_b64 v[11:12], v7
	v_add_nc_u32_e32 v10, 1, v10
	v_add_nc_u32_e32 v7, 8, v7
	s_delay_alu instid0(VALU_DEP_2) | instskip(NEXT) | instid1(VALU_DEP_1)
	v_cmp_ge_i32_e64 s0, v10, v8
	s_or_b32 s5, s0, s5
	s_waitcnt lgkmcnt(0)
	v_add_f64 v[3:4], v[3:4], v[11:12]
	s_and_not1_b32 exec_lo, exec_lo, s5
	s_cbranch_execnz .LBB91_86
; %bb.87:                               ;   in Loop: Header=BB91_84 Depth=1
	s_or_b32 exec_lo, exec_lo, s5
.LBB91_88:                              ;   in Loop: Header=BB91_84 Depth=1
	s_delay_alu instid0(SALU_CYCLE_1)
	s_or_b32 exec_lo, exec_lo, s1
	v_lshlrev_b64 v[7:8], 3, v[1:2]
	s_and_saveexec_b32 s1, vcc_lo
	s_cbranch_execz .LBB91_83
; %bb.89:                               ;   in Loop: Header=BB91_84 Depth=1
	s_delay_alu instid0(VALU_DEP_1) | instskip(NEXT) | instid1(VALU_DEP_1)
	v_add_co_u32 v10, s0, s20, v7
	v_add_co_ci_u32_e64 v11, s0, s21, v8, s0
	global_load_b64 v[10:11], v[10:11], off
	s_waitcnt vmcnt(0)
	v_fma_f64 v[3:4], v[5:6], v[10:11], v[3:4]
	s_branch .LBB91_83
.LBB91_90:
	s_or_b32 exec_lo, exec_lo, s2
	s_mov_b32 s0, 0
.LBB91_91:
	s_delay_alu instid0(SALU_CYCLE_1)
	s_and_not1_b32 vcc_lo, exec_lo, s0
	s_cbranch_vccnz .LBB91_116
; %bb.92:
	s_clz_i32_u32 s0, s27
	s_mov_b32 s1, exec_lo
	s_xor_b32 s0, s0, 31
	v_mov_b32_e32 v2, 0
	v_lshrrev_b32_e32 v4, s0, v0
	s_add_i32 s0, s27, -1
	s_delay_alu instid0(SALU_CYCLE_1) | instskip(NEXT) | instid1(VALU_DEP_2)
	v_dual_mov_b32 v3, 0 :: v_dual_and_b32 v0, s0, v0
	v_add_nc_u32_e32 v1, s22, v4
	s_delay_alu instid0(VALU_DEP_1)
	v_cmp_le_i32_e32 vcc_lo, s23, v1
	v_cmpx_gt_i32_e64 s23, v1
	s_cbranch_execz .LBB91_98
; %bb.93:
	v_lshlrev_b32_e32 v2, 2, v4
	v_subrev_nc_u32_e32 v7, s31, v0
	s_mov_b32 s2, exec_lo
	global_load_b64 v[2:3], v2, s[24:25]
	s_waitcnt vmcnt(0)
	v_subrev_nc_u32_e32 v4, s31, v3
	v_dual_mov_b32 v2, 0 :: v_dual_add_nc_u32 v7, v2, v7
	v_mov_b32_e32 v3, 0
	s_delay_alu instid0(VALU_DEP_2)
	v_cmpx_lt_i32_e64 v7, v4
	s_cbranch_execz .LBB91_97
; %bb.94:
	v_mov_b32_e32 v2, 0
	v_dual_mov_b32 v3, 0 :: v_dual_lshlrev_b32 v8, 3, v7
	s_lshl_b32 s4, s27, 3
	s_mov_b32 s3, 0
.LBB91_95:                              ; =>This Inner Loop Header: Depth=1
	ds_load_b64 v[10:11], v8
	v_add_nc_u32_e32 v7, s27, v7
	v_add_nc_u32_e32 v8, s4, v8
	s_delay_alu instid0(VALU_DEP_2) | instskip(NEXT) | instid1(VALU_DEP_1)
	v_cmp_ge_i32_e64 s0, v7, v4
	s_or_b32 s3, s0, s3
	s_waitcnt lgkmcnt(0)
	v_add_f64 v[2:3], v[2:3], v[10:11]
	s_and_not1_b32 exec_lo, exec_lo, s3
	s_cbranch_execnz .LBB91_95
; %bb.96:
	s_or_b32 exec_lo, exec_lo, s3
.LBB91_97:
	s_delay_alu instid0(SALU_CYCLE_1)
	s_or_b32 exec_lo, exec_lo, s2
.LBB91_98:
	s_delay_alu instid0(SALU_CYCLE_1)
	s_or_b32 exec_lo, exec_lo, s1
	s_cmpk_lt_i32 s27, 0x81
	s_waitcnt_vscnt null, 0x0
	s_barrier
	buffer_gl0_inv
	ds_store_b64 v9, v[2:3]
	s_waitcnt lgkmcnt(0)
	s_barrier
	buffer_gl0_inv
	s_cbranch_scc1 .LBB91_100
; %bb.99:
	ds_load_b64 v[7:8], v9 offset:1024
	s_waitcnt lgkmcnt(0)
	s_barrier
	buffer_gl0_inv
	v_add_f64 v[2:3], v[2:3], v[7:8]
	ds_store_b64 v9, v[2:3]
.LBB91_100:
	s_cmpk_lt_i32 s27, 0x41
	s_waitcnt lgkmcnt(0)
	s_barrier
	buffer_gl0_inv
	s_cbranch_scc1 .LBB91_102
; %bb.101:
	ds_load_b64 v[7:8], v9 offset:512
	s_waitcnt lgkmcnt(0)
	s_barrier
	buffer_gl0_inv
	v_add_f64 v[2:3], v[2:3], v[7:8]
	ds_store_b64 v9, v[2:3]
.LBB91_102:
	s_cmp_lt_i32 s27, 33
	s_waitcnt lgkmcnt(0)
	s_barrier
	buffer_gl0_inv
	s_cbranch_scc1 .LBB91_104
; %bb.103:
	ds_load_b64 v[7:8], v9 offset:256
	s_waitcnt lgkmcnt(0)
	s_barrier
	buffer_gl0_inv
	v_add_f64 v[2:3], v[2:3], v[7:8]
	ds_store_b64 v9, v[2:3]
.LBB91_104:
	s_cmp_lt_i32 s27, 17
	;; [unrolled: 13-line block ×4, first 2 shown]
	s_waitcnt lgkmcnt(0)
	s_barrier
	buffer_gl0_inv
	s_cbranch_scc1 .LBB91_110
; %bb.109:
	ds_load_b64 v[7:8], v9 offset:32
	s_waitcnt lgkmcnt(0)
	s_barrier
	buffer_gl0_inv
	v_add_f64 v[2:3], v[2:3], v[7:8]
	ds_store_b64 v9, v[2:3]
.LBB91_110:
	s_cmp_eq_u32 s27, 2
	s_waitcnt lgkmcnt(0)
	s_barrier
	buffer_gl0_inv
	s_cbranch_scc1 .LBB91_112
; %bb.111:
	ds_load_b64 v[7:8], v9 offset:16
	s_waitcnt lgkmcnt(0)
	s_barrier
	buffer_gl0_inv
	v_add_f64 v[2:3], v[2:3], v[7:8]
	ds_store_b64 v9, v[2:3]
.LBB91_112:
	s_waitcnt lgkmcnt(0)
	s_barrier
	buffer_gl0_inv
	ds_load_b64 v[7:8], v9 offset:8
	v_cmp_eq_u32_e64 s0, 0, v0
	s_xor_b32 s1, vcc_lo, -1
	s_waitcnt lgkmcnt(0)
	s_barrier
	buffer_gl0_inv
	s_and_b32 s0, s0, s1
	v_add_f64 v[3:4], v[2:3], v[7:8]
	ds_store_b64 v9, v[3:4]
	s_and_b32 exec_lo, exec_lo, s0
	s_cbranch_execz .LBB91_116
; %bb.113:
	v_ashrrev_i32_e32 v2, 31, v1
	s_mov_b32 s0, exec_lo
	s_delay_alu instid0(VALU_DEP_1)
	v_lshlrev_b64 v[0:1], 3, v[1:2]
	v_cmpx_neq_f64_e32 0, v[5:6]
	s_cbranch_execz .LBB91_115
; %bb.114:
	s_delay_alu instid0(VALU_DEP_2) | instskip(NEXT) | instid1(VALU_DEP_3)
	v_add_co_u32 v7, vcc_lo, s20, v0
	v_add_co_ci_u32_e32 v8, vcc_lo, s21, v1, vcc_lo
	global_load_b64 v[7:8], v[7:8], off
	s_waitcnt vmcnt(0)
	v_fma_f64 v[3:4], v[5:6], v[7:8], v[3:4]
.LBB91_115:
	s_or_b32 exec_lo, exec_lo, s0
	s_delay_alu instid0(VALU_DEP_2) | instskip(NEXT) | instid1(VALU_DEP_3)
	v_add_co_u32 v0, vcc_lo, s20, v0
	v_add_co_ci_u32_e32 v1, vcc_lo, s21, v1, vcc_lo
	global_store_b64 v[0:1], v[3:4], off
.LBB91_116:
	s_nop 0
	s_sendmsg sendmsg(MSG_DEALLOC_VGPRS)
	s_endpgm
	.section	.rodata,"a",@progbits
	.p2align	6, 0x0
	.amdhsa_kernel _ZN9rocsparseL22csrmvn_adaptive_kernelIiifdddEEvbT_PKS1_PjPKT0_NS_24const_host_device_scalarIT4_EES3_S7_PKT1_PKT2_SA_PT3_21rocsparse_index_base_b
		.amdhsa_group_segment_fixed_size 8192
		.amdhsa_private_segment_fixed_size 0
		.amdhsa_kernarg_size 96
		.amdhsa_user_sgpr_count 15
		.amdhsa_user_sgpr_dispatch_ptr 0
		.amdhsa_user_sgpr_queue_ptr 0
		.amdhsa_user_sgpr_kernarg_segment_ptr 1
		.amdhsa_user_sgpr_dispatch_id 0
		.amdhsa_user_sgpr_private_segment_size 0
		.amdhsa_wavefront_size32 1
		.amdhsa_uses_dynamic_stack 0
		.amdhsa_enable_private_segment 0
		.amdhsa_system_sgpr_workgroup_id_x 1
		.amdhsa_system_sgpr_workgroup_id_y 0
		.amdhsa_system_sgpr_workgroup_id_z 0
		.amdhsa_system_sgpr_workgroup_info 0
		.amdhsa_system_vgpr_workitem_id 0
		.amdhsa_next_free_vgpr 22
		.amdhsa_next_free_sgpr 43
		.amdhsa_reserve_vcc 1
		.amdhsa_float_round_mode_32 0
		.amdhsa_float_round_mode_16_64 0
		.amdhsa_float_denorm_mode_32 3
		.amdhsa_float_denorm_mode_16_64 3
		.amdhsa_dx10_clamp 1
		.amdhsa_ieee_mode 1
		.amdhsa_fp16_overflow 0
		.amdhsa_workgroup_processor_mode 1
		.amdhsa_memory_ordered 1
		.amdhsa_forward_progress 0
		.amdhsa_shared_vgpr_count 0
		.amdhsa_exception_fp_ieee_invalid_op 0
		.amdhsa_exception_fp_denorm_src 0
		.amdhsa_exception_fp_ieee_div_zero 0
		.amdhsa_exception_fp_ieee_overflow 0
		.amdhsa_exception_fp_ieee_underflow 0
		.amdhsa_exception_fp_ieee_inexact 0
		.amdhsa_exception_int_div_zero 0
	.end_amdhsa_kernel
	.section	.text._ZN9rocsparseL22csrmvn_adaptive_kernelIiifdddEEvbT_PKS1_PjPKT0_NS_24const_host_device_scalarIT4_EES3_S7_PKT1_PKT2_SA_PT3_21rocsparse_index_base_b,"axG",@progbits,_ZN9rocsparseL22csrmvn_adaptive_kernelIiifdddEEvbT_PKS1_PjPKT0_NS_24const_host_device_scalarIT4_EES3_S7_PKT1_PKT2_SA_PT3_21rocsparse_index_base_b,comdat
.Lfunc_end91:
	.size	_ZN9rocsparseL22csrmvn_adaptive_kernelIiifdddEEvbT_PKS1_PjPKT0_NS_24const_host_device_scalarIT4_EES3_S7_PKT1_PKT2_SA_PT3_21rocsparse_index_base_b, .Lfunc_end91-_ZN9rocsparseL22csrmvn_adaptive_kernelIiifdddEEvbT_PKS1_PjPKT0_NS_24const_host_device_scalarIT4_EES3_S7_PKT1_PKT2_SA_PT3_21rocsparse_index_base_b
                                        ; -- End function
	.section	.AMDGPU.csdata,"",@progbits
; Kernel info:
; codeLenInByte = 4692
; NumSgprs: 45
; NumVgprs: 22
; ScratchSize: 0
; MemoryBound: 0
; FloatMode: 240
; IeeeMode: 1
; LDSByteSize: 8192 bytes/workgroup (compile time only)
; SGPRBlocks: 5
; VGPRBlocks: 2
; NumSGPRsForWavesPerEU: 45
; NumVGPRsForWavesPerEU: 22
; Occupancy: 16
; WaveLimiterHint : 1
; COMPUTE_PGM_RSRC2:SCRATCH_EN: 0
; COMPUTE_PGM_RSRC2:USER_SGPR: 15
; COMPUTE_PGM_RSRC2:TRAP_HANDLER: 0
; COMPUTE_PGM_RSRC2:TGID_X_EN: 1
; COMPUTE_PGM_RSRC2:TGID_Y_EN: 0
; COMPUTE_PGM_RSRC2:TGID_Z_EN: 0
; COMPUTE_PGM_RSRC2:TIDIG_COMP_CNT: 0
	.section	.text._ZN9rocsparseL27csrmvn_symm_adaptive_kernelIiifdddEEvbT_S1_PKS1_NS_24const_host_device_scalarIT4_EES3_PKT0_PKT1_PKT2_S6_PT3_21rocsparse_index_base_b,"axG",@progbits,_ZN9rocsparseL27csrmvn_symm_adaptive_kernelIiifdddEEvbT_S1_PKS1_NS_24const_host_device_scalarIT4_EES3_PKT0_PKT1_PKT2_S6_PT3_21rocsparse_index_base_b,comdat
	.globl	_ZN9rocsparseL27csrmvn_symm_adaptive_kernelIiifdddEEvbT_S1_PKS1_NS_24const_host_device_scalarIT4_EES3_PKT0_PKT1_PKT2_S6_PT3_21rocsparse_index_base_b ; -- Begin function _ZN9rocsparseL27csrmvn_symm_adaptive_kernelIiifdddEEvbT_S1_PKS1_NS_24const_host_device_scalarIT4_EES3_PKT0_PKT1_PKT2_S6_PT3_21rocsparse_index_base_b
	.p2align	8
	.type	_ZN9rocsparseL27csrmvn_symm_adaptive_kernelIiifdddEEvbT_S1_PKS1_NS_24const_host_device_scalarIT4_EES3_PKT0_PKT1_PKT2_S6_PT3_21rocsparse_index_base_b,@function
_ZN9rocsparseL27csrmvn_symm_adaptive_kernelIiifdddEEvbT_S1_PKS1_NS_24const_host_device_scalarIT4_EES3_PKT0_PKT1_PKT2_S6_PT3_21rocsparse_index_base_b: ; @_ZN9rocsparseL27csrmvn_symm_adaptive_kernelIiifdddEEvbT_S1_PKS1_NS_24const_host_device_scalarIT4_EES3_PKT0_PKT1_PKT2_S6_PT3_21rocsparse_index_base_b
; %bb.0:
	s_clause 0x2
	s_load_b64 s[20:21], s[0:1], 0x50
	s_load_b64 s[6:7], s[0:1], 0x18
	;; [unrolled: 1-line block ×3, first 2 shown]
	s_mov_b32 s4, s15
	s_waitcnt lgkmcnt(0)
	s_bitcmp1_b32 s21, 0
	v_dual_mov_b32 v8, s7 :: v_dual_mov_b32 v7, s6
	s_cselect_b32 s5, -1, 0
	s_delay_alu instid0(SALU_CYCLE_1)
	s_and_b32 vcc_lo, exec_lo, s5
	s_xor_b32 s5, s5, -1
	s_cbranch_vccnz .LBB92_2
; %bb.1:
	v_dual_mov_b32 v1, s6 :: v_dual_mov_b32 v2, s7
	flat_load_b64 v[7:8], v[1:2]
.LBB92_2:
	v_dual_mov_b32 v1, s2 :: v_dual_mov_b32 v2, s3
	s_and_not1_b32 vcc_lo, exec_lo, s5
	s_cbranch_vccnz .LBB92_4
; %bb.3:
	v_dual_mov_b32 v1, s2 :: v_dual_mov_b32 v2, s3
	flat_load_b64 v[1:2], v[1:2]
.LBB92_4:
	s_waitcnt vmcnt(0) lgkmcnt(0)
	v_cmp_neq_f64_e32 vcc_lo, 0, v[7:8]
	v_cmp_neq_f64_e64 s2, 1.0, v[1:2]
	s_delay_alu instid0(VALU_DEP_1) | instskip(NEXT) | instid1(SALU_CYCLE_1)
	s_or_b32 s2, vcc_lo, s2
	s_and_saveexec_b32 s3, s2
	s_cbranch_execz .LBB92_190
; %bb.5:
	s_load_b64 s[2:3], s[0:1], 0x10
	s_mov_b32 s6, 0
	s_ashr_i32 s5, s4, 31
	s_mov_b32 s7, s6
	v_dual_mov_b32 v1, s6 :: v_dual_lshlrev_b32 v16, 3, v0
	v_mov_b32_e32 v2, s7
	s_lshl_b64 s[4:5], s[4:5], 2
	v_subrev_nc_u32_e32 v13, s20, v0
	ds_store_2addr_stride64_b64 v16, v[1:2], v[1:2] offset1:4
	ds_store_2addr_stride64_b64 v16, v[1:2], v[1:2] offset0:8 offset1:12
	s_waitcnt lgkmcnt(0)
	s_barrier
	buffer_gl0_inv
	s_add_u32 s2, s2, s4
	s_addc_u32 s3, s3, s5
	s_load_b64 s[18:19], s[2:3], 0x0
	s_clause 0x1
	s_load_b256 s[8:15], s[0:1], 0x20
	s_load_b64 s[16:17], s[0:1], 0x48
	s_mov_b32 s2, -1
	s_waitcnt lgkmcnt(0)
	s_sub_i32 s21, s19, s18
	s_delay_alu instid0(SALU_CYCLE_1)
	s_cmp_gt_i32 s21, 2
	s_cbranch_scc1 .LBB92_43
; %bb.6:
	s_cmp_gt_i32 s19, s18
	s_cbranch_scc1 .LBB92_8
; %bb.7:
	s_ashr_i32 s3, s18, 31
	s_mov_b32 s2, s18
	s_delay_alu instid0(SALU_CYCLE_1) | instskip(NEXT) | instid1(SALU_CYCLE_1)
	s_lshl_b64 s[2:3], s[2:3], 2
	s_add_u32 s2, s8, s2
	s_addc_u32 s3, s9, s3
	s_load_b32 s26, s[2:3], 0x0
	s_cbranch_execz .LBB92_9
	s_branch .LBB92_32
.LBB92_8:
                                        ; implicit-def: $sgpr26
	s_and_not1_b32 vcc_lo, exec_lo, s2
	s_cbranch_vccnz .LBB92_32
.LBB92_9:
	s_ashr_i32 s3, s18, 31
	s_mov_b32 s2, s18
	v_cmp_gt_u32_e32 vcc_lo, 0x100, v0
	s_lshl_b64 s[2:3], s[2:3], 2
	v_cmp_gt_u32_e64 s4, 4, v0
	s_add_u32 s2, s8, s2
	s_addc_u32 s3, s9, s3
	v_cmp_eq_u32_e64 s5, 0, v0
	s_waitcnt lgkmcnt(0)
	s_load_b32 s26, s[2:3], 0x0
	v_cmp_gt_u32_e64 s2, 64, v0
	v_cmp_gt_u32_e64 s3, 16, v0
	v_mov_b32_e32 v11, 0
	s_add_u32 s27, s8, 4
	s_addc_u32 s28, s9, 0
	s_mov_b32 s22, s18
	s_waitcnt lgkmcnt(0)
	s_mov_b32 s29, s26
	s_branch .LBB92_11
.LBB92_10:                              ;   in Loop: Header=BB92_11 Depth=1
	s_or_b32 exec_lo, exec_lo, s7
	s_add_i32 s22, s22, 1
	s_delay_alu instid0(SALU_CYCLE_1)
	s_cmp_ge_i32 s22, s19
	s_cbranch_scc1 .LBB92_32
.LBB92_11:                              ; =>This Loop Header: Depth=1
                                        ;     Child Loop BB92_13 Depth 2
                                        ;     Child Loop BB92_27 Depth 2
	;; [unrolled: 1-line block ×3, first 2 shown]
	s_ashr_i32 s23, s22, 31
	s_mov_b32 s24, s29
	s_lshl_b64 s[6:7], s[22:23], 2
	v_dual_mov_b32 v2, 0 :: v_dual_add_nc_u32 v1, s24, v13
	s_add_u32 s6, s27, s6
	s_addc_u32 s7, s28, s7
	v_mov_b32_e32 v3, 0
	s_load_b32 s29, s[6:7], 0x0
	s_mov_b32 s24, exec_lo
	s_waitcnt lgkmcnt(0)
	s_sub_i32 s25, s29, s20
	s_delay_alu instid0(SALU_CYCLE_1)
	v_cmpx_gt_i32_e64 s25, v1
	s_cbranch_execz .LBB92_15
; %bb.12:                               ;   in Loop: Header=BB92_11 Depth=1
	v_ashrrev_i32_e32 v2, 31, v1
	s_mov_b32 s30, 0
	s_delay_alu instid0(VALU_DEP_1) | instskip(SKIP_2) | instid1(VALU_DEP_3)
	v_lshlrev_b64 v[9:10], 2, v[1:2]
	v_mov_b32_e32 v2, 0
	v_mov_b32_e32 v3, 0
	v_add_co_u32 v4, s6, s10, v9
	s_delay_alu instid0(VALU_DEP_1) | instskip(SKIP_1) | instid1(VALU_DEP_1)
	v_add_co_ci_u32_e64 v5, s6, s11, v10, s6
	v_add_co_u32 v9, s6, s12, v9
	v_add_co_ci_u32_e64 v10, s6, s13, v10, s6
	s_set_inst_prefetch_distance 0x1
	.p2align	6
.LBB92_13:                              ;   Parent Loop BB92_11 Depth=1
                                        ; =>  This Inner Loop Header: Depth=2
	global_load_b32 v6, v[4:5], off
	global_load_b32 v12, v[9:10], off
	v_add_nc_u32_e32 v1, 0x100, v1
	v_add_co_u32 v9, s7, 0x400, v9
	s_delay_alu instid0(VALU_DEP_1) | instskip(SKIP_4) | instid1(VALU_DEP_2)
	v_add_co_ci_u32_e64 v10, s7, 0, v10, s7
	s_waitcnt vmcnt(1)
	v_subrev_nc_u32_e32 v14, s20, v6
	s_waitcnt vmcnt(0)
	v_cvt_f64_f32_e32 v[17:18], v12
	v_ashrrev_i32_e32 v15, 31, v14
	s_delay_alu instid0(VALU_DEP_1) | instskip(NEXT) | instid1(VALU_DEP_1)
	v_lshlrev_b64 v[14:15], 3, v[14:15]
	v_add_co_u32 v14, s6, s14, v14
	s_delay_alu instid0(VALU_DEP_1) | instskip(SKIP_1) | instid1(VALU_DEP_1)
	v_add_co_ci_u32_e64 v15, s6, s15, v15, s6
	v_add_co_u32 v4, s6, 0x400, v4
	v_add_co_ci_u32_e64 v5, s6, 0, v5, s6
	global_load_b64 v[14:15], v[14:15], off
	v_cmp_le_i32_e64 s6, s25, v1
	s_delay_alu instid0(VALU_DEP_1)
	s_or_b32 s30, s6, s30
	s_waitcnt vmcnt(0)
	v_fma_f64 v[2:3], v[17:18], v[14:15], v[2:3]
	s_and_not1_b32 exec_lo, exec_lo, s30
	s_cbranch_execnz .LBB92_13
; %bb.14:                               ;   in Loop: Header=BB92_11 Depth=1
	s_set_inst_prefetch_distance 0x2
	s_or_b32 exec_lo, exec_lo, s30
.LBB92_15:                              ;   in Loop: Header=BB92_11 Depth=1
	s_delay_alu instid0(SALU_CYCLE_1)
	s_or_b32 exec_lo, exec_lo, s24
	ds_store_b64 v16, v[2:3]
	s_waitcnt lgkmcnt(0)
	s_barrier
	buffer_gl0_inv
	s_and_saveexec_b32 s6, vcc_lo
	s_cbranch_execz .LBB92_17
; %bb.16:                               ;   in Loop: Header=BB92_11 Depth=1
	ds_load_2addr_stride64_b64 v[1:4], v16 offset1:4
	ds_load_2addr_stride64_b64 v[17:20], v16 offset0:8 offset1:12
	s_waitcnt lgkmcnt(0)
	v_add_f64 v[3:4], v[3:4], v[17:18]
	s_delay_alu instid0(VALU_DEP_1) | instskip(NEXT) | instid1(VALU_DEP_1)
	v_add_f64 v[3:4], v[3:4], v[19:20]
	v_add_f64 v[1:2], v[1:2], v[3:4]
	ds_store_b64 v16, v[1:2]
.LBB92_17:                              ;   in Loop: Header=BB92_11 Depth=1
	s_or_b32 exec_lo, exec_lo, s6
	s_waitcnt lgkmcnt(0)
	s_barrier
	buffer_gl0_inv
	s_and_saveexec_b32 s6, s2
	s_cbranch_execz .LBB92_19
; %bb.18:                               ;   in Loop: Header=BB92_11 Depth=1
	ds_load_2addr_stride64_b64 v[1:4], v16 offset1:1
	ds_load_2addr_stride64_b64 v[17:20], v16 offset0:2 offset1:3
	s_waitcnt lgkmcnt(0)
	v_add_f64 v[3:4], v[3:4], v[17:18]
	s_delay_alu instid0(VALU_DEP_1) | instskip(NEXT) | instid1(VALU_DEP_1)
	v_add_f64 v[3:4], v[3:4], v[19:20]
	v_add_f64 v[1:2], v[1:2], v[3:4]
	ds_store_b64 v16, v[1:2]
.LBB92_19:                              ;   in Loop: Header=BB92_11 Depth=1
	s_or_b32 exec_lo, exec_lo, s6
	s_waitcnt lgkmcnt(0)
	s_barrier
	buffer_gl0_inv
	s_and_saveexec_b32 s6, s3
	s_cbranch_execz .LBB92_21
; %bb.20:                               ;   in Loop: Header=BB92_11 Depth=1
	ds_load_2addr_b64 v[1:4], v16 offset1:16
	ds_load_2addr_b64 v[17:20], v16 offset0:32 offset1:48
	s_waitcnt lgkmcnt(0)
	v_add_f64 v[3:4], v[3:4], v[17:18]
	s_delay_alu instid0(VALU_DEP_1) | instskip(NEXT) | instid1(VALU_DEP_1)
	v_add_f64 v[3:4], v[3:4], v[19:20]
	v_add_f64 v[1:2], v[1:2], v[3:4]
	ds_store_b64 v16, v[1:2]
.LBB92_21:                              ;   in Loop: Header=BB92_11 Depth=1
	s_or_b32 exec_lo, exec_lo, s6
	s_waitcnt lgkmcnt(0)
	s_barrier
	buffer_gl0_inv
	s_and_saveexec_b32 s6, s4
	s_cbranch_execz .LBB92_23
; %bb.22:                               ;   in Loop: Header=BB92_11 Depth=1
	ds_load_2addr_b64 v[1:4], v16 offset1:4
	ds_load_2addr_b64 v[17:20], v16 offset0:8 offset1:12
	s_waitcnt lgkmcnt(0)
	v_add_f64 v[3:4], v[3:4], v[17:18]
	s_delay_alu instid0(VALU_DEP_1) | instskip(NEXT) | instid1(VALU_DEP_1)
	v_add_f64 v[3:4], v[3:4], v[19:20]
	v_add_f64 v[1:2], v[1:2], v[3:4]
	ds_store_b64 v16, v[1:2]
.LBB92_23:                              ;   in Loop: Header=BB92_11 Depth=1
	s_or_b32 exec_lo, exec_lo, s6
	s_waitcnt lgkmcnt(0)
	s_barrier
	buffer_gl0_inv
	s_and_saveexec_b32 s6, s5
	s_cbranch_execz .LBB92_25
; %bb.24:                               ;   in Loop: Header=BB92_11 Depth=1
	ds_load_2addr_b64 v[1:4], v11 offset0:1 offset1:2
	ds_load_b64 v[5:6], v16
	s_waitcnt lgkmcnt(1)
	v_add_f64 v[1:2], v[1:2], v[3:4]
	ds_load_b64 v[3:4], v11 offset:24
	s_waitcnt lgkmcnt(0)
	v_add_f64 v[1:2], v[1:2], v[3:4]
	s_delay_alu instid0(VALU_DEP_1)
	v_add_f64 v[1:2], v[5:6], v[1:2]
	ds_store_b64 v16, v[1:2]
.LBB92_25:                              ;   in Loop: Header=BB92_11 Depth=1
	s_or_b32 exec_lo, exec_lo, s6
	s_waitcnt lgkmcnt(0)
	s_barrier
	buffer_gl0_inv
	s_and_saveexec_b32 s7, s5
	s_cbranch_execz .LBB92_10
; %bb.26:                               ;   in Loop: Header=BB92_11 Depth=1
	ds_load_b64 v[1:2], v11
	v_mov_b32_e32 v5, 0
	v_bfrev_b32_e32 v6, 1
	s_mov_b32 s6, exec_lo
	s_waitcnt lgkmcnt(0)
	v_mul_f64 v[1:2], v[7:8], v[1:2]
.LBB92_27:                              ;   Parent Loop BB92_11 Depth=1
                                        ; =>  This Inner Loop Header: Depth=2
	s_ctz_i32_b32 s30, s6
	s_delay_alu instid0(VALU_DEP_1) | instid1(SALU_CYCLE_1)
	v_readlane_b32 s25, v2, s30
	s_delay_alu instid0(VALU_DEP_2) | instskip(NEXT) | instid1(VALU_DEP_1)
	v_readlane_b32 s24, v1, s30
	v_add_f64 v[5:6], v[5:6], s[24:25]
	s_lshl_b32 s24, 1, s30
	s_delay_alu instid0(SALU_CYCLE_1) | instskip(NEXT) | instid1(SALU_CYCLE_1)
	s_and_not1_b32 s6, s6, s24
	s_cmp_lg_u32 s6, 0
	s_cbranch_scc1 .LBB92_27
; %bb.28:                               ;   in Loop: Header=BB92_11 Depth=1
	v_mbcnt_lo_u32_b32 v1, exec_lo, 0
	s_mov_b32 s24, exec_lo
	s_delay_alu instid0(VALU_DEP_1)
	v_cmpx_eq_u32_e32 0, v1
	s_xor_b32 s24, exec_lo, s24
	s_cbranch_execz .LBB92_10
; %bb.29:                               ;   in Loop: Header=BB92_11 Depth=1
	s_lshl_b64 s[24:25], s[22:23], 3
	s_mov_b32 s23, 0
	s_add_u32 s24, s16, s24
	s_addc_u32 s25, s17, s25
	global_load_b64 v[3:4], v11, s[24:25]
.LBB92_30:                              ;   Parent Loop BB92_11 Depth=1
                                        ; =>  This Inner Loop Header: Depth=2
	s_waitcnt vmcnt(0)
	v_add_f64 v[1:2], v[3:4], v[5:6]
	global_atomic_cmpswap_b64 v[1:2], v11, v[1:4], s[24:25] glc
	s_waitcnt vmcnt(0)
	v_cmp_eq_u64_e64 s6, v[1:2], v[3:4]
	v_dual_mov_b32 v4, v2 :: v_dual_mov_b32 v3, v1
	s_delay_alu instid0(VALU_DEP_2) | instskip(NEXT) | instid1(SALU_CYCLE_1)
	s_or_b32 s23, s6, s23
	s_and_not1_b32 exec_lo, exec_lo, s23
	s_cbranch_execnz .LBB92_30
; %bb.31:                               ;   in Loop: Header=BB92_11 Depth=1
	s_or_b32 exec_lo, exec_lo, s23
	s_branch .LBB92_10
.LBB92_32:
	s_ashr_i32 s3, s19, 31
	s_mov_b32 s2, s19
	s_waitcnt lgkmcnt(0)
	v_add_nc_u32_e32 v5, s26, v13
	s_lshl_b64 s[2:3], s[2:3], 2
	s_mov_b32 s4, exec_lo
	s_add_u32 s2, s8, s2
	s_addc_u32 s3, s9, s3
	s_load_b32 s2, s[2:3], 0x0
	s_waitcnt lgkmcnt(0)
	s_sub_i32 s3, s2, s20
	s_delay_alu instid0(SALU_CYCLE_1)
	v_cmpx_gt_i32_e64 s3, v5
	s_cbranch_execz .LBB92_42
; %bb.33:
	s_add_i32 s5, s19, -1
	s_mov_b32 s7, 0
	s_cmp_gt_i32 s5, s18
	s_cselect_b32 s2, -1, 0
	s_add_i32 s6, s19, -2
	s_delay_alu instid0(SALU_CYCLE_1) | instskip(SKIP_1) | instid1(SALU_CYCLE_1)
	s_cmp_lg_u32 s6, s18
	s_cselect_b32 s6, -1, 0
	s_and_b32 s6, s2, s6
	s_branch .LBB92_35
.LBB92_34:                              ;   in Loop: Header=BB92_35 Depth=1
	s_or_b32 exec_lo, exec_lo, s2
	v_add_nc_u32_e32 v5, 0x100, v5
	s_delay_alu instid0(VALU_DEP_1) | instskip(SKIP_1) | instid1(SALU_CYCLE_1)
	v_cmp_le_i32_e32 vcc_lo, s3, v5
	s_or_b32 s7, vcc_lo, s7
	s_and_not1_b32 exec_lo, exec_lo, s7
	s_cbranch_execz .LBB92_42
.LBB92_35:                              ; =>This Loop Header: Depth=1
                                        ;     Child Loop BB92_37 Depth 2
                                        ;     Child Loop BB92_41 Depth 2
	v_dual_mov_b32 v4, s18 :: v_dual_mov_b32 v1, s5
	s_and_not1_b32 vcc_lo, exec_lo, s6
	s_cbranch_vccnz .LBB92_39
; %bb.36:                               ;   in Loop: Header=BB92_35 Depth=1
	v_dual_mov_b32 v4, s18 :: v_dual_mov_b32 v1, s5
	s_mov_b32 s22, 0
	.p2align	6
.LBB92_37:                              ;   Parent Loop BB92_35 Depth=1
                                        ; =>  This Inner Loop Header: Depth=2
	s_delay_alu instid0(VALU_DEP_1) | instskip(NEXT) | instid1(VALU_DEP_1)
	v_add_nc_u32_e32 v2, v1, v4
	v_lshrrev_b32_e32 v3, 31, v2
	s_delay_alu instid0(VALU_DEP_1) | instskip(NEXT) | instid1(VALU_DEP_1)
	v_add_nc_u32_e32 v2, v2, v3
	v_ashrrev_i32_e32 v2, 1, v2
	s_delay_alu instid0(VALU_DEP_1) | instskip(NEXT) | instid1(VALU_DEP_1)
	v_ashrrev_i32_e32 v3, 31, v2
	v_lshlrev_b64 v[9:10], 2, v[2:3]
	s_delay_alu instid0(VALU_DEP_1) | instskip(NEXT) | instid1(VALU_DEP_2)
	v_add_co_u32 v9, vcc_lo, s8, v9
	v_add_co_ci_u32_e32 v10, vcc_lo, s9, v10, vcc_lo
	global_load_b32 v3, v[9:10], off
	s_waitcnt vmcnt(0)
	v_subrev_nc_u32_e32 v3, s20, v3
	s_delay_alu instid0(VALU_DEP_1) | instskip(SKIP_1) | instid1(VALU_DEP_1)
	v_cmp_gt_i32_e32 vcc_lo, v3, v5
	v_dual_cndmask_b32 v1, v1, v2 :: v_dual_cndmask_b32 v4, v2, v4
	v_add_nc_u32_e32 v2, -1, v1
	s_delay_alu instid0(VALU_DEP_2) | instskip(NEXT) | instid1(VALU_DEP_2)
	v_cmp_ge_i32_e32 vcc_lo, v4, v1
	v_cmp_eq_u32_e64 s2, v4, v2
	s_delay_alu instid0(VALU_DEP_1) | instskip(NEXT) | instid1(SALU_CYCLE_1)
	s_or_b32 s2, vcc_lo, s2
	s_and_b32 s2, exec_lo, s2
	s_delay_alu instid0(SALU_CYCLE_1) | instskip(NEXT) | instid1(SALU_CYCLE_1)
	s_or_b32 s22, s2, s22
	s_and_not1_b32 exec_lo, exec_lo, s22
	s_cbranch_execnz .LBB92_37
; %bb.38:                               ;   in Loop: Header=BB92_35 Depth=1
	s_or_b32 exec_lo, exec_lo, s22
.LBB92_39:                              ;   in Loop: Header=BB92_35 Depth=1
	s_delay_alu instid0(VALU_DEP_1) | instskip(SKIP_2) | instid1(VALU_DEP_2)
	v_ashrrev_i32_e32 v2, 31, v1
	v_ashrrev_i32_e32 v6, 31, v5
	s_mov_b32 s2, exec_lo
	v_lshlrev_b64 v[2:3], 2, v[1:2]
	s_delay_alu instid0(VALU_DEP_1) | instskip(NEXT) | instid1(VALU_DEP_2)
	v_add_co_u32 v9, vcc_lo, s8, v2
	v_add_co_ci_u32_e32 v10, vcc_lo, s9, v3, vcc_lo
	v_lshlrev_b64 v[2:3], 2, v[5:6]
	global_load_b32 v6, v[9:10], off
	v_add_co_u32 v9, vcc_lo, s10, v2
	v_add_co_ci_u32_e32 v10, vcc_lo, s11, v3, vcc_lo
	global_load_b32 v10, v[9:10], off
	s_waitcnt vmcnt(1)
	v_subrev_nc_u32_e32 v6, s20, v6
	s_delay_alu instid0(VALU_DEP_1) | instskip(SKIP_3) | instid1(VALU_DEP_1)
	v_cmp_gt_i32_e32 vcc_lo, v6, v5
	v_cndmask_b32_e32 v9, v1, v4, vcc_lo
	s_waitcnt vmcnt(0)
	v_subrev_nc_u32_e32 v1, s20, v10
	v_cmpx_ne_u32_e64 v1, v9
	s_cbranch_execz .LBB92_34
; %bb.40:                               ;   in Loop: Header=BB92_35 Depth=1
	v_add_co_u32 v2, vcc_lo, s12, v2
	v_add_co_ci_u32_e32 v3, vcc_lo, s13, v3, vcc_lo
	v_ashrrev_i32_e32 v10, 31, v9
	s_mov_b32 s22, 0
	global_load_b32 v6, v[2:3], off
	v_lshlrev_b64 v[2:3], 3, v[9:10]
	s_delay_alu instid0(VALU_DEP_1) | instskip(NEXT) | instid1(VALU_DEP_2)
	v_add_co_u32 v2, vcc_lo, s14, v2
	v_add_co_ci_u32_e32 v3, vcc_lo, s15, v3, vcc_lo
	global_load_b64 v[11:12], v[2:3], off
	v_ashrrev_i32_e32 v2, 31, v1
	s_delay_alu instid0(VALU_DEP_1) | instskip(NEXT) | instid1(VALU_DEP_1)
	v_lshlrev_b64 v[1:2], 3, v[1:2]
	v_add_co_u32 v9, vcc_lo, s16, v1
	s_delay_alu instid0(VALU_DEP_2) | instskip(SKIP_3) | instid1(VALU_DEP_1)
	v_add_co_ci_u32_e32 v10, vcc_lo, s17, v2, vcc_lo
	global_load_b64 v[3:4], v[9:10], off
	s_waitcnt vmcnt(2)
	v_cvt_f64_f32_e32 v[1:2], v6
	v_mul_f64 v[1:2], v[7:8], v[1:2]
	s_waitcnt vmcnt(1)
	s_delay_alu instid0(VALU_DEP_1)
	v_mul_f64 v[11:12], v[11:12], v[1:2]
.LBB92_41:                              ;   Parent Loop BB92_35 Depth=1
                                        ; =>  This Inner Loop Header: Depth=2
	s_waitcnt vmcnt(0)
	s_delay_alu instid0(VALU_DEP_1)
	v_add_f64 v[1:2], v[3:4], v[11:12]
	global_atomic_cmpswap_b64 v[1:2], v[9:10], v[1:4], off glc
	s_waitcnt vmcnt(0)
	v_cmp_eq_u64_e32 vcc_lo, v[1:2], v[3:4]
	v_dual_mov_b32 v4, v2 :: v_dual_mov_b32 v3, v1
	s_or_b32 s22, vcc_lo, s22
	s_delay_alu instid0(SALU_CYCLE_1)
	s_and_not1_b32 exec_lo, exec_lo, s22
	s_cbranch_execnz .LBB92_41
	s_branch .LBB92_34
.LBB92_42:
	s_or_b32 exec_lo, exec_lo, s4
	s_mov_b32 s2, 0
.LBB92_43:
	s_delay_alu instid0(SALU_CYCLE_1)
	s_and_b32 vcc_lo, exec_lo, s2
	s_cbranch_vccz .LBB92_190
; %bb.44:
	s_ashr_i32 s3, s18, 31
	s_mov_b32 s2, s18
	s_sub_i32 s7, 0, s21
	s_lshl_b64 s[2:3], s[2:3], 2
	v_cvt_f32_u32_e32 v1, s21
	s_add_u32 s2, s8, s2
	s_addc_u32 s3, s9, s3
	s_load_b32 s22, s[2:3], 0x0
	s_delay_alu instid0(VALU_DEP_1)
	v_rcp_iflag_f32_e32 v1, v1
	s_clause 0x1
	s_load_b64 s[4:5], s[0:1], 0x4
	s_load_b32 s1, s[0:1], 0x64
	s_waitcnt_depctr 0xfff
	v_mul_f32_e32 v1, 0x4f7ffffe, v1
	s_delay_alu instid0(VALU_DEP_1) | instskip(SKIP_2) | instid1(VALU_DEP_2)
	v_cvt_u32_f32_e32 v1, v1
	s_waitcnt lgkmcnt(0)
	v_add_nc_u32_e32 v5, s22, v13
	v_readfirstlane_b32 s6, v1
	s_delay_alu instid0(VALU_DEP_2) | instskip(NEXT) | instid1(VALU_DEP_2)
	v_add_nc_u32_e32 v17, 0x300, v5
	s_mul_i32 s7, s7, s6
	s_delay_alu instid0(VALU_DEP_1) | instskip(SKIP_2) | instid1(SALU_CYCLE_1)
	v_cmp_le_i32_e32 vcc_lo, s4, v17
	s_mul_hi_u32 s4, s6, s7
	s_and_saveexec_b32 s0, vcc_lo
	s_xor_b32 s7, exec_lo, s0
	s_cbranch_execz .LBB92_49
; %bb.45:
	s_ashr_i32 s25, s19, 31
	s_mov_b32 s24, s19
	s_delay_alu instid0(SALU_CYCLE_1) | instskip(NEXT) | instid1(SALU_CYCLE_1)
	s_lshl_b64 s[24:25], s[24:25], 2
	s_add_u32 s24, s8, s24
	s_addc_u32 s25, s9, s25
	s_load_b32 s0, s[24:25], 0x0
	s_mov_b32 s24, exec_lo
	s_waitcnt lgkmcnt(0)
	s_sub_i32 s23, s0, s22
	s_delay_alu instid0(SALU_CYCLE_1)
	v_cmpx_gt_i32_e64 s23, v0
	s_cbranch_execz .LBB92_48
; %bb.46:
	v_mov_b32_e32 v1, v0
	v_mov_b32_e32 v2, v16
	s_sub_i32 s25, s22, s20
	s_mov_b32 s26, 0
	.p2align	6
.LBB92_47:                              ; =>This Inner Loop Header: Depth=1
	s_delay_alu instid0(VALU_DEP_2) | instskip(SKIP_1) | instid1(VALU_DEP_2)
	v_add_nc_u32_e32 v3, s25, v1
	v_add_nc_u32_e32 v1, 0x100, v1
	v_ashrrev_i32_e32 v4, 31, v3
	s_delay_alu instid0(VALU_DEP_1) | instskip(NEXT) | instid1(VALU_DEP_1)
	v_lshlrev_b64 v[3:4], 2, v[3:4]
	v_add_co_u32 v3, s0, s12, v3
	s_delay_alu instid0(VALU_DEP_1)
	v_add_co_ci_u32_e64 v4, s0, s13, v4, s0
	v_cmp_le_i32_e64 s0, s23, v1
	global_load_b32 v3, v[3:4], off
	s_or_b32 s26, s0, s26
	s_waitcnt vmcnt(0)
	v_cvt_f64_f32_e32 v[3:4], v3
	s_delay_alu instid0(VALU_DEP_1)
	v_mul_f64 v[3:4], v[7:8], v[3:4]
	ds_store_b64 v2, v[3:4]
	v_add_nc_u32_e32 v2, 0x800, v2
	s_and_not1_b32 exec_lo, exec_lo, s26
	s_cbranch_execnz .LBB92_47
.LBB92_48:
	s_or_b32 exec_lo, exec_lo, s24
                                        ; implicit-def: $vgpr7_vgpr8
.LBB92_49:
	s_or_saveexec_b32 s7, s7
	v_ashrrev_i32_e32 v6, 31, v5
	s_and_b32 s1, s1, 0xffff
	s_add_i32 s6, s6, s4
	s_xor_b32 exec_lo, exec_lo, s7
	s_cbranch_execz .LBB92_51
; %bb.50:
	v_lshlrev_b64 v[1:2], 2, v[5:6]
	s_delay_alu instid0(VALU_DEP_1) | instskip(NEXT) | instid1(VALU_DEP_1)
	v_add_co_u32 v1, s0, s12, v1
	v_add_co_ci_u32_e64 v2, s0, s13, v2, s0
	s_clause 0x3
	global_load_b32 v3, v[1:2], off
	global_load_b32 v4, v[1:2], off offset:1024
	global_load_b32 v9, v[1:2], off offset:2048
	;; [unrolled: 1-line block ×3, first 2 shown]
	s_waitcnt vmcnt(3)
	v_cvt_f64_f32_e32 v[1:2], v3
	s_waitcnt vmcnt(2)
	v_cvt_f64_f32_e32 v[3:4], v4
	;; [unrolled: 2-line block ×4, first 2 shown]
	s_delay_alu instid0(VALU_DEP_4) | instskip(NEXT) | instid1(VALU_DEP_4)
	v_mul_f64 v[1:2], v[7:8], v[1:2]
	v_mul_f64 v[3:4], v[7:8], v[3:4]
	s_delay_alu instid0(VALU_DEP_4) | instskip(NEXT) | instid1(VALU_DEP_4)
	v_mul_f64 v[9:10], v[7:8], v[9:10]
	v_mul_f64 v[7:8], v[7:8], v[11:12]
	ds_store_2addr_stride64_b64 v16, v[1:2], v[3:4] offset1:4
	ds_store_2addr_stride64_b64 v16, v[9:10], v[7:8] offset0:8 offset1:12
.LBB92_51:
	s_or_b32 exec_lo, exec_lo, s7
	s_mul_hi_u32 s4, s1, s6
	s_mov_b32 s6, exec_lo
	v_cmpx_gt_i32_e64 s5, v0
	s_cbranch_execz .LBB92_54
; %bb.52:
	v_dual_mov_b32 v1, 0 :: v_dual_mov_b32 v4, v0
	v_lshl_add_u32 v3, v0, 3, 0x2000
	s_mov_b32 s7, 0
	s_delay_alu instid0(VALU_DEP_2)
	v_mov_b32_e32 v2, v1
.LBB92_53:                              ; =>This Inner Loop Header: Depth=1
	s_delay_alu instid0(VALU_DEP_3) | instskip(SKIP_3) | instid1(VALU_DEP_1)
	v_add_nc_u32_e32 v4, 0x100, v4
	ds_store_b64 v3, v[1:2]
	v_add_nc_u32_e32 v3, 0x800, v3
	v_cmp_le_i32_e64 s0, s5, v4
	s_or_b32 s7, s0, s7
	s_delay_alu instid0(SALU_CYCLE_1)
	s_and_not1_b32 exec_lo, exec_lo, s7
	s_cbranch_execnz .LBB92_53
.LBB92_54:
	s_or_b32 exec_lo, exec_lo, s6
	s_sub_i32 s0, s19, s5
	s_cmp_ge_i32 s19, s5
	s_waitcnt lgkmcnt(0)
	s_cselect_b32 s12, s0, 0
	s_barrier
	buffer_gl0_inv
	s_and_saveexec_b32 s0, vcc_lo
	s_delay_alu instid0(SALU_CYCLE_1)
	s_xor_b32 s6, exec_lo, s0
	s_cbranch_execz .LBB92_75
; %bb.55:
	s_ashr_i32 s25, s19, 31
	s_mov_b32 s24, s19
	s_mov_b32 s13, exec_lo
	s_lshl_b64 s[24:25], s[24:25], 2
	s_delay_alu instid0(SALU_CYCLE_1) | instskip(SKIP_4) | instid1(SALU_CYCLE_1)
	s_add_u32 s24, s8, s24
	s_addc_u32 s25, s9, s25
	s_load_b32 s0, s[24:25], 0x0
	s_waitcnt lgkmcnt(0)
	s_sub_i32 s7, s0, s22
	v_cmpx_gt_i32_e64 s7, v0
	s_cbranch_execz .LBB92_74
; %bb.56:
	s_add_i32 s23, s19, -1
	s_mov_b32 s26, 0
	s_cmp_gt_i32 s23, s18
	s_mov_b32 s27, 0
	s_cselect_b32 s24, -1, 0
	s_add_i32 s25, s19, -2
	s_delay_alu instid0(SALU_CYCLE_1) | instskip(SKIP_1) | instid1(SALU_CYCLE_1)
	s_cmp_lg_u32 s25, s18
	s_cselect_b32 s25, -1, 0
	s_and_b32 s24, s24, s25
	s_sub_i32 s25, s0, s20
	s_branch .LBB92_59
.LBB92_57:                              ;   in Loop: Header=BB92_59 Depth=1
	s_or_b32 exec_lo, exec_lo, s0
.LBB92_58:                              ;   in Loop: Header=BB92_59 Depth=1
	s_delay_alu instid0(SALU_CYCLE_1) | instskip(SKIP_2) | instid1(SALU_CYCLE_1)
	s_or_b32 exec_lo, exec_lo, s28
	v_ashrrev_i32_e32 v7, 31, v6
	s_addk_i32 s27, 0x100
	v_add_nc_u32_e32 v3, s27, v0
	s_delay_alu instid0(VALU_DEP_2) | instskip(NEXT) | instid1(VALU_DEP_1)
	v_lshlrev_b64 v[1:2], 3, v[6:7]
	v_add_co_u32 v1, vcc_lo, s14, v1
	s_delay_alu instid0(VALU_DEP_2) | instskip(NEXT) | instid1(VALU_DEP_4)
	v_add_co_ci_u32_e32 v2, vcc_lo, s15, v2, vcc_lo
	v_cmp_le_i32_e32 vcc_lo, s7, v3
	global_load_b64 v[1:2], v[1:2], off
	s_or_b32 s26, vcc_lo, s26
	s_waitcnt vmcnt(0) lgkmcnt(0)
	v_mul_f64 v[1:2], v[1:2], v[8:9]
	ds_store_b64 v14, v[1:2]
	s_and_not1_b32 exec_lo, exec_lo, s26
	s_cbranch_execz .LBB92_74
.LBB92_59:                              ; =>This Loop Header: Depth=1
                                        ;     Child Loop BB92_61 Depth 2
                                        ;     Child Loop BB92_68 Depth 2
	;; [unrolled: 1-line block ×3, first 2 shown]
	v_add_nc_u32_e32 v1, s27, v5
	v_mov_b32_e32 v7, s18
	v_mov_b32_e32 v3, s23
	s_and_not1_b32 vcc_lo, exec_lo, s24
	s_cbranch_vccnz .LBB92_63
; %bb.60:                               ;   in Loop: Header=BB92_59 Depth=1
	v_mov_b32_e32 v7, s18
	v_mov_b32_e32 v3, s23
	s_mov_b32 s28, 0
	.p2align	6
.LBB92_61:                              ;   Parent Loop BB92_59 Depth=1
                                        ; =>  This Inner Loop Header: Depth=2
	s_delay_alu instid0(VALU_DEP_1) | instskip(NEXT) | instid1(VALU_DEP_1)
	v_add_nc_u32_e32 v2, v3, v7
	v_lshrrev_b32_e32 v4, 31, v2
	s_delay_alu instid0(VALU_DEP_1) | instskip(NEXT) | instid1(VALU_DEP_1)
	v_add_nc_u32_e32 v2, v2, v4
	v_ashrrev_i32_e32 v8, 1, v2
	s_delay_alu instid0(VALU_DEP_1) | instskip(NEXT) | instid1(VALU_DEP_1)
	v_ashrrev_i32_e32 v9, 31, v8
	v_lshlrev_b64 v[9:10], 2, v[8:9]
	s_delay_alu instid0(VALU_DEP_1) | instskip(NEXT) | instid1(VALU_DEP_2)
	v_add_co_u32 v9, vcc_lo, s8, v9
	v_add_co_ci_u32_e32 v10, vcc_lo, s9, v10, vcc_lo
	global_load_b32 v2, v[9:10], off
	s_waitcnt vmcnt(0)
	v_subrev_nc_u32_e32 v2, s20, v2
	s_delay_alu instid0(VALU_DEP_1) | instskip(SKIP_2) | instid1(VALU_DEP_1)
	v_cmp_gt_i32_e32 vcc_lo, v2, v1
	v_cndmask_b32_e32 v7, v8, v7, vcc_lo
	v_cndmask_b32_e32 v3, v3, v8, vcc_lo
	v_add_nc_u32_e32 v2, -1, v3
	s_delay_alu instid0(VALU_DEP_3) | instskip(NEXT) | instid1(VALU_DEP_2)
	v_cmp_ge_i32_e32 vcc_lo, v7, v3
	v_cmp_eq_u32_e64 s0, v7, v2
	s_delay_alu instid0(VALU_DEP_1) | instskip(NEXT) | instid1(SALU_CYCLE_1)
	s_or_b32 s0, vcc_lo, s0
	s_and_b32 s0, exec_lo, s0
	s_delay_alu instid0(SALU_CYCLE_1) | instskip(NEXT) | instid1(SALU_CYCLE_1)
	s_or_b32 s28, s0, s28
	s_and_not1_b32 exec_lo, exec_lo, s28
	s_cbranch_execnz .LBB92_61
; %bb.62:                               ;   in Loop: Header=BB92_59 Depth=1
	s_or_b32 exec_lo, exec_lo, s28
.LBB92_63:                              ;   in Loop: Header=BB92_59 Depth=1
	s_delay_alu instid0(VALU_DEP_1) | instskip(SKIP_3) | instid1(VALU_DEP_4)
	v_ashrrev_i32_e32 v4, 31, v3
	v_ashrrev_i32_e32 v2, 31, v1
	v_cmp_le_i32_e64 s0, s25, v1
	v_lshl_add_u32 v14, s27, 3, v16
	v_lshlrev_b64 v[8:9], 2, v[3:4]
	s_delay_alu instid0(VALU_DEP_4) | instskip(NEXT) | instid1(VALU_DEP_2)
	v_lshlrev_b64 v[10:11], 2, v[1:2]
	v_add_co_u32 v8, vcc_lo, s8, v8
	s_delay_alu instid0(VALU_DEP_3) | instskip(NEXT) | instid1(VALU_DEP_3)
	v_add_co_ci_u32_e32 v9, vcc_lo, s9, v9, vcc_lo
	v_add_co_u32 v10, vcc_lo, s10, v10
	s_delay_alu instid0(VALU_DEP_4)
	v_add_co_ci_u32_e32 v11, vcc_lo, s11, v11, vcc_lo
	global_load_b32 v2, v[8:9], off
	global_load_b32 v4, v[10:11], off
                                        ; implicit-def: $vgpr8_vgpr9
	s_waitcnt vmcnt(1)
	v_subrev_nc_u32_e32 v2, s20, v2
	s_waitcnt vmcnt(0)
	v_subrev_nc_u32_e32 v6, s20, v4
	s_delay_alu instid0(VALU_DEP_2) | instskip(SKIP_1) | instid1(VALU_DEP_1)
	v_cmp_gt_i32_e32 vcc_lo, v2, v1
	v_cndmask_b32_e32 v2, v3, v7, vcc_lo
	v_cmp_eq_u32_e32 vcc_lo, v6, v2
	s_or_b32 s0, vcc_lo, s0
	s_delay_alu instid0(SALU_CYCLE_1) | instskip(NEXT) | instid1(SALU_CYCLE_1)
	s_and_saveexec_b32 s28, s0
	s_xor_b32 s0, exec_lo, s28
	s_cbranch_execz .LBB92_65
; %bb.64:                               ;   in Loop: Header=BB92_59 Depth=1
	ds_load_b64 v[8:9], v14
                                        ; implicit-def: $vgpr2
.LBB92_65:                              ;   in Loop: Header=BB92_59 Depth=1
	s_and_not1_saveexec_b32 s28, s0
	s_cbranch_execz .LBB92_58
; %bb.66:                               ;   in Loop: Header=BB92_59 Depth=1
	v_ashrrev_i32_e32 v3, 31, v2
	s_waitcnt lgkmcnt(0)
	ds_load_b64 v[8:9], v14
	v_cmp_le_i32_e64 s0, s19, v6
	v_lshlrev_b64 v[1:2], 3, v[2:3]
	s_delay_alu instid0(VALU_DEP_1) | instskip(NEXT) | instid1(VALU_DEP_2)
	v_add_co_u32 v1, vcc_lo, s14, v1
	v_add_co_ci_u32_e32 v2, vcc_lo, s15, v2, vcc_lo
	v_cmp_gt_i32_e32 vcc_lo, s12, v6
	global_load_b64 v[1:2], v[1:2], off
	s_or_b32 s0, vcc_lo, s0
	s_waitcnt vmcnt(0) lgkmcnt(0)
	v_mul_f64 v[10:11], v[8:9], v[1:2]
	s_and_saveexec_b32 s29, s0
	s_delay_alu instid0(SALU_CYCLE_1)
	s_xor_b32 s0, exec_lo, s29
	s_cbranch_execz .LBB92_70
; %bb.67:                               ;   in Loop: Header=BB92_59 Depth=1
	v_ashrrev_i32_e32 v7, 31, v6
	s_mov_b32 s29, 0
	s_delay_alu instid0(VALU_DEP_1) | instskip(NEXT) | instid1(VALU_DEP_1)
	v_lshlrev_b64 v[1:2], 3, v[6:7]
	v_add_co_u32 v12, vcc_lo, s16, v1
	s_delay_alu instid0(VALU_DEP_2)
	v_add_co_ci_u32_e32 v13, vcc_lo, s17, v2, vcc_lo
	global_load_b64 v[3:4], v[12:13], off
.LBB92_68:                              ;   Parent Loop BB92_59 Depth=1
                                        ; =>  This Inner Loop Header: Depth=2
	s_waitcnt vmcnt(0)
	v_add_f64 v[1:2], v[3:4], v[10:11]
	global_atomic_cmpswap_b64 v[1:2], v[12:13], v[1:4], off glc
	s_waitcnt vmcnt(0)
	v_cmp_eq_u64_e32 vcc_lo, v[1:2], v[3:4]
	v_dual_mov_b32 v4, v2 :: v_dual_mov_b32 v3, v1
	s_or_b32 s29, vcc_lo, s29
	s_delay_alu instid0(SALU_CYCLE_1)
	s_and_not1_b32 exec_lo, exec_lo, s29
	s_cbranch_execnz .LBB92_68
; %bb.69:                               ;   in Loop: Header=BB92_59 Depth=1
	s_or_b32 exec_lo, exec_lo, s29
                                        ; implicit-def: $vgpr10_vgpr11
.LBB92_70:                              ;   in Loop: Header=BB92_59 Depth=1
	s_and_not1_saveexec_b32 s0, s0
	s_cbranch_execz .LBB92_57
; %bb.71:                               ;   in Loop: Header=BB92_59 Depth=1
	v_subrev_nc_u32_e32 v1, s12, v6
	s_mov_b32 s29, 0
	s_delay_alu instid0(VALU_DEP_1)
	v_lshl_add_u32 v3, v1, 3, 0x2000
	ds_load_b64 v[1:2], v3
.LBB92_72:                              ;   Parent Loop BB92_59 Depth=1
                                        ; =>  This Inner Loop Header: Depth=2
	s_waitcnt lgkmcnt(0)
	v_add_f64 v[12:13], v[1:2], v[10:11]
	ds_cmpstore_rtn_b64 v[12:13], v3, v[12:13], v[1:2]
	s_waitcnt lgkmcnt(0)
	v_cmp_eq_u64_e32 vcc_lo, v[12:13], v[1:2]
	v_dual_mov_b32 v1, v12 :: v_dual_mov_b32 v2, v13
	s_or_b32 s29, vcc_lo, s29
	s_delay_alu instid0(SALU_CYCLE_1)
	s_and_not1_b32 exec_lo, exec_lo, s29
	s_cbranch_execnz .LBB92_72
; %bb.73:                               ;   in Loop: Header=BB92_59 Depth=1
	s_or_b32 exec_lo, exec_lo, s29
	s_branch .LBB92_57
.LBB92_74:
	s_or_b32 exec_lo, exec_lo, s13
                                        ; implicit-def: $vgpr17
                                        ; implicit-def: $vgpr5
.LBB92_75:
	s_and_not1_saveexec_b32 s13, s6
	s_cbranch_execz .LBB92_149
; %bb.76:
	s_add_i32 s23, s19, -1
	v_mov_b32_e32 v3, s18
	s_cmp_le_i32 s23, s18
	v_mov_b32_e32 v1, s23
	s_cselect_b32 s0, -1, 0
	s_add_i32 s6, s19, -2
	s_delay_alu instid0(SALU_CYCLE_1) | instskip(SKIP_1) | instid1(SALU_CYCLE_1)
	s_cmp_eq_u32 s6, s18
	s_cselect_b32 s6, -1, 0
	s_or_b32 s6, s0, s6
	s_delay_alu instid0(SALU_CYCLE_1)
	s_and_b32 vcc_lo, exec_lo, s6
	s_cbranch_vccnz .LBB92_80
; %bb.77:
	v_mov_b32_e32 v3, s18
	v_mov_b32_e32 v1, s23
	s_mov_b32 s7, 0
	.p2align	6
.LBB92_78:                              ; =>This Inner Loop Header: Depth=1
	s_delay_alu instid0(VALU_DEP_1) | instskip(NEXT) | instid1(VALU_DEP_1)
	v_add_nc_u32_e32 v2, v1, v3
	v_lshrrev_b32_e32 v4, 31, v2
	s_delay_alu instid0(VALU_DEP_1) | instskip(NEXT) | instid1(VALU_DEP_1)
	v_add_nc_u32_e32 v2, v2, v4
	v_ashrrev_i32_e32 v7, 1, v2
	s_delay_alu instid0(VALU_DEP_1) | instskip(NEXT) | instid1(VALU_DEP_1)
	v_ashrrev_i32_e32 v8, 31, v7
	v_lshlrev_b64 v[8:9], 2, v[7:8]
	s_delay_alu instid0(VALU_DEP_1) | instskip(NEXT) | instid1(VALU_DEP_2)
	v_add_co_u32 v8, vcc_lo, s8, v8
	v_add_co_ci_u32_e32 v9, vcc_lo, s9, v9, vcc_lo
	global_load_b32 v2, v[8:9], off
	s_waitcnt vmcnt(0)
	v_subrev_nc_u32_e32 v2, s20, v2
	s_delay_alu instid0(VALU_DEP_1) | instskip(SKIP_1) | instid1(VALU_DEP_1)
	v_cmp_gt_i32_e32 vcc_lo, v2, v5
	v_cndmask_b32_e32 v1, v1, v7, vcc_lo
	v_dual_cndmask_b32 v3, v7, v3 :: v_dual_add_nc_u32 v2, -1, v1
	s_delay_alu instid0(VALU_DEP_1) | instskip(NEXT) | instid1(VALU_DEP_2)
	v_cmp_ge_i32_e32 vcc_lo, v3, v1
	v_cmp_eq_u32_e64 s0, v3, v2
	s_delay_alu instid0(VALU_DEP_1) | instskip(NEXT) | instid1(SALU_CYCLE_1)
	s_or_b32 s0, vcc_lo, s0
	s_and_b32 s0, exec_lo, s0
	s_delay_alu instid0(SALU_CYCLE_1) | instskip(NEXT) | instid1(SALU_CYCLE_1)
	s_or_b32 s7, s0, s7
	s_and_not1_b32 exec_lo, exec_lo, s7
	s_cbranch_execnz .LBB92_78
; %bb.79:
	s_or_b32 exec_lo, exec_lo, s7
.LBB92_80:
	v_ashrrev_i32_e32 v2, 31, v1
	v_lshlrev_b64 v[9:10], 2, v[5:6]
	s_xor_b32 s24, s6, -1
	s_ashr_i32 s7, s19, 31
	s_mov_b32 s6, s19
	v_lshlrev_b64 v[7:8], 2, v[1:2]
	s_lshl_b64 s[6:7], s[6:7], 2
	s_mov_b32 s0, exec_lo
	s_add_u32 s6, s8, s6
	s_addc_u32 s7, s9, s7
	s_delay_alu instid0(VALU_DEP_1)
	v_add_co_u32 v7, vcc_lo, s8, v7
	v_add_co_ci_u32_e32 v8, vcc_lo, s9, v8, vcc_lo
	v_add_co_u32 v6, vcc_lo, s10, v9
	global_load_b32 v2, v[7:8], off
	v_add_co_ci_u32_e32 v7, vcc_lo, s11, v10, vcc_lo
                                        ; implicit-def: $vgpr10_vgpr11
	global_load_b32 v4, v[6:7], off
	s_waitcnt vmcnt(1)
	v_subrev_nc_u32_e32 v2, s20, v2
	s_delay_alu instid0(VALU_DEP_1) | instskip(SKIP_3) | instid1(VALU_DEP_1)
	v_cmp_gt_i32_e32 vcc_lo, v2, v5
	s_waitcnt vmcnt(0)
	v_subrev_nc_u32_e32 v8, s20, v4
	v_cndmask_b32_e32 v1, v1, v3, vcc_lo
	v_cmpx_ne_u32_e64 v8, v1
	s_xor_b32 s10, exec_lo, s0
	s_cbranch_execz .LBB92_92
; %bb.81:
	s_load_b32 s0, s[6:7], 0x0
	ds_load_b64 v[10:11], v16
	s_mov_b32 s11, exec_lo
	s_waitcnt lgkmcnt(0)
	s_sub_i32 s0, s0, s20
	s_delay_alu instid0(SALU_CYCLE_1)
	v_cmpx_gt_i32_e64 s0, v5
	s_cbranch_execz .LBB92_91
; %bb.82:
	v_ashrrev_i32_e32 v2, 31, v1
	v_cmp_le_i32_e64 s0, s19, v8
	s_delay_alu instid0(VALU_DEP_2) | instskip(NEXT) | instid1(VALU_DEP_1)
	v_lshlrev_b64 v[1:2], 3, v[1:2]
	v_add_co_u32 v1, vcc_lo, s14, v1
	s_delay_alu instid0(VALU_DEP_2)
	v_add_co_ci_u32_e32 v2, vcc_lo, s15, v2, vcc_lo
	v_cmp_gt_i32_e32 vcc_lo, s12, v8
	global_load_b64 v[1:2], v[1:2], off
	s_or_b32 s0, vcc_lo, s0
	s_waitcnt vmcnt(0)
	v_mul_f64 v[12:13], v[10:11], v[1:2]
	s_and_saveexec_b32 s25, s0
	s_delay_alu instid0(SALU_CYCLE_1)
	s_xor_b32 s0, exec_lo, s25
	s_cbranch_execz .LBB92_86
; %bb.83:
	v_ashrrev_i32_e32 v9, 31, v8
	s_mov_b32 s25, 0
	s_delay_alu instid0(VALU_DEP_1) | instskip(NEXT) | instid1(VALU_DEP_1)
	v_lshlrev_b64 v[1:2], 3, v[8:9]
	v_add_co_u32 v14, vcc_lo, s16, v1
	s_delay_alu instid0(VALU_DEP_2)
	v_add_co_ci_u32_e32 v15, vcc_lo, s17, v2, vcc_lo
	global_load_b64 v[3:4], v[14:15], off
.LBB92_84:                              ; =>This Inner Loop Header: Depth=1
	s_waitcnt vmcnt(0)
	v_add_f64 v[1:2], v[3:4], v[12:13]
	global_atomic_cmpswap_b64 v[1:2], v[14:15], v[1:4], off glc
	s_waitcnt vmcnt(0)
	v_cmp_eq_u64_e32 vcc_lo, v[1:2], v[3:4]
	v_dual_mov_b32 v4, v2 :: v_dual_mov_b32 v3, v1
	s_or_b32 s25, vcc_lo, s25
	s_delay_alu instid0(SALU_CYCLE_1)
	s_and_not1_b32 exec_lo, exec_lo, s25
	s_cbranch_execnz .LBB92_84
; %bb.85:
	s_or_b32 exec_lo, exec_lo, s25
                                        ; implicit-def: $vgpr12_vgpr13
.LBB92_86:
	s_and_not1_saveexec_b32 s0, s0
	s_cbranch_execz .LBB92_90
; %bb.87:
	v_subrev_nc_u32_e32 v1, s12, v8
	s_mov_b32 s25, 0
	s_delay_alu instid0(VALU_DEP_1)
	v_lshl_add_u32 v3, v1, 3, 0x2000
	ds_load_b64 v[1:2], v3
.LBB92_88:                              ; =>This Inner Loop Header: Depth=1
	s_waitcnt lgkmcnt(0)
	v_add_f64 v[14:15], v[1:2], v[12:13]
	ds_cmpstore_rtn_b64 v[14:15], v3, v[14:15], v[1:2]
	s_waitcnt lgkmcnt(0)
	v_cmp_eq_u64_e32 vcc_lo, v[14:15], v[1:2]
	v_dual_mov_b32 v1, v14 :: v_dual_mov_b32 v2, v15
	s_or_b32 s25, vcc_lo, s25
	s_delay_alu instid0(SALU_CYCLE_1)
	s_and_not1_b32 exec_lo, exec_lo, s25
	s_cbranch_execnz .LBB92_88
; %bb.89:
	s_or_b32 exec_lo, exec_lo, s25
.LBB92_90:
	s_delay_alu instid0(SALU_CYCLE_1)
	s_or_b32 exec_lo, exec_lo, s0
.LBB92_91:
	s_delay_alu instid0(SALU_CYCLE_1)
	s_or_b32 exec_lo, exec_lo, s11
.LBB92_92:
	s_and_not1_saveexec_b32 s0, s10
	s_cbranch_execz .LBB92_94
; %bb.93:
	ds_load_b64 v[10:11], v16
.LBB92_94:
	s_or_b32 exec_lo, exec_lo, s0
	v_ashrrev_i32_e32 v9, 31, v8
	v_cndmask_b32_e64 v18, 0, 1, s24
	v_dual_mov_b32 v4, s18 :: v_dual_add_nc_u32 v3, 0x100, v5
	s_delay_alu instid0(VALU_DEP_3) | instskip(NEXT) | instid1(VALU_DEP_1)
	v_lshlrev_b64 v[1:2], 3, v[8:9]
	v_add_co_u32 v1, vcc_lo, s14, v1
	s_delay_alu instid0(VALU_DEP_2)
	v_add_co_ci_u32_e32 v2, vcc_lo, s15, v2, vcc_lo
	s_and_not1_b32 vcc_lo, exec_lo, s24
	global_load_b64 v[1:2], v[1:2], off
	s_waitcnt vmcnt(0) lgkmcnt(0)
	v_mul_f64 v[8:9], v[1:2], v[10:11]
	v_mov_b32_e32 v1, s23
	ds_store_b64 v16, v[8:9]
	s_cbranch_vccnz .LBB92_98
; %bb.95:
	v_dual_mov_b32 v4, s18 :: v_dual_mov_b32 v1, s23
	s_mov_b32 s10, 0
	.p2align	6
.LBB92_96:                              ; =>This Inner Loop Header: Depth=1
	s_delay_alu instid0(VALU_DEP_1) | instskip(NEXT) | instid1(VALU_DEP_1)
	v_add_nc_u32_e32 v2, v1, v4
	v_lshrrev_b32_e32 v8, 31, v2
	s_delay_alu instid0(VALU_DEP_1) | instskip(NEXT) | instid1(VALU_DEP_1)
	v_add_nc_u32_e32 v2, v2, v8
	v_ashrrev_i32_e32 v8, 1, v2
	s_delay_alu instid0(VALU_DEP_1) | instskip(NEXT) | instid1(VALU_DEP_1)
	v_ashrrev_i32_e32 v9, 31, v8
	v_lshlrev_b64 v[9:10], 2, v[8:9]
	s_delay_alu instid0(VALU_DEP_1) | instskip(NEXT) | instid1(VALU_DEP_2)
	v_add_co_u32 v9, vcc_lo, s8, v9
	v_add_co_ci_u32_e32 v10, vcc_lo, s9, v10, vcc_lo
	global_load_b32 v2, v[9:10], off
	s_waitcnt vmcnt(0)
	v_subrev_nc_u32_e32 v2, s20, v2
	s_delay_alu instid0(VALU_DEP_1) | instskip(SKIP_2) | instid1(VALU_DEP_2)
	v_cmp_gt_i32_e32 vcc_lo, v2, v3
	v_cndmask_b32_e32 v1, v1, v8, vcc_lo
	v_cndmask_b32_e32 v4, v8, v4, vcc_lo
	v_add_nc_u32_e32 v2, -1, v1
	s_delay_alu instid0(VALU_DEP_2) | instskip(NEXT) | instid1(VALU_DEP_2)
	v_cmp_ge_i32_e32 vcc_lo, v4, v1
	v_cmp_eq_u32_e64 s0, v4, v2
	s_delay_alu instid0(VALU_DEP_1) | instskip(NEXT) | instid1(SALU_CYCLE_1)
	s_or_b32 s0, vcc_lo, s0
	s_and_b32 s0, exec_lo, s0
	s_delay_alu instid0(SALU_CYCLE_1) | instskip(NEXT) | instid1(SALU_CYCLE_1)
	s_or_b32 s10, s0, s10
	s_and_not1_b32 exec_lo, exec_lo, s10
	s_cbranch_execnz .LBB92_96
; %bb.97:
	s_or_b32 exec_lo, exec_lo, s10
.LBB92_98:
	v_ashrrev_i32_e32 v2, 31, v1
                                        ; implicit-def: $vgpr10_vgpr11
	s_mov_b32 s0, exec_lo
	s_delay_alu instid0(VALU_DEP_1) | instskip(NEXT) | instid1(VALU_DEP_1)
	v_lshlrev_b64 v[8:9], 2, v[1:2]
	v_add_co_u32 v8, vcc_lo, s8, v8
	s_delay_alu instid0(VALU_DEP_2)
	v_add_co_ci_u32_e32 v9, vcc_lo, s9, v9, vcc_lo
	global_load_b32 v2, v[8:9], off
	global_load_b32 v8, v[6:7], off offset:1024
	s_waitcnt vmcnt(1)
	v_subrev_nc_u32_e32 v2, s20, v2
	s_waitcnt vmcnt(0)
	v_subrev_nc_u32_e32 v8, s20, v8
	s_delay_alu instid0(VALU_DEP_2) | instskip(SKIP_1) | instid1(VALU_DEP_1)
	v_cmp_gt_i32_e32 vcc_lo, v2, v3
	v_cndmask_b32_e32 v1, v1, v4, vcc_lo
	v_cmpx_ne_u32_e64 v8, v1
	s_xor_b32 s10, exec_lo, s0
	s_cbranch_execz .LBB92_110
; %bb.99:
	s_load_b32 s0, s[6:7], 0x0
	ds_load_b64 v[10:11], v16 offset:2048
	s_mov_b32 s11, exec_lo
	s_waitcnt lgkmcnt(0)
	s_sub_i32 s0, s0, s20
	s_delay_alu instid0(SALU_CYCLE_1)
	v_cmpx_gt_i32_e64 s0, v3
	s_cbranch_execz .LBB92_109
; %bb.100:
	v_ashrrev_i32_e32 v2, 31, v1
	v_cmp_le_i32_e64 s0, s19, v8
	s_delay_alu instid0(VALU_DEP_2) | instskip(NEXT) | instid1(VALU_DEP_1)
	v_lshlrev_b64 v[1:2], 3, v[1:2]
	v_add_co_u32 v1, vcc_lo, s14, v1
	s_delay_alu instid0(VALU_DEP_2)
	v_add_co_ci_u32_e32 v2, vcc_lo, s15, v2, vcc_lo
	v_cmp_gt_i32_e32 vcc_lo, s12, v8
	global_load_b64 v[1:2], v[1:2], off
	s_or_b32 s0, vcc_lo, s0
	s_waitcnt vmcnt(0)
	v_mul_f64 v[12:13], v[10:11], v[1:2]
	s_and_saveexec_b32 s24, s0
	s_delay_alu instid0(SALU_CYCLE_1)
	s_xor_b32 s0, exec_lo, s24
	s_cbranch_execz .LBB92_104
; %bb.101:
	v_ashrrev_i32_e32 v9, 31, v8
	s_mov_b32 s24, 0
	s_delay_alu instid0(VALU_DEP_1) | instskip(NEXT) | instid1(VALU_DEP_1)
	v_lshlrev_b64 v[1:2], 3, v[8:9]
	v_add_co_u32 v14, vcc_lo, s16, v1
	s_delay_alu instid0(VALU_DEP_2)
	v_add_co_ci_u32_e32 v15, vcc_lo, s17, v2, vcc_lo
	global_load_b64 v[3:4], v[14:15], off
.LBB92_102:                             ; =>This Inner Loop Header: Depth=1
	s_waitcnt vmcnt(0)
	v_add_f64 v[1:2], v[3:4], v[12:13]
	global_atomic_cmpswap_b64 v[1:2], v[14:15], v[1:4], off glc
	s_waitcnt vmcnt(0)
	v_cmp_eq_u64_e32 vcc_lo, v[1:2], v[3:4]
	v_dual_mov_b32 v4, v2 :: v_dual_mov_b32 v3, v1
	s_or_b32 s24, vcc_lo, s24
	s_delay_alu instid0(SALU_CYCLE_1)
	s_and_not1_b32 exec_lo, exec_lo, s24
	s_cbranch_execnz .LBB92_102
; %bb.103:
	s_or_b32 exec_lo, exec_lo, s24
                                        ; implicit-def: $vgpr12_vgpr13
.LBB92_104:
	s_and_not1_saveexec_b32 s0, s0
	s_cbranch_execz .LBB92_108
; %bb.105:
	v_subrev_nc_u32_e32 v1, s12, v8
	s_mov_b32 s24, 0
	s_delay_alu instid0(VALU_DEP_1)
	v_lshl_add_u32 v3, v1, 3, 0x2000
	ds_load_b64 v[1:2], v3
.LBB92_106:                             ; =>This Inner Loop Header: Depth=1
	s_waitcnt lgkmcnt(0)
	v_add_f64 v[14:15], v[1:2], v[12:13]
	ds_cmpstore_rtn_b64 v[14:15], v3, v[14:15], v[1:2]
	s_waitcnt lgkmcnt(0)
	v_cmp_eq_u64_e32 vcc_lo, v[14:15], v[1:2]
	v_dual_mov_b32 v1, v14 :: v_dual_mov_b32 v2, v15
	s_or_b32 s24, vcc_lo, s24
	s_delay_alu instid0(SALU_CYCLE_1)
	s_and_not1_b32 exec_lo, exec_lo, s24
	s_cbranch_execnz .LBB92_106
; %bb.107:
	s_or_b32 exec_lo, exec_lo, s24
.LBB92_108:
	s_delay_alu instid0(SALU_CYCLE_1)
	s_or_b32 exec_lo, exec_lo, s0
.LBB92_109:
	s_delay_alu instid0(SALU_CYCLE_1)
	s_or_b32 exec_lo, exec_lo, s11
.LBB92_110:
	s_and_not1_saveexec_b32 s0, s10
	s_cbranch_execz .LBB92_112
; %bb.111:
	ds_load_b64 v[10:11], v16 offset:2048
.LBB92_112:
	s_or_b32 exec_lo, exec_lo, s0
	v_ashrrev_i32_e32 v9, 31, v8
	v_dual_mov_b32 v4, s18 :: v_dual_add_nc_u32 v3, 0x200, v5
	s_delay_alu instid0(VALU_DEP_2) | instskip(NEXT) | instid1(VALU_DEP_1)
	v_lshlrev_b64 v[1:2], 3, v[8:9]
	v_add_co_u32 v1, vcc_lo, s14, v1
	s_delay_alu instid0(VALU_DEP_2)
	v_add_co_ci_u32_e32 v2, vcc_lo, s15, v2, vcc_lo
	v_cmp_ne_u32_e32 vcc_lo, 1, v18
	global_load_b64 v[1:2], v[1:2], off
	s_and_b32 vcc_lo, exec_lo, vcc_lo
	s_waitcnt vmcnt(0) lgkmcnt(0)
	v_mul_f64 v[8:9], v[1:2], v[10:11]
	v_mov_b32_e32 v1, s23
	ds_store_b64 v16, v[8:9] offset:2048
	s_cbranch_vccnz .LBB92_116
; %bb.113:
	v_dual_mov_b32 v4, s18 :: v_dual_mov_b32 v1, s23
	s_mov_b32 s10, 0
	.p2align	6
.LBB92_114:                             ; =>This Inner Loop Header: Depth=1
	s_delay_alu instid0(VALU_DEP_1) | instskip(NEXT) | instid1(VALU_DEP_1)
	v_add_nc_u32_e32 v2, v1, v4
	v_lshrrev_b32_e32 v5, 31, v2
	s_delay_alu instid0(VALU_DEP_1) | instskip(NEXT) | instid1(VALU_DEP_1)
	v_add_nc_u32_e32 v2, v2, v5
	v_ashrrev_i32_e32 v8, 1, v2
	s_delay_alu instid0(VALU_DEP_1) | instskip(NEXT) | instid1(VALU_DEP_1)
	v_ashrrev_i32_e32 v9, 31, v8
	v_lshlrev_b64 v[9:10], 2, v[8:9]
	s_delay_alu instid0(VALU_DEP_1) | instskip(NEXT) | instid1(VALU_DEP_2)
	v_add_co_u32 v9, vcc_lo, s8, v9
	v_add_co_ci_u32_e32 v10, vcc_lo, s9, v10, vcc_lo
	global_load_b32 v2, v[9:10], off
	s_waitcnt vmcnt(0)
	v_subrev_nc_u32_e32 v2, s20, v2
	s_delay_alu instid0(VALU_DEP_1) | instskip(SKIP_2) | instid1(VALU_DEP_2)
	v_cmp_gt_i32_e32 vcc_lo, v2, v3
	v_cndmask_b32_e32 v1, v1, v8, vcc_lo
	v_cndmask_b32_e32 v4, v8, v4, vcc_lo
	v_add_nc_u32_e32 v2, -1, v1
	s_delay_alu instid0(VALU_DEP_2) | instskip(NEXT) | instid1(VALU_DEP_2)
	v_cmp_ge_i32_e32 vcc_lo, v4, v1
	v_cmp_eq_u32_e64 s0, v4, v2
	s_delay_alu instid0(VALU_DEP_1) | instskip(NEXT) | instid1(SALU_CYCLE_1)
	s_or_b32 s0, vcc_lo, s0
	s_and_b32 s0, exec_lo, s0
	s_delay_alu instid0(SALU_CYCLE_1) | instskip(NEXT) | instid1(SALU_CYCLE_1)
	s_or_b32 s10, s0, s10
	s_and_not1_b32 exec_lo, exec_lo, s10
	s_cbranch_execnz .LBB92_114
; %bb.115:
	s_or_b32 exec_lo, exec_lo, s10
.LBB92_116:
	v_ashrrev_i32_e32 v2, 31, v1
                                        ; implicit-def: $vgpr10_vgpr11
	s_mov_b32 s0, exec_lo
	s_delay_alu instid0(VALU_DEP_1) | instskip(NEXT) | instid1(VALU_DEP_1)
	v_lshlrev_b64 v[8:9], 2, v[1:2]
	v_add_co_u32 v8, vcc_lo, s8, v8
	s_delay_alu instid0(VALU_DEP_2)
	v_add_co_ci_u32_e32 v9, vcc_lo, s9, v9, vcc_lo
	global_load_b32 v2, v[8:9], off
	global_load_b32 v5, v[6:7], off offset:2048
	s_waitcnt vmcnt(1)
	v_subrev_nc_u32_e32 v2, s20, v2
	s_waitcnt vmcnt(0)
	v_subrev_nc_u32_e32 v8, s20, v5
	s_delay_alu instid0(VALU_DEP_2) | instskip(SKIP_1) | instid1(VALU_DEP_1)
	v_cmp_gt_i32_e32 vcc_lo, v2, v3
	v_cndmask_b32_e32 v1, v1, v4, vcc_lo
	v_cmpx_ne_u32_e64 v8, v1
	s_xor_b32 s10, exec_lo, s0
	s_cbranch_execz .LBB92_128
; %bb.117:
	s_load_b32 s0, s[6:7], 0x0
	ds_load_b64 v[10:11], v16 offset:4096
	s_mov_b32 s11, exec_lo
	s_waitcnt lgkmcnt(0)
	s_sub_i32 s0, s0, s20
	s_delay_alu instid0(SALU_CYCLE_1)
	v_cmpx_gt_i32_e64 s0, v3
	s_cbranch_execz .LBB92_127
; %bb.118:
	v_ashrrev_i32_e32 v2, 31, v1
	v_cmp_le_i32_e64 s0, s19, v8
	s_delay_alu instid0(VALU_DEP_2) | instskip(NEXT) | instid1(VALU_DEP_1)
	v_lshlrev_b64 v[1:2], 3, v[1:2]
	v_add_co_u32 v1, vcc_lo, s14, v1
	s_delay_alu instid0(VALU_DEP_2)
	v_add_co_ci_u32_e32 v2, vcc_lo, s15, v2, vcc_lo
	v_cmp_gt_i32_e32 vcc_lo, s12, v8
	global_load_b64 v[1:2], v[1:2], off
	s_or_b32 s0, vcc_lo, s0
	s_waitcnt vmcnt(0)
	v_mul_f64 v[12:13], v[10:11], v[1:2]
	s_and_saveexec_b32 s24, s0
	s_delay_alu instid0(SALU_CYCLE_1)
	s_xor_b32 s0, exec_lo, s24
	s_cbranch_execz .LBB92_122
; %bb.119:
	v_ashrrev_i32_e32 v9, 31, v8
	s_mov_b32 s24, 0
	s_delay_alu instid0(VALU_DEP_1) | instskip(NEXT) | instid1(VALU_DEP_1)
	v_lshlrev_b64 v[1:2], 3, v[8:9]
	v_add_co_u32 v14, vcc_lo, s16, v1
	s_delay_alu instid0(VALU_DEP_2)
	v_add_co_ci_u32_e32 v15, vcc_lo, s17, v2, vcc_lo
	global_load_b64 v[3:4], v[14:15], off
.LBB92_120:                             ; =>This Inner Loop Header: Depth=1
	s_waitcnt vmcnt(0)
	v_add_f64 v[1:2], v[3:4], v[12:13]
	global_atomic_cmpswap_b64 v[1:2], v[14:15], v[1:4], off glc
	s_waitcnt vmcnt(0)
	v_cmp_eq_u64_e32 vcc_lo, v[1:2], v[3:4]
	v_dual_mov_b32 v4, v2 :: v_dual_mov_b32 v3, v1
	s_or_b32 s24, vcc_lo, s24
	s_delay_alu instid0(SALU_CYCLE_1)
	s_and_not1_b32 exec_lo, exec_lo, s24
	s_cbranch_execnz .LBB92_120
; %bb.121:
	s_or_b32 exec_lo, exec_lo, s24
                                        ; implicit-def: $vgpr12_vgpr13
.LBB92_122:
	s_and_not1_saveexec_b32 s0, s0
	s_cbranch_execz .LBB92_126
; %bb.123:
	v_subrev_nc_u32_e32 v1, s12, v8
	s_mov_b32 s24, 0
	s_delay_alu instid0(VALU_DEP_1)
	v_lshl_add_u32 v3, v1, 3, 0x2000
	ds_load_b64 v[1:2], v3
.LBB92_124:                             ; =>This Inner Loop Header: Depth=1
	s_waitcnt lgkmcnt(0)
	v_add_f64 v[4:5], v[1:2], v[12:13]
	ds_cmpstore_rtn_b64 v[4:5], v3, v[4:5], v[1:2]
	s_waitcnt lgkmcnt(0)
	v_cmp_eq_u64_e32 vcc_lo, v[4:5], v[1:2]
	v_dual_mov_b32 v1, v4 :: v_dual_mov_b32 v2, v5
	s_or_b32 s24, vcc_lo, s24
	s_delay_alu instid0(SALU_CYCLE_1)
	s_and_not1_b32 exec_lo, exec_lo, s24
	s_cbranch_execnz .LBB92_124
; %bb.125:
	s_or_b32 exec_lo, exec_lo, s24
.LBB92_126:
	s_delay_alu instid0(SALU_CYCLE_1)
	s_or_b32 exec_lo, exec_lo, s0
.LBB92_127:
	s_delay_alu instid0(SALU_CYCLE_1)
	s_or_b32 exec_lo, exec_lo, s11
.LBB92_128:
	s_and_not1_saveexec_b32 s0, s10
	s_cbranch_execz .LBB92_130
; %bb.129:
	ds_load_b64 v[10:11], v16 offset:4096
.LBB92_130:
	s_or_b32 exec_lo, exec_lo, s0
	v_ashrrev_i32_e32 v9, 31, v8
	v_mov_b32_e32 v3, s18
	s_delay_alu instid0(VALU_DEP_2) | instskip(NEXT) | instid1(VALU_DEP_1)
	v_lshlrev_b64 v[1:2], 3, v[8:9]
	v_add_co_u32 v1, vcc_lo, s14, v1
	s_delay_alu instid0(VALU_DEP_2)
	v_add_co_ci_u32_e32 v2, vcc_lo, s15, v2, vcc_lo
	v_cmp_ne_u32_e32 vcc_lo, 1, v18
	global_load_b64 v[1:2], v[1:2], off
	s_and_b32 vcc_lo, exec_lo, vcc_lo
	s_waitcnt vmcnt(0) lgkmcnt(0)
	v_mul_f64 v[4:5], v[1:2], v[10:11]
	v_mov_b32_e32 v1, s23
	ds_store_b64 v16, v[4:5] offset:4096
	s_cbranch_vccnz .LBB92_134
; %bb.131:
	v_mov_b32_e32 v3, s18
	v_mov_b32_e32 v1, s23
	s_mov_b32 s10, 0
	.p2align	6
.LBB92_132:                             ; =>This Inner Loop Header: Depth=1
	s_delay_alu instid0(VALU_DEP_1) | instskip(NEXT) | instid1(VALU_DEP_1)
	v_add_nc_u32_e32 v2, v1, v3
	v_lshrrev_b32_e32 v4, 31, v2
	s_delay_alu instid0(VALU_DEP_1) | instskip(NEXT) | instid1(VALU_DEP_1)
	v_add_nc_u32_e32 v2, v2, v4
	v_ashrrev_i32_e32 v4, 1, v2
	s_delay_alu instid0(VALU_DEP_1) | instskip(NEXT) | instid1(VALU_DEP_1)
	v_ashrrev_i32_e32 v5, 31, v4
	v_lshlrev_b64 v[8:9], 2, v[4:5]
	s_delay_alu instid0(VALU_DEP_1) | instskip(NEXT) | instid1(VALU_DEP_2)
	v_add_co_u32 v8, vcc_lo, s8, v8
	v_add_co_ci_u32_e32 v9, vcc_lo, s9, v9, vcc_lo
	global_load_b32 v2, v[8:9], off
	s_waitcnt vmcnt(0)
	v_subrev_nc_u32_e32 v2, s20, v2
	s_delay_alu instid0(VALU_DEP_1) | instskip(SKIP_2) | instid1(VALU_DEP_1)
	v_cmp_gt_i32_e32 vcc_lo, v2, v17
	v_cndmask_b32_e32 v3, v4, v3, vcc_lo
	v_cndmask_b32_e32 v1, v1, v4, vcc_lo
	v_add_nc_u32_e32 v2, -1, v1
	s_delay_alu instid0(VALU_DEP_3) | instskip(NEXT) | instid1(VALU_DEP_2)
	v_cmp_ge_i32_e32 vcc_lo, v3, v1
	v_cmp_eq_u32_e64 s0, v3, v2
	s_delay_alu instid0(VALU_DEP_1) | instskip(NEXT) | instid1(SALU_CYCLE_1)
	s_or_b32 s0, vcc_lo, s0
	s_and_b32 s0, exec_lo, s0
	s_delay_alu instid0(SALU_CYCLE_1) | instskip(NEXT) | instid1(SALU_CYCLE_1)
	s_or_b32 s10, s0, s10
	s_and_not1_b32 exec_lo, exec_lo, s10
	s_cbranch_execnz .LBB92_132
; %bb.133:
	s_or_b32 exec_lo, exec_lo, s10
.LBB92_134:
	v_ashrrev_i32_e32 v2, 31, v1
	s_mov_b32 s0, exec_lo
	s_delay_alu instid0(VALU_DEP_1) | instskip(NEXT) | instid1(VALU_DEP_1)
	v_lshlrev_b64 v[4:5], 2, v[1:2]
	v_add_co_u32 v4, vcc_lo, s8, v4
	s_delay_alu instid0(VALU_DEP_2)
	v_add_co_ci_u32_e32 v5, vcc_lo, s9, v5, vcc_lo
	global_load_b32 v2, v[4:5], off
	global_load_b32 v4, v[6:7], off offset:3072
                                        ; implicit-def: $vgpr7_vgpr8
	s_waitcnt vmcnt(1)
	v_subrev_nc_u32_e32 v2, s20, v2
	s_waitcnt vmcnt(0)
	v_subrev_nc_u32_e32 v5, s20, v4
	s_delay_alu instid0(VALU_DEP_2) | instskip(SKIP_1) | instid1(VALU_DEP_1)
	v_cmp_gt_i32_e32 vcc_lo, v2, v17
	v_cndmask_b32_e32 v1, v1, v3, vcc_lo
	v_cmpx_ne_u32_e64 v5, v1
	s_xor_b32 s10, exec_lo, s0
	s_cbranch_execz .LBB92_146
; %bb.135:
	s_load_b32 s0, s[6:7], 0x0
	ds_load_b64 v[7:8], v16 offset:6144
	s_mov_b32 s6, exec_lo
	s_waitcnt lgkmcnt(0)
	s_sub_i32 s0, s0, s20
	s_delay_alu instid0(SALU_CYCLE_1)
	v_cmpx_gt_i32_e64 s0, v17
	s_cbranch_execz .LBB92_145
; %bb.136:
	v_ashrrev_i32_e32 v2, 31, v1
	v_cmp_le_i32_e64 s0, s19, v5
	s_delay_alu instid0(VALU_DEP_2) | instskip(NEXT) | instid1(VALU_DEP_1)
	v_lshlrev_b64 v[1:2], 3, v[1:2]
	v_add_co_u32 v1, vcc_lo, s14, v1
	s_delay_alu instid0(VALU_DEP_2)
	v_add_co_ci_u32_e32 v2, vcc_lo, s15, v2, vcc_lo
	v_cmp_gt_i32_e32 vcc_lo, s12, v5
	global_load_b64 v[1:2], v[1:2], off
	s_or_b32 s0, vcc_lo, s0
	s_waitcnt vmcnt(0)
	v_mul_f64 v[9:10], v[7:8], v[1:2]
	s_and_saveexec_b32 s7, s0
	s_delay_alu instid0(SALU_CYCLE_1)
	s_xor_b32 s0, exec_lo, s7
	s_cbranch_execz .LBB92_140
; %bb.137:
	v_ashrrev_i32_e32 v6, 31, v5
	s_mov_b32 s7, 0
	s_delay_alu instid0(VALU_DEP_1) | instskip(NEXT) | instid1(VALU_DEP_1)
	v_lshlrev_b64 v[1:2], 3, v[5:6]
	v_add_co_u32 v11, vcc_lo, s16, v1
	s_delay_alu instid0(VALU_DEP_2)
	v_add_co_ci_u32_e32 v12, vcc_lo, s17, v2, vcc_lo
	global_load_b64 v[3:4], v[11:12], off
.LBB92_138:                             ; =>This Inner Loop Header: Depth=1
	s_waitcnt vmcnt(0)
	v_add_f64 v[1:2], v[3:4], v[9:10]
	global_atomic_cmpswap_b64 v[1:2], v[11:12], v[1:4], off glc
	s_waitcnt vmcnt(0)
	v_cmp_eq_u64_e32 vcc_lo, v[1:2], v[3:4]
	v_dual_mov_b32 v4, v2 :: v_dual_mov_b32 v3, v1
	s_or_b32 s7, vcc_lo, s7
	s_delay_alu instid0(SALU_CYCLE_1)
	s_and_not1_b32 exec_lo, exec_lo, s7
	s_cbranch_execnz .LBB92_138
; %bb.139:
	s_or_b32 exec_lo, exec_lo, s7
                                        ; implicit-def: $vgpr9_vgpr10
.LBB92_140:
	s_and_not1_saveexec_b32 s0, s0
	s_cbranch_execz .LBB92_144
; %bb.141:
	v_subrev_nc_u32_e32 v1, s12, v5
	s_mov_b32 s7, 0
	s_delay_alu instid0(VALU_DEP_1)
	v_lshl_add_u32 v3, v1, 3, 0x2000
	ds_load_b64 v[1:2], v3
.LBB92_142:                             ; =>This Inner Loop Header: Depth=1
	s_waitcnt lgkmcnt(0)
	v_add_f64 v[11:12], v[1:2], v[9:10]
	ds_cmpstore_rtn_b64 v[11:12], v3, v[11:12], v[1:2]
	s_waitcnt lgkmcnt(0)
	v_cmp_eq_u64_e32 vcc_lo, v[11:12], v[1:2]
	v_dual_mov_b32 v1, v11 :: v_dual_mov_b32 v2, v12
	s_or_b32 s7, vcc_lo, s7
	s_delay_alu instid0(SALU_CYCLE_1)
	s_and_not1_b32 exec_lo, exec_lo, s7
	s_cbranch_execnz .LBB92_142
; %bb.143:
	s_or_b32 exec_lo, exec_lo, s7
.LBB92_144:
	s_delay_alu instid0(SALU_CYCLE_1)
	s_or_b32 exec_lo, exec_lo, s0
.LBB92_145:
	s_delay_alu instid0(SALU_CYCLE_1)
	s_or_b32 exec_lo, exec_lo, s6
.LBB92_146:
	s_and_not1_saveexec_b32 s0, s10
	s_cbranch_execz .LBB92_148
; %bb.147:
	ds_load_b64 v[7:8], v16 offset:6144
.LBB92_148:
	s_or_b32 exec_lo, exec_lo, s0
	v_ashrrev_i32_e32 v6, 31, v5
	s_delay_alu instid0(VALU_DEP_1) | instskip(NEXT) | instid1(VALU_DEP_1)
	v_lshlrev_b64 v[1:2], 3, v[5:6]
	v_add_co_u32 v1, vcc_lo, s14, v1
	s_delay_alu instid0(VALU_DEP_2)
	v_add_co_ci_u32_e32 v2, vcc_lo, s15, v2, vcc_lo
	global_load_b64 v[1:2], v[1:2], off
	s_waitcnt vmcnt(0) lgkmcnt(0)
	v_mul_f64 v[1:2], v[1:2], v[7:8]
	ds_store_b64 v16, v[1:2] offset:6144
.LBB92_149:
	s_or_b32 exec_lo, exec_lo, s13
	s_min_i32 s7, s19, s5
	s_mov_b32 s5, exec_lo
	s_sub_i32 s0, s7, s21
	s_waitcnt lgkmcnt(0)
	s_barrier
	buffer_gl0_inv
	v_cmpx_gt_i32_e64 s0, v0
	s_cbranch_execz .LBB92_154
; %bb.150:
	v_mov_b32_e32 v9, v0
	s_mov_b32 s6, 0
	.p2align	6
.LBB92_151:                             ; =>This Loop Header: Depth=1
                                        ;     Child Loop BB92_152 Depth 2
	s_delay_alu instid0(VALU_DEP_1) | instskip(SKIP_1) | instid1(VALU_DEP_1)
	v_add_nc_u32_e32 v1, s12, v9
	s_mov_b32 s10, 0
	v_ashrrev_i32_e32 v2, 31, v1
	s_delay_alu instid0(VALU_DEP_1) | instskip(NEXT) | instid1(VALU_DEP_1)
	v_lshlrev_b64 v[1:2], 3, v[1:2]
	v_add_co_u32 v5, vcc_lo, s16, v1
	s_delay_alu instid0(VALU_DEP_2)
	v_add_co_ci_u32_e32 v6, vcc_lo, s17, v2, vcc_lo
	v_lshl_add_u32 v1, v9, 3, 0x2000
	global_load_b64 v[3:4], v[5:6], off
	ds_load_b64 v[7:8], v1
.LBB92_152:                             ;   Parent Loop BB92_151 Depth=1
                                        ; =>  This Inner Loop Header: Depth=2
	s_waitcnt vmcnt(0) lgkmcnt(0)
	v_add_f64 v[1:2], v[3:4], v[7:8]
	global_atomic_cmpswap_b64 v[1:2], v[5:6], v[1:4], off glc
	s_waitcnt vmcnt(0)
	v_cmp_eq_u64_e32 vcc_lo, v[1:2], v[3:4]
	v_dual_mov_b32 v4, v2 :: v_dual_mov_b32 v3, v1
	s_or_b32 s10, vcc_lo, s10
	s_delay_alu instid0(SALU_CYCLE_1)
	s_and_not1_b32 exec_lo, exec_lo, s10
	s_cbranch_execnz .LBB92_152
; %bb.153:                              ;   in Loop: Header=BB92_151 Depth=1
	s_or_b32 exec_lo, exec_lo, s10
	v_add_nc_u32_e32 v9, 0x100, v9
	s_delay_alu instid0(VALU_DEP_1) | instskip(SKIP_1) | instid1(SALU_CYCLE_1)
	v_cmp_le_i32_e32 vcc_lo, s0, v9
	s_or_b32 s6, vcc_lo, s6
	s_and_not1_b32 exec_lo, exec_lo, s6
	s_cbranch_execnz .LBB92_151
.LBB92_154:
	s_or_b32 exec_lo, exec_lo, s5
	s_mul_i32 s5, s4, s21
	s_add_i32 s6, s4, 1
	s_sub_i32 s5, s1, s5
	v_add_nc_u32_e32 v5, s18, v0
	s_sub_i32 s10, s5, s21
	s_cmp_ge_u32 s5, s21
	s_cselect_b32 s4, s6, s4
	s_cselect_b32 s5, s10, s5
	s_add_i32 s6, s4, 1
	s_cmp_ge_u32 s5, s21
	s_barrier
	s_cselect_b32 s4, s6, s4
	s_mov_b32 s6, -1
	s_add_i32 s4, s4, -1
	buffer_gl0_inv
	s_ashr_i32 s5, s4, 1
	s_delay_alu instid0(SALU_CYCLE_1) | instskip(NEXT) | instid1(SALU_CYCLE_1)
	s_or_b32 s4, s5, s4
	s_ashr_i32 s5, s4, 2
	s_delay_alu instid0(SALU_CYCLE_1) | instskip(NEXT) | instid1(SALU_CYCLE_1)
	s_or_b32 s4, s5, s4
	;; [unrolled: 3-line block ×5, first 2 shown]
	s_add_i32 s4, s4, 1
	s_delay_alu instid0(SALU_CYCLE_1) | instskip(NEXT) | instid1(SALU_CYCLE_1)
	s_ashr_i32 s5, s4, 1
	s_cmp_gt_i32 s5, 1
	s_cbranch_scc1 .LBB92_165
; %bb.155:
	s_mov_b32 s6, exec_lo
	v_cmpx_gt_i32_e64 s19, v5
	s_cbranch_execz .LBB92_164
; %bb.156:
	s_sub_i32 s7, s7, s19
	v_mov_b32_e32 v6, v5
	s_lshl_b32 s11, s22, 3
	s_lshl_b32 s7, s7, 3
	s_mov_b32 s10, 0
	s_addk_i32 s7, 0x2000
	s_sub_i32 s11, 0, s11
.LBB92_157:                             ; =>This Loop Header: Depth=1
                                        ;     Child Loop BB92_159 Depth 2
                                        ;     Child Loop BB92_162 Depth 2
	v_ashrrev_i32_e32 v7, 31, v6
	s_mov_b32 s12, exec_lo
	s_delay_alu instid0(VALU_DEP_1) | instskip(NEXT) | instid1(VALU_DEP_1)
	v_lshlrev_b64 v[1:2], 2, v[6:7]
	v_add_co_u32 v1, vcc_lo, s8, v1
	s_delay_alu instid0(VALU_DEP_2)
	v_add_co_ci_u32_e32 v2, vcc_lo, s9, v2, vcc_lo
	global_load_b64 v[3:4], v[1:2], off
	v_mov_b32_e32 v1, 0
	v_mov_b32_e32 v2, 0
	s_waitcnt vmcnt(0)
	v_cmpx_lt_i32_e64 v3, v4
	s_cbranch_execz .LBB92_161
; %bb.158:                              ;   in Loop: Header=BB92_157 Depth=1
	v_mov_b32_e32 v1, 0
	v_subrev_nc_u32_e32 v4, s22, v4
	v_subrev_nc_u32_e32 v8, s22, v3
	v_mov_b32_e32 v2, 0
	v_lshl_add_u32 v3, v3, 3, s11
	s_mov_b32 s13, 0
.LBB92_159:                             ;   Parent Loop BB92_157 Depth=1
                                        ; =>  This Inner Loop Header: Depth=2
	ds_load_b64 v[9:10], v3
	v_add_nc_u32_e32 v8, 1, v8
	v_add_nc_u32_e32 v3, 8, v3
	s_delay_alu instid0(VALU_DEP_2)
	v_cmp_ge_i32_e32 vcc_lo, v8, v4
	s_or_b32 s13, vcc_lo, s13
	s_waitcnt lgkmcnt(0)
	v_add_f64 v[1:2], v[1:2], v[9:10]
	s_and_not1_b32 exec_lo, exec_lo, s13
	s_cbranch_execnz .LBB92_159
; %bb.160:                              ;   in Loop: Header=BB92_157 Depth=1
	s_or_b32 exec_lo, exec_lo, s13
.LBB92_161:                             ;   in Loop: Header=BB92_157 Depth=1
	s_delay_alu instid0(SALU_CYCLE_1)
	s_or_b32 exec_lo, exec_lo, s12
	v_lshlrev_b64 v[3:4], 3, v[6:7]
	v_lshl_add_u32 v9, v6, 3, s7
	s_mov_b32 s12, 0
	ds_load_b64 v[9:10], v9
	v_add_co_u32 v7, vcc_lo, s16, v3
	v_add_co_ci_u32_e32 v8, vcc_lo, s17, v4, vcc_lo
	global_load_b64 v[3:4], v[7:8], off
	s_waitcnt lgkmcnt(0)
	v_add_f64 v[9:10], v[1:2], v[9:10]
.LBB92_162:                             ;   Parent Loop BB92_157 Depth=1
                                        ; =>  This Inner Loop Header: Depth=2
	s_waitcnt vmcnt(0)
	s_delay_alu instid0(VALU_DEP_1)
	v_add_f64 v[1:2], v[3:4], v[9:10]
	global_atomic_cmpswap_b64 v[1:2], v[7:8], v[1:4], off glc
	s_waitcnt vmcnt(0)
	v_cmp_eq_u64_e32 vcc_lo, v[1:2], v[3:4]
	v_dual_mov_b32 v4, v2 :: v_dual_mov_b32 v3, v1
	s_or_b32 s12, vcc_lo, s12
	s_delay_alu instid0(SALU_CYCLE_1)
	s_and_not1_b32 exec_lo, exec_lo, s12
	s_cbranch_execnz .LBB92_162
; %bb.163:                              ;   in Loop: Header=BB92_157 Depth=1
	s_or_b32 exec_lo, exec_lo, s12
	v_add_nc_u32_e32 v6, s1, v6
	s_delay_alu instid0(VALU_DEP_1) | instskip(SKIP_1) | instid1(SALU_CYCLE_1)
	v_cmp_le_i32_e32 vcc_lo, s19, v6
	s_or_b32 s10, vcc_lo, s10
	s_and_not1_b32 exec_lo, exec_lo, s10
	s_cbranch_execnz .LBB92_157
.LBB92_164:
	s_or_b32 exec_lo, exec_lo, s6
	s_mov_b32 s6, 0
.LBB92_165:
	s_delay_alu instid0(SALU_CYCLE_1)
	s_and_not1_b32 vcc_lo, exec_lo, s6
	s_cbranch_vccnz .LBB92_190
; %bb.166:
	v_cvt_f32_u32_e32 v1, s5
	s_sub_i32 s1, 0, s5
	v_mov_b32_e32 v6, 0
	v_mov_b32_e32 v7, 0
	s_delay_alu instid0(VALU_DEP_3) | instskip(SKIP_2) | instid1(VALU_DEP_1)
	v_rcp_iflag_f32_e32 v1, v1
	s_waitcnt_depctr 0xfff
	v_mul_f32_e32 v1, 0x4f7ffffe, v1
	v_cvt_u32_f32_e32 v1, v1
	s_delay_alu instid0(VALU_DEP_1) | instskip(SKIP_1) | instid1(VALU_DEP_1)
	v_mul_lo_u32 v2, s1, v1
	s_mov_b32 s1, exec_lo
	v_mul_hi_u32 v2, v1, v2
	s_delay_alu instid0(VALU_DEP_1) | instskip(NEXT) | instid1(VALU_DEP_1)
	v_add_nc_u32_e32 v1, v1, v2
	v_mul_hi_u32 v1, v0, v1
	s_delay_alu instid0(VALU_DEP_1) | instskip(SKIP_1) | instid1(VALU_DEP_2)
	v_mul_lo_u32 v2, v1, s5
	v_add_nc_u32_e32 v3, 1, v1
	v_sub_nc_u32_e32 v2, v0, v2
	s_delay_alu instid0(VALU_DEP_1) | instskip(SKIP_1) | instid1(VALU_DEP_2)
	v_subrev_nc_u32_e32 v4, s5, v2
	v_cmp_le_u32_e32 vcc_lo, s5, v2
	v_dual_cndmask_b32 v1, v1, v3 :: v_dual_cndmask_b32 v2, v2, v4
	s_delay_alu instid0(VALU_DEP_1) | instskip(NEXT) | instid1(VALU_DEP_2)
	v_add_nc_u32_e32 v3, 1, v1
	v_cmp_le_u32_e32 vcc_lo, s5, v2
	s_delay_alu instid0(VALU_DEP_2) | instskip(NEXT) | instid1(VALU_DEP_1)
	v_cndmask_b32_e32 v1, v1, v3, vcc_lo
	v_lshlrev_b32_e32 v2, 2, v1
	global_load_b64 v[2:3], v2, s[2:3]
	v_cmpx_gt_i32_e64 s21, v1
	s_cbranch_execz .LBB92_180
; %bb.167:
	s_abs_i32 s2, s5
	s_waitcnt vmcnt(0)
	v_subrev_nc_u32_e32 v4, s22, v3
	v_cvt_f32_u32_e32 v1, s2
	s_sub_i32 s3, 0, s2
	s_delay_alu instid0(VALU_DEP_1) | instskip(SKIP_2) | instid1(VALU_DEP_1)
	v_rcp_iflag_f32_e32 v1, v1
	s_waitcnt_depctr 0xfff
	v_mul_f32_e32 v1, 0x4f7ffffe, v1
	v_cvt_u32_f32_e32 v6, v1
	v_subrev_nc_u32_e32 v1, s22, v2
	s_delay_alu instid0(VALU_DEP_2) | instskip(NEXT) | instid1(VALU_DEP_2)
	v_mul_lo_u32 v7, s3, v6
	v_sub_nc_u32_e32 v3, v4, v1
	s_ashr_i32 s3, s5, 31
	s_delay_alu instid0(VALU_DEP_1) | instskip(NEXT) | instid1(VALU_DEP_3)
	v_sub_nc_u32_e32 v8, 0, v3
	v_mul_hi_u32 v7, v6, v7
	s_delay_alu instid0(VALU_DEP_2) | instskip(SKIP_1) | instid1(VALU_DEP_3)
	v_max_i32_e32 v8, v3, v8
	v_ashrrev_i32_e32 v3, 31, v3
	v_add_nc_u32_e32 v9, v6, v7
	s_delay_alu instid0(VALU_DEP_2) | instskip(NEXT) | instid1(VALU_DEP_2)
	v_xor_b32_e32 v3, s3, v3
	v_mad_u64_u32 v[6:7], null, v8, v9, 0
	s_delay_alu instid0(VALU_DEP_1) | instskip(NEXT) | instid1(VALU_DEP_1)
	v_mul_lo_u32 v6, v7, s2
	v_sub_nc_u32_e32 v6, v8, v6
	v_add_nc_u32_e32 v8, 1, v7
	s_delay_alu instid0(VALU_DEP_2) | instskip(SKIP_1) | instid1(VALU_DEP_2)
	v_subrev_nc_u32_e32 v9, s2, v6
	v_cmp_le_u32_e32 vcc_lo, s2, v6
	v_dual_cndmask_b32 v7, v7, v8 :: v_dual_cndmask_b32 v6, v6, v9
	s_delay_alu instid0(VALU_DEP_1) | instskip(NEXT) | instid1(VALU_DEP_2)
	v_add_nc_u32_e32 v8, 1, v7
	v_cmp_le_u32_e32 vcc_lo, s2, v6
	s_add_i32 s2, s5, -1
	s_delay_alu instid0(VALU_DEP_2) | instskip(SKIP_2) | instid1(VALU_DEP_2)
	v_cndmask_b32_e32 v6, v7, v8, vcc_lo
	v_and_b32_e32 v8, s2, v0
	s_mov_b32 s2, exec_lo
	v_xor_b32_e32 v6, v6, v3
	s_delay_alu instid0(VALU_DEP_1) | instskip(SKIP_2) | instid1(VALU_DEP_3)
	v_sub_nc_u32_e32 v9, v6, v3
	v_mov_b32_e32 v6, 0
	v_mov_b32_e32 v7, 0
	v_cmpx_lt_i32_e32 0, v9
	s_cbranch_execz .LBB92_177
; %bb.168:
	v_dual_mov_b32 v6, 0 :: v_dual_mov_b32 v3, 0
	v_mov_b32_e32 v7, 0
	s_mov_b32 s3, exec_lo
	v_cmpx_lt_u32_e32 7, v9
	s_cbranch_execz .LBB92_172
; %bb.169:
	v_dual_mov_b32 v6, 0 :: v_dual_add_nc_u32 v3, v2, v8
	s_lshl_b32 s6, s5, 6
	s_lshl_b32 s8, s5, 3
	s_mov_b32 s7, 0
	s_delay_alu instid0(VALU_DEP_1) | instskip(SKIP_3) | instid1(VALU_DEP_3)
	v_subrev_nc_u32_e32 v10, s22, v3
	v_and_b32_e32 v3, 0x7ffffff8, v9
	v_mov_b32_e32 v7, 0
	s_mov_b32 s9, 0
	v_lshlrev_b32_e32 v10, 3, v10
	s_set_inst_prefetch_distance 0x1
	.p2align	6
.LBB92_170:                             ; =>This Inner Loop Header: Depth=1
	ds_load_b64 v[11:12], v10
	v_add_nc_u32_e32 v13, s8, v10
	s_add_i32 s9, s9, 8
	v_add_nc_u32_e32 v10, s6, v10
	v_cmp_eq_u32_e32 vcc_lo, s9, v3
	s_or_b32 s7, vcc_lo, s7
	s_waitcnt lgkmcnt(0)
	v_add_f64 v[6:7], v[6:7], v[11:12]
	ds_load_b64 v[11:12], v13
	v_add_nc_u32_e32 v13, s8, v13
	s_delay_alu instid0(VALU_DEP_1) | instskip(NEXT) | instid1(VALU_DEP_1)
	v_add_nc_u32_e32 v15, s8, v13
	v_add_nc_u32_e32 v21, s8, v15
	ds_load_b64 v[13:14], v13
	ds_load_b64 v[17:18], v15
	;; [unrolled: 1-line block ×3, first 2 shown]
	s_waitcnt lgkmcnt(3)
	v_add_f64 v[6:7], v[6:7], v[11:12]
	s_waitcnt lgkmcnt(2)
	s_delay_alu instid0(VALU_DEP_1)
	v_add_f64 v[6:7], v[6:7], v[13:14]
	v_add_nc_u32_e32 v13, s8, v21
	ds_load_b64 v[11:12], v13
	v_add_nc_u32_e32 v15, s8, v13
	ds_load_b64 v[13:14], v15
	s_waitcnt lgkmcnt(3)
	v_add_f64 v[6:7], v[6:7], v[17:18]
	s_waitcnt lgkmcnt(2)
	s_delay_alu instid0(VALU_DEP_1) | instskip(SKIP_1) | instid1(VALU_DEP_1)
	v_add_f64 v[6:7], v[6:7], v[19:20]
	s_waitcnt lgkmcnt(1)
	v_add_f64 v[6:7], v[6:7], v[11:12]
	v_add_nc_u32_e32 v11, s8, v15
	ds_load_b64 v[11:12], v11
	s_waitcnt lgkmcnt(1)
	v_add_f64 v[6:7], v[6:7], v[13:14]
	s_waitcnt lgkmcnt(0)
	s_delay_alu instid0(VALU_DEP_1)
	v_add_f64 v[6:7], v[6:7], v[11:12]
	s_and_not1_b32 exec_lo, exec_lo, s7
	s_cbranch_execnz .LBB92_170
; %bb.171:
	s_set_inst_prefetch_distance 0x2
	s_or_b32 exec_lo, exec_lo, s7
.LBB92_172:
	s_delay_alu instid0(SALU_CYCLE_1) | instskip(SKIP_3) | instid1(VALU_DEP_1)
	s_or_b32 exec_lo, exec_lo, s3
	v_and_b32_e32 v10, 7, v9
	s_mov_b32 s6, 0
	s_mov_b32 s3, exec_lo
	v_cmpx_ne_u32_e32 0, v10
	s_cbranch_execz .LBB92_176
; %bb.173:
	v_mul_lo_u32 v3, v3, s5
	s_lshl_b32 s7, s5, 3
	s_delay_alu instid0(VALU_DEP_1) | instskip(NEXT) | instid1(VALU_DEP_1)
	v_add3_u32 v2, v2, v8, v3
	v_subrev_nc_u32_e32 v2, s22, v2
	s_delay_alu instid0(VALU_DEP_1)
	v_lshlrev_b32_e32 v2, 3, v2
.LBB92_174:                             ; =>This Inner Loop Header: Depth=1
	ds_load_b64 v[11:12], v2
	v_add_nc_u32_e32 v10, -1, v10
	v_add_nc_u32_e32 v2, s7, v2
	s_delay_alu instid0(VALU_DEP_2)
	v_cmp_eq_u32_e32 vcc_lo, 0, v10
	s_or_b32 s6, vcc_lo, s6
	s_waitcnt lgkmcnt(0)
	v_add_f64 v[6:7], v[6:7], v[11:12]
	s_and_not1_b32 exec_lo, exec_lo, s6
	s_cbranch_execnz .LBB92_174
; %bb.175:
	s_or_b32 exec_lo, exec_lo, s6
.LBB92_176:
	s_delay_alu instid0(SALU_CYCLE_1)
	s_or_b32 exec_lo, exec_lo, s3
.LBB92_177:
	s_delay_alu instid0(SALU_CYCLE_1) | instskip(SKIP_2) | instid1(VALU_DEP_1)
	s_or_b32 exec_lo, exec_lo, s2
	v_mad_u64_u32 v[2:3], null, v9, s5, v[1:2]
	s_mov_b32 s2, exec_lo
	v_sub_nc_u32_e32 v1, v4, v2
	s_delay_alu instid0(VALU_DEP_1)
	v_cmpx_lt_i32_e64 v8, v1
	s_cbranch_execz .LBB92_179
; %bb.178:
	v_add_lshl_u32 v1, v2, v8, 3
	ds_load_b64 v[1:2], v1
	s_waitcnt lgkmcnt(0)
	v_add_f64 v[6:7], v[6:7], v[1:2]
.LBB92_179:
	s_or_b32 exec_lo, exec_lo, s2
.LBB92_180:
	s_delay_alu instid0(SALU_CYCLE_1)
	s_or_b32 exec_lo, exec_lo, s1
	v_cmp_gt_i32_e32 vcc_lo, s21, v0
	s_waitcnt vmcnt(0)
	s_barrier
	buffer_gl0_inv
	ds_store_b64 v16, v[6:7]
	s_waitcnt lgkmcnt(0)
	s_barrier
	buffer_gl0_inv
	s_and_b32 exec_lo, exec_lo, vcc_lo
	s_cbranch_execz .LBB92_190
; %bb.181:
	v_mul_lo_u32 v1, s5, v0
	v_mov_b32_e32 v7, 0
	v_mov_b32_e32 v8, 0
	s_cmp_lt_u32 s5, 8
	s_cbranch_scc1 .LBB92_184
; %bb.182:
	s_delay_alu instid0(VALU_DEP_3)
	v_lshlrev_b32_e32 v2, 3, v1
	s_and_b32 s1, s5, 0x7ffffff8
	s_mov_b32 s2, 0
	.p2align	6
.LBB92_183:                             ; =>This Inner Loop Header: Depth=1
	ds_load_2addr_b64 v[9:12], v2 offset1:1
	ds_load_2addr_b64 v[13:16], v2 offset0:2 offset1:3
	s_add_i32 s2, s2, 8
	s_delay_alu instid0(SALU_CYCLE_1) | instskip(SKIP_2) | instid1(VALU_DEP_1)
	s_cmp_eq_u32 s1, s2
	s_waitcnt lgkmcnt(1)
	v_add_f64 v[3:4], v[7:8], v[9:10]
	v_add_f64 v[3:4], v[3:4], v[11:12]
	s_waitcnt lgkmcnt(0)
	s_delay_alu instid0(VALU_DEP_1)
	v_add_f64 v[3:4], v[3:4], v[13:14]
	ds_load_2addr_b64 v[6:9], v2 offset0:4 offset1:5
	ds_load_2addr_b64 v[10:13], v2 offset0:6 offset1:7
	v_add_nc_u32_e32 v2, 64, v2
	v_add_f64 v[3:4], v[3:4], v[15:16]
	s_waitcnt lgkmcnt(1)
	s_delay_alu instid0(VALU_DEP_1) | instskip(NEXT) | instid1(VALU_DEP_1)
	v_add_f64 v[3:4], v[3:4], v[6:7]
	v_add_f64 v[3:4], v[3:4], v[8:9]
	s_waitcnt lgkmcnt(0)
	s_delay_alu instid0(VALU_DEP_1) | instskip(NEXT) | instid1(VALU_DEP_1)
	v_add_f64 v[3:4], v[3:4], v[10:11]
	v_add_f64 v[7:8], v[3:4], v[12:13]
	s_cbranch_scc0 .LBB92_183
	s_branch .LBB92_185
.LBB92_184:
	s_mov_b32 s1, 0
.LBB92_185:
	s_bfe_u32 s2, s4, 0x30001
	s_delay_alu instid0(SALU_CYCLE_1)
	s_cmp_eq_u32 s2, 0
	s_cbranch_scc1 .LBB92_188
; %bb.186:
	v_add_lshl_u32 v1, s1, v1, 3
.LBB92_187:                             ; =>This Inner Loop Header: Depth=1
	ds_load_b64 v[2:3], v1
	v_add_nc_u32_e32 v1, 8, v1
	s_add_i32 s2, s2, -1
	s_delay_alu instid0(SALU_CYCLE_1)
	s_cmp_lg_u32 s2, 0
	s_waitcnt lgkmcnt(0)
	v_add_f64 v[7:8], v[7:8], v[2:3]
	s_cbranch_scc1 .LBB92_187
.LBB92_188:
	v_ashrrev_i32_e32 v6, 31, v5
	v_lshlrev_b32_e32 v0, 3, v0
	s_lshl_b32 s0, s0, 3
	s_delay_alu instid0(VALU_DEP_2) | instskip(NEXT) | instid1(VALU_DEP_2)
	v_lshlrev_b64 v[1:2], 3, v[5:6]
	v_add3_u32 v0, 0x2000, s0, v0
	s_mov_b32 s0, 0
	s_delay_alu instid0(VALU_DEP_2) | instskip(NEXT) | instid1(VALU_DEP_3)
	v_add_co_u32 v4, vcc_lo, s16, v1
	v_add_co_ci_u32_e32 v5, vcc_lo, s17, v2, vcc_lo
	ds_load_b64 v[0:1], v0
	global_load_b64 v[2:3], v[4:5], off
	s_waitcnt lgkmcnt(0)
	v_add_f64 v[6:7], v[7:8], v[0:1]
.LBB92_189:                             ; =>This Inner Loop Header: Depth=1
	s_waitcnt vmcnt(0)
	s_delay_alu instid0(VALU_DEP_1)
	v_add_f64 v[0:1], v[2:3], v[6:7]
	global_atomic_cmpswap_b64 v[0:1], v[4:5], v[0:3], off glc
	s_waitcnt vmcnt(0)
	v_cmp_eq_u64_e32 vcc_lo, v[0:1], v[2:3]
	v_dual_mov_b32 v3, v1 :: v_dual_mov_b32 v2, v0
	s_or_b32 s0, vcc_lo, s0
	s_delay_alu instid0(SALU_CYCLE_1)
	s_and_not1_b32 exec_lo, exec_lo, s0
	s_cbranch_execnz .LBB92_189
.LBB92_190:
	s_endpgm
	.section	.rodata,"a",@progbits
	.p2align	6, 0x0
	.amdhsa_kernel _ZN9rocsparseL27csrmvn_symm_adaptive_kernelIiifdddEEvbT_S1_PKS1_NS_24const_host_device_scalarIT4_EES3_PKT0_PKT1_PKT2_S6_PT3_21rocsparse_index_base_b
		.amdhsa_group_segment_fixed_size 8192
		.amdhsa_private_segment_fixed_size 0
		.amdhsa_kernarg_size 344
		.amdhsa_user_sgpr_count 15
		.amdhsa_user_sgpr_dispatch_ptr 0
		.amdhsa_user_sgpr_queue_ptr 0
		.amdhsa_user_sgpr_kernarg_segment_ptr 1
		.amdhsa_user_sgpr_dispatch_id 0
		.amdhsa_user_sgpr_private_segment_size 0
		.amdhsa_wavefront_size32 1
		.amdhsa_uses_dynamic_stack 0
		.amdhsa_enable_private_segment 0
		.amdhsa_system_sgpr_workgroup_id_x 1
		.amdhsa_system_sgpr_workgroup_id_y 0
		.amdhsa_system_sgpr_workgroup_id_z 0
		.amdhsa_system_sgpr_workgroup_info 0
		.amdhsa_system_vgpr_workitem_id 0
		.amdhsa_next_free_vgpr 22
		.amdhsa_next_free_sgpr 31
		.amdhsa_reserve_vcc 1
		.amdhsa_float_round_mode_32 0
		.amdhsa_float_round_mode_16_64 0
		.amdhsa_float_denorm_mode_32 3
		.amdhsa_float_denorm_mode_16_64 3
		.amdhsa_dx10_clamp 1
		.amdhsa_ieee_mode 1
		.amdhsa_fp16_overflow 0
		.amdhsa_workgroup_processor_mode 1
		.amdhsa_memory_ordered 1
		.amdhsa_forward_progress 0
		.amdhsa_shared_vgpr_count 0
		.amdhsa_exception_fp_ieee_invalid_op 0
		.amdhsa_exception_fp_denorm_src 0
		.amdhsa_exception_fp_ieee_div_zero 0
		.amdhsa_exception_fp_ieee_overflow 0
		.amdhsa_exception_fp_ieee_underflow 0
		.amdhsa_exception_fp_ieee_inexact 0
		.amdhsa_exception_int_div_zero 0
	.end_amdhsa_kernel
	.section	.text._ZN9rocsparseL27csrmvn_symm_adaptive_kernelIiifdddEEvbT_S1_PKS1_NS_24const_host_device_scalarIT4_EES3_PKT0_PKT1_PKT2_S6_PT3_21rocsparse_index_base_b,"axG",@progbits,_ZN9rocsparseL27csrmvn_symm_adaptive_kernelIiifdddEEvbT_S1_PKS1_NS_24const_host_device_scalarIT4_EES3_PKT0_PKT1_PKT2_S6_PT3_21rocsparse_index_base_b,comdat
.Lfunc_end92:
	.size	_ZN9rocsparseL27csrmvn_symm_adaptive_kernelIiifdddEEvbT_S1_PKS1_NS_24const_host_device_scalarIT4_EES3_PKT0_PKT1_PKT2_S6_PT3_21rocsparse_index_base_b, .Lfunc_end92-_ZN9rocsparseL27csrmvn_symm_adaptive_kernelIiifdddEEvbT_S1_PKS1_NS_24const_host_device_scalarIT4_EES3_PKT0_PKT1_PKT2_S6_PT3_21rocsparse_index_base_b
                                        ; -- End function
	.section	.AMDGPU.csdata,"",@progbits
; Kernel info:
; codeLenInByte = 8500
; NumSgprs: 33
; NumVgprs: 22
; ScratchSize: 0
; MemoryBound: 0
; FloatMode: 240
; IeeeMode: 1
; LDSByteSize: 8192 bytes/workgroup (compile time only)
; SGPRBlocks: 4
; VGPRBlocks: 2
; NumSGPRsForWavesPerEU: 33
; NumVGPRsForWavesPerEU: 22
; Occupancy: 16
; WaveLimiterHint : 1
; COMPUTE_PGM_RSRC2:SCRATCH_EN: 0
; COMPUTE_PGM_RSRC2:USER_SGPR: 15
; COMPUTE_PGM_RSRC2:TRAP_HANDLER: 0
; COMPUTE_PGM_RSRC2:TGID_X_EN: 1
; COMPUTE_PGM_RSRC2:TGID_Y_EN: 0
; COMPUTE_PGM_RSRC2:TGID_Z_EN: 0
; COMPUTE_PGM_RSRC2:TIDIG_COMP_CNT: 0
	.section	.text._ZL33csrmvn_symm_large_adaptive_kernelIiifdddEvbT_PKS0_N9rocsparse24const_host_device_scalarIT4_EES2_PKT0_PKT1_PKT2_S6_PT3_21rocsparse_index_base_b,"axG",@progbits,_ZL33csrmvn_symm_large_adaptive_kernelIiifdddEvbT_PKS0_N9rocsparse24const_host_device_scalarIT4_EES2_PKT0_PKT1_PKT2_S6_PT3_21rocsparse_index_base_b,comdat
	.globl	_ZL33csrmvn_symm_large_adaptive_kernelIiifdddEvbT_PKS0_N9rocsparse24const_host_device_scalarIT4_EES2_PKT0_PKT1_PKT2_S6_PT3_21rocsparse_index_base_b ; -- Begin function _ZL33csrmvn_symm_large_adaptive_kernelIiifdddEvbT_PKS0_N9rocsparse24const_host_device_scalarIT4_EES2_PKT0_PKT1_PKT2_S6_PT3_21rocsparse_index_base_b
	.p2align	8
	.type	_ZL33csrmvn_symm_large_adaptive_kernelIiifdddEvbT_PKS0_N9rocsparse24const_host_device_scalarIT4_EES2_PKT0_PKT1_PKT2_S6_PT3_21rocsparse_index_base_b,@function
_ZL33csrmvn_symm_large_adaptive_kernelIiifdddEvbT_PKS0_N9rocsparse24const_host_device_scalarIT4_EES2_PKT0_PKT1_PKT2_S6_PT3_21rocsparse_index_base_b: ; @_ZL33csrmvn_symm_large_adaptive_kernelIiifdddEvbT_PKS0_N9rocsparse24const_host_device_scalarIT4_EES2_PKT0_PKT1_PKT2_S6_PT3_21rocsparse_index_base_b
; %bb.0:
	s_clause 0x2
	s_load_b64 s[6:7], s[0:1], 0x48
	s_load_b64 s[8:9], s[0:1], 0x10
	;; [unrolled: 1-line block ×3, first 2 shown]
	s_mov_b32 s4, s15
	s_waitcnt lgkmcnt(0)
	s_bitcmp1_b32 s7, 0
	v_dual_mov_b32 v4, s8 :: v_dual_mov_b32 v5, s9
	s_cselect_b32 s5, -1, 0
	s_delay_alu instid0(SALU_CYCLE_1)
	s_and_b32 vcc_lo, exec_lo, s5
	s_xor_b32 s5, s5, -1
	s_cbranch_vccnz .LBB93_2
; %bb.1:
	v_dual_mov_b32 v1, s8 :: v_dual_mov_b32 v2, s9
	flat_load_b64 v[4:5], v[1:2]
.LBB93_2:
	v_dual_mov_b32 v1, s2 :: v_dual_mov_b32 v2, s3
	s_and_not1_b32 vcc_lo, exec_lo, s5
	s_cbranch_vccnz .LBB93_4
; %bb.3:
	v_dual_mov_b32 v1, s2 :: v_dual_mov_b32 v2, s3
	flat_load_b64 v[1:2], v[1:2]
.LBB93_4:
	s_waitcnt vmcnt(0) lgkmcnt(0)
	v_cmp_neq_f64_e32 vcc_lo, 0, v[4:5]
	v_cmp_neq_f64_e64 s2, 1.0, v[1:2]
	s_delay_alu instid0(VALU_DEP_1) | instskip(NEXT) | instid1(SALU_CYCLE_1)
	s_or_b32 s2, vcc_lo, s2
	s_and_saveexec_b32 s3, s2
	s_cbranch_execz .LBB93_41
; %bb.5:
	s_load_b64 s[8:9], s[0:1], 0x8
	s_mov_b32 s2, 0
	s_ashr_i32 s5, s4, 31
	s_mov_b32 s3, s2
	v_dual_mov_b32 v1, s2 :: v_dual_lshlrev_b32 v10, 3, v0
	v_mov_b32_e32 v2, s3
	s_lshl_b64 s[4:5], s[4:5], 2
	ds_store_2addr_stride64_b64 v10, v[1:2], v[1:2] offset1:4
	ds_store_2addr_stride64_b64 v10, v[1:2], v[1:2] offset0:8 offset1:12
	s_waitcnt lgkmcnt(0)
	s_barrier
	buffer_gl0_inv
	s_add_u32 s4, s8, s4
	s_addc_u32 s5, s9, s5
	s_load_b64 s[16:17], s[4:5], 0x0
	s_clause 0x1
	s_load_b256 s[8:15], s[0:1], 0x18
	s_load_b64 s[18:19], s[0:1], 0x40
	s_waitcnt lgkmcnt(0)
	s_cmp_lt_i32 s16, s17
	s_cbranch_scc1 .LBB93_7
; %bb.6:
	s_ashr_i32 s1, s16, 31
	s_mov_b32 s0, s16
	s_delay_alu instid0(SALU_CYCLE_1) | instskip(NEXT) | instid1(SALU_CYCLE_1)
	s_lshl_b64 s[0:1], s[0:1], 2
	s_add_u32 s0, s8, s0
	s_addc_u32 s1, s9, s1
	s_load_b32 s7, s[0:1], 0x0
	v_subrev_nc_u32_e32 v11, s6, v0
	s_and_not1_b32 vcc_lo, exec_lo, s2
	s_cbranch_vccz .LBB93_8
	s_branch .LBB93_31
.LBB93_7:
                                        ; implicit-def: $sgpr7
	v_subrev_nc_u32_e32 v11, s6, v0
.LBB93_8:
	s_ashr_i32 s1, s16, 31
	s_mov_b32 s0, s16
	v_cmp_gt_u32_e32 vcc_lo, 0x100, v0
	s_lshl_b64 s[0:1], s[0:1], 2
	v_cmp_gt_u32_e64 s2, 4, v0
	s_add_u32 s0, s8, s0
	s_addc_u32 s1, s9, s1
	v_cmp_eq_u32_e64 s3, 0, v0
	s_waitcnt lgkmcnt(0)
	s_load_b32 s7, s[0:1], 0x0
	v_cmp_gt_u32_e64 s0, 64, v0
	v_cmp_gt_u32_e64 s1, 16, v0
	v_mov_b32_e32 v12, 0
	s_add_u32 s24, s8, 4
	s_addc_u32 s25, s9, 0
	s_mov_b32 s20, s16
	s_waitcnt lgkmcnt(0)
	s_mov_b32 s26, s7
	s_branch .LBB93_10
.LBB93_9:                               ;   in Loop: Header=BB93_10 Depth=1
	s_or_b32 exec_lo, exec_lo, s5
	s_add_i32 s20, s20, 1
	s_delay_alu instid0(SALU_CYCLE_1)
	s_cmp_ge_i32 s20, s17
	s_cbranch_scc1 .LBB93_31
.LBB93_10:                              ; =>This Loop Header: Depth=1
                                        ;     Child Loop BB93_12 Depth 2
                                        ;     Child Loop BB93_26 Depth 2
	;; [unrolled: 1-line block ×3, first 2 shown]
	s_ashr_i32 s21, s20, 31
	s_mov_b32 s22, s26
	s_lshl_b64 s[4:5], s[20:21], 2
	v_dual_mov_b32 v1, 0 :: v_dual_add_nc_u32 v0, s22, v11
	s_add_u32 s4, s24, s4
	s_addc_u32 s5, s25, s5
	v_mov_b32_e32 v2, 0
	s_load_b32 s26, s[4:5], 0x0
	s_mov_b32 s22, exec_lo
	s_waitcnt lgkmcnt(0)
	s_sub_i32 s23, s26, s6
	s_delay_alu instid0(SALU_CYCLE_1)
	v_cmpx_gt_i32_e64 s23, v0
	s_cbranch_execz .LBB93_14
; %bb.11:                               ;   in Loop: Header=BB93_10 Depth=1
	v_ashrrev_i32_e32 v1, 31, v0
	s_mov_b32 s27, 0
	s_delay_alu instid0(VALU_DEP_1) | instskip(SKIP_2) | instid1(VALU_DEP_3)
	v_lshlrev_b64 v[8:9], 2, v[0:1]
	v_mov_b32_e32 v1, 0
	v_mov_b32_e32 v2, 0
	v_add_co_u32 v6, s4, s10, v8
	s_delay_alu instid0(VALU_DEP_1) | instskip(SKIP_1) | instid1(VALU_DEP_1)
	v_add_co_ci_u32_e64 v7, s4, s11, v9, s4
	v_add_co_u32 v8, s4, s12, v8
	v_add_co_ci_u32_e64 v9, s4, s13, v9, s4
	s_set_inst_prefetch_distance 0x1
	.p2align	6
.LBB93_12:                              ;   Parent Loop BB93_10 Depth=1
                                        ; =>  This Inner Loop Header: Depth=2
	global_load_b32 v3, v[6:7], off
	global_load_b32 v15, v[8:9], off
	v_add_nc_u32_e32 v0, 0x100, v0
	v_add_co_u32 v8, s5, 0x400, v8
	s_delay_alu instid0(VALU_DEP_1) | instskip(SKIP_4) | instid1(VALU_DEP_2)
	v_add_co_ci_u32_e64 v9, s5, 0, v9, s5
	s_waitcnt vmcnt(1)
	v_subrev_nc_u32_e32 v13, s6, v3
	s_waitcnt vmcnt(0)
	v_cvt_f64_f32_e32 v[15:16], v15
	v_ashrrev_i32_e32 v14, 31, v13
	s_delay_alu instid0(VALU_DEP_1) | instskip(NEXT) | instid1(VALU_DEP_1)
	v_lshlrev_b64 v[13:14], 3, v[13:14]
	v_add_co_u32 v13, s4, s14, v13
	s_delay_alu instid0(VALU_DEP_1) | instskip(SKIP_1) | instid1(VALU_DEP_1)
	v_add_co_ci_u32_e64 v14, s4, s15, v14, s4
	v_add_co_u32 v6, s4, 0x400, v6
	v_add_co_ci_u32_e64 v7, s4, 0, v7, s4
	global_load_b64 v[13:14], v[13:14], off
	v_cmp_le_i32_e64 s4, s23, v0
	s_delay_alu instid0(VALU_DEP_1)
	s_or_b32 s27, s4, s27
	s_waitcnt vmcnt(0)
	v_fma_f64 v[1:2], v[15:16], v[13:14], v[1:2]
	s_and_not1_b32 exec_lo, exec_lo, s27
	s_cbranch_execnz .LBB93_12
; %bb.13:                               ;   in Loop: Header=BB93_10 Depth=1
	s_set_inst_prefetch_distance 0x2
	s_or_b32 exec_lo, exec_lo, s27
.LBB93_14:                              ;   in Loop: Header=BB93_10 Depth=1
	s_delay_alu instid0(SALU_CYCLE_1)
	s_or_b32 exec_lo, exec_lo, s22
	ds_store_b64 v10, v[1:2]
	s_waitcnt lgkmcnt(0)
	s_barrier
	buffer_gl0_inv
	s_and_saveexec_b32 s4, vcc_lo
	s_cbranch_execz .LBB93_16
; %bb.15:                               ;   in Loop: Header=BB93_10 Depth=1
	ds_load_2addr_stride64_b64 v[0:3], v10 offset1:4
	ds_load_2addr_stride64_b64 v[6:9], v10 offset0:8 offset1:12
	s_waitcnt lgkmcnt(0)
	v_add_f64 v[2:3], v[2:3], v[6:7]
	s_delay_alu instid0(VALU_DEP_1) | instskip(NEXT) | instid1(VALU_DEP_1)
	v_add_f64 v[2:3], v[2:3], v[8:9]
	v_add_f64 v[0:1], v[0:1], v[2:3]
	ds_store_b64 v10, v[0:1]
.LBB93_16:                              ;   in Loop: Header=BB93_10 Depth=1
	s_or_b32 exec_lo, exec_lo, s4
	s_waitcnt lgkmcnt(0)
	s_barrier
	buffer_gl0_inv
	s_and_saveexec_b32 s4, s0
	s_cbranch_execz .LBB93_18
; %bb.17:                               ;   in Loop: Header=BB93_10 Depth=1
	ds_load_2addr_stride64_b64 v[0:3], v10 offset1:1
	ds_load_2addr_stride64_b64 v[6:9], v10 offset0:2 offset1:3
	s_waitcnt lgkmcnt(0)
	v_add_f64 v[2:3], v[2:3], v[6:7]
	s_delay_alu instid0(VALU_DEP_1) | instskip(NEXT) | instid1(VALU_DEP_1)
	v_add_f64 v[2:3], v[2:3], v[8:9]
	v_add_f64 v[0:1], v[0:1], v[2:3]
	ds_store_b64 v10, v[0:1]
.LBB93_18:                              ;   in Loop: Header=BB93_10 Depth=1
	s_or_b32 exec_lo, exec_lo, s4
	s_waitcnt lgkmcnt(0)
	s_barrier
	buffer_gl0_inv
	s_and_saveexec_b32 s4, s1
	s_cbranch_execz .LBB93_20
; %bb.19:                               ;   in Loop: Header=BB93_10 Depth=1
	ds_load_2addr_b64 v[0:3], v10 offset1:16
	ds_load_2addr_b64 v[6:9], v10 offset0:32 offset1:48
	s_waitcnt lgkmcnt(0)
	v_add_f64 v[2:3], v[2:3], v[6:7]
	s_delay_alu instid0(VALU_DEP_1) | instskip(NEXT) | instid1(VALU_DEP_1)
	v_add_f64 v[2:3], v[2:3], v[8:9]
	v_add_f64 v[0:1], v[0:1], v[2:3]
	ds_store_b64 v10, v[0:1]
.LBB93_20:                              ;   in Loop: Header=BB93_10 Depth=1
	s_or_b32 exec_lo, exec_lo, s4
	s_waitcnt lgkmcnt(0)
	s_barrier
	buffer_gl0_inv
	s_and_saveexec_b32 s4, s2
	s_cbranch_execz .LBB93_22
; %bb.21:                               ;   in Loop: Header=BB93_10 Depth=1
	ds_load_2addr_b64 v[0:3], v10 offset1:4
	ds_load_2addr_b64 v[6:9], v10 offset0:8 offset1:12
	s_waitcnt lgkmcnt(0)
	v_add_f64 v[2:3], v[2:3], v[6:7]
	s_delay_alu instid0(VALU_DEP_1) | instskip(NEXT) | instid1(VALU_DEP_1)
	v_add_f64 v[2:3], v[2:3], v[8:9]
	v_add_f64 v[0:1], v[0:1], v[2:3]
	ds_store_b64 v10, v[0:1]
.LBB93_22:                              ;   in Loop: Header=BB93_10 Depth=1
	s_or_b32 exec_lo, exec_lo, s4
	s_waitcnt lgkmcnt(0)
	s_barrier
	buffer_gl0_inv
	s_and_saveexec_b32 s4, s3
	s_cbranch_execz .LBB93_24
; %bb.23:                               ;   in Loop: Header=BB93_10 Depth=1
	ds_load_2addr_b64 v[0:3], v12 offset0:1 offset1:2
	ds_load_b64 v[6:7], v10
	s_waitcnt lgkmcnt(1)
	v_add_f64 v[0:1], v[0:1], v[2:3]
	ds_load_b64 v[2:3], v12 offset:24
	s_waitcnt lgkmcnt(0)
	v_add_f64 v[0:1], v[0:1], v[2:3]
	s_delay_alu instid0(VALU_DEP_1)
	v_add_f64 v[0:1], v[6:7], v[0:1]
	ds_store_b64 v10, v[0:1]
.LBB93_24:                              ;   in Loop: Header=BB93_10 Depth=1
	s_or_b32 exec_lo, exec_lo, s4
	s_waitcnt lgkmcnt(0)
	s_barrier
	buffer_gl0_inv
	s_and_saveexec_b32 s5, s3
	s_cbranch_execz .LBB93_9
; %bb.25:                               ;   in Loop: Header=BB93_10 Depth=1
	ds_load_b64 v[0:1], v12
	v_mov_b32_e32 v6, 0
	v_bfrev_b32_e32 v7, 1
	s_mov_b32 s4, exec_lo
	s_waitcnt lgkmcnt(0)
	v_mul_f64 v[0:1], v[4:5], v[0:1]
.LBB93_26:                              ;   Parent Loop BB93_10 Depth=1
                                        ; =>  This Inner Loop Header: Depth=2
	s_ctz_i32_b32 s27, s4
	s_delay_alu instid0(VALU_DEP_1) | instid1(SALU_CYCLE_1)
	v_readlane_b32 s23, v1, s27
	s_delay_alu instid0(VALU_DEP_2) | instskip(NEXT) | instid1(VALU_DEP_1)
	v_readlane_b32 s22, v0, s27
	v_add_f64 v[6:7], v[6:7], s[22:23]
	s_lshl_b32 s22, 1, s27
	s_delay_alu instid0(SALU_CYCLE_1) | instskip(NEXT) | instid1(SALU_CYCLE_1)
	s_and_not1_b32 s4, s4, s22
	s_cmp_lg_u32 s4, 0
	s_cbranch_scc1 .LBB93_26
; %bb.27:                               ;   in Loop: Header=BB93_10 Depth=1
	v_mbcnt_lo_u32_b32 v0, exec_lo, 0
	s_mov_b32 s22, exec_lo
	s_delay_alu instid0(VALU_DEP_1)
	v_cmpx_eq_u32_e32 0, v0
	s_xor_b32 s22, exec_lo, s22
	s_cbranch_execz .LBB93_9
; %bb.28:                               ;   in Loop: Header=BB93_10 Depth=1
	s_lshl_b64 s[22:23], s[20:21], 3
	s_mov_b32 s21, 0
	s_add_u32 s22, s18, s22
	s_addc_u32 s23, s19, s23
	global_load_b64 v[2:3], v12, s[22:23]
.LBB93_29:                              ;   Parent Loop BB93_10 Depth=1
                                        ; =>  This Inner Loop Header: Depth=2
	s_waitcnt vmcnt(0)
	v_add_f64 v[0:1], v[2:3], v[6:7]
	global_atomic_cmpswap_b64 v[0:1], v12, v[0:3], s[22:23] glc
	s_waitcnt vmcnt(0)
	v_cmp_eq_u64_e64 s4, v[0:1], v[2:3]
	v_dual_mov_b32 v3, v1 :: v_dual_mov_b32 v2, v0
	s_delay_alu instid0(VALU_DEP_2) | instskip(NEXT) | instid1(SALU_CYCLE_1)
	s_or_b32 s21, s4, s21
	s_and_not1_b32 exec_lo, exec_lo, s21
	s_cbranch_execnz .LBB93_29
; %bb.30:                               ;   in Loop: Header=BB93_10 Depth=1
	s_or_b32 exec_lo, exec_lo, s21
	s_branch .LBB93_9
.LBB93_31:
	s_ashr_i32 s1, s17, 31
	s_mov_b32 s0, s17
	s_waitcnt lgkmcnt(0)
	v_add_nc_u32_e32 v6, s7, v11
	s_lshl_b64 s[0:1], s[0:1], 2
	s_delay_alu instid0(SALU_CYCLE_1) | instskip(SKIP_4) | instid1(SALU_CYCLE_1)
	s_add_u32 s0, s8, s0
	s_addc_u32 s1, s9, s1
	s_load_b32 s0, s[0:1], 0x0
	s_waitcnt lgkmcnt(0)
	s_sub_i32 s1, s0, s6
	v_cmp_gt_i32_e32 vcc_lo, s1, v6
	s_and_b32 exec_lo, exec_lo, vcc_lo
	s_cbranch_execz .LBB93_41
; %bb.32:
	s_add_i32 s2, s17, -1
	s_mov_b32 s4, 0
	s_cmp_gt_i32 s2, s16
	s_cselect_b32 s0, -1, 0
	s_add_i32 s3, s17, -2
	s_delay_alu instid0(SALU_CYCLE_1) | instskip(SKIP_1) | instid1(SALU_CYCLE_1)
	s_cmp_lg_u32 s3, s16
	s_cselect_b32 s3, -1, 0
	s_and_b32 s3, s0, s3
	s_branch .LBB93_34
.LBB93_33:                              ;   in Loop: Header=BB93_34 Depth=1
	s_or_b32 exec_lo, exec_lo, s0
	v_add_nc_u32_e32 v6, 0x100, v6
	s_delay_alu instid0(VALU_DEP_1) | instskip(SKIP_1) | instid1(SALU_CYCLE_1)
	v_cmp_le_i32_e32 vcc_lo, s1, v6
	s_or_b32 s4, vcc_lo, s4
	s_and_not1_b32 exec_lo, exec_lo, s4
	s_cbranch_execz .LBB93_41
.LBB93_34:                              ; =>This Loop Header: Depth=1
                                        ;     Child Loop BB93_36 Depth 2
                                        ;     Child Loop BB93_40 Depth 2
	v_dual_mov_b32 v3, s16 :: v_dual_mov_b32 v0, s2
	s_and_not1_b32 vcc_lo, exec_lo, s3
	s_cbranch_vccnz .LBB93_38
; %bb.35:                               ;   in Loop: Header=BB93_34 Depth=1
	v_dual_mov_b32 v3, s16 :: v_dual_mov_b32 v0, s2
	s_mov_b32 s5, 0
	.p2align	6
.LBB93_36:                              ;   Parent Loop BB93_34 Depth=1
                                        ; =>  This Inner Loop Header: Depth=2
	s_delay_alu instid0(VALU_DEP_1) | instskip(NEXT) | instid1(VALU_DEP_1)
	v_add_nc_u32_e32 v1, v0, v3
	v_lshrrev_b32_e32 v2, 31, v1
	s_delay_alu instid0(VALU_DEP_1) | instskip(NEXT) | instid1(VALU_DEP_1)
	v_add_nc_u32_e32 v1, v1, v2
	v_ashrrev_i32_e32 v1, 1, v1
	s_delay_alu instid0(VALU_DEP_1) | instskip(NEXT) | instid1(VALU_DEP_1)
	v_ashrrev_i32_e32 v2, 31, v1
	v_lshlrev_b64 v[7:8], 2, v[1:2]
	s_delay_alu instid0(VALU_DEP_1) | instskip(NEXT) | instid1(VALU_DEP_2)
	v_add_co_u32 v7, vcc_lo, s8, v7
	v_add_co_ci_u32_e32 v8, vcc_lo, s9, v8, vcc_lo
	global_load_b32 v2, v[7:8], off
	s_waitcnt vmcnt(0)
	v_subrev_nc_u32_e32 v2, s6, v2
	s_delay_alu instid0(VALU_DEP_1) | instskip(SKIP_1) | instid1(VALU_DEP_1)
	v_cmp_gt_i32_e32 vcc_lo, v2, v6
	v_dual_cndmask_b32 v0, v0, v1 :: v_dual_cndmask_b32 v3, v1, v3
	v_add_nc_u32_e32 v1, -1, v0
	s_delay_alu instid0(VALU_DEP_2) | instskip(NEXT) | instid1(VALU_DEP_2)
	v_cmp_ge_i32_e32 vcc_lo, v3, v0
	v_cmp_eq_u32_e64 s0, v3, v1
	s_delay_alu instid0(VALU_DEP_1) | instskip(NEXT) | instid1(SALU_CYCLE_1)
	s_or_b32 s0, vcc_lo, s0
	s_and_b32 s0, exec_lo, s0
	s_delay_alu instid0(SALU_CYCLE_1) | instskip(NEXT) | instid1(SALU_CYCLE_1)
	s_or_b32 s5, s0, s5
	s_and_not1_b32 exec_lo, exec_lo, s5
	s_cbranch_execnz .LBB93_36
; %bb.37:                               ;   in Loop: Header=BB93_34 Depth=1
	s_or_b32 exec_lo, exec_lo, s5
.LBB93_38:                              ;   in Loop: Header=BB93_34 Depth=1
	s_delay_alu instid0(VALU_DEP_1) | instskip(SKIP_2) | instid1(VALU_DEP_2)
	v_ashrrev_i32_e32 v1, 31, v0
	v_ashrrev_i32_e32 v7, 31, v6
	s_mov_b32 s0, exec_lo
	v_lshlrev_b64 v[1:2], 2, v[0:1]
	s_delay_alu instid0(VALU_DEP_1) | instskip(NEXT) | instid1(VALU_DEP_2)
	v_add_co_u32 v8, vcc_lo, s8, v1
	v_add_co_ci_u32_e32 v9, vcc_lo, s9, v2, vcc_lo
	v_lshlrev_b64 v[1:2], 2, v[6:7]
	global_load_b32 v9, v[8:9], off
	v_add_co_u32 v7, vcc_lo, s10, v1
	v_add_co_ci_u32_e32 v8, vcc_lo, s11, v2, vcc_lo
	global_load_b32 v8, v[7:8], off
	s_waitcnt vmcnt(1)
	v_subrev_nc_u32_e32 v7, s6, v9
	s_delay_alu instid0(VALU_DEP_1) | instskip(SKIP_3) | instid1(VALU_DEP_1)
	v_cmp_gt_i32_e32 vcc_lo, v7, v6
	v_cndmask_b32_e32 v7, v0, v3, vcc_lo
	s_waitcnt vmcnt(0)
	v_subrev_nc_u32_e32 v0, s6, v8
	v_cmpx_ne_u32_e64 v0, v7
	s_cbranch_execz .LBB93_33
; %bb.39:                               ;   in Loop: Header=BB93_34 Depth=1
	v_add_co_u32 v1, vcc_lo, s12, v1
	v_add_co_ci_u32_e32 v2, vcc_lo, s13, v2, vcc_lo
	v_ashrrev_i32_e32 v8, 31, v7
	s_mov_b32 s5, 0
	global_load_b32 v11, v[1:2], off
	v_lshlrev_b64 v[1:2], 3, v[7:8]
	s_delay_alu instid0(VALU_DEP_1) | instskip(NEXT) | instid1(VALU_DEP_2)
	v_add_co_u32 v1, vcc_lo, s14, v1
	v_add_co_ci_u32_e32 v2, vcc_lo, s15, v2, vcc_lo
	global_load_b64 v[9:10], v[1:2], off
	v_ashrrev_i32_e32 v1, 31, v0
	s_delay_alu instid0(VALU_DEP_1) | instskip(NEXT) | instid1(VALU_DEP_1)
	v_lshlrev_b64 v[0:1], 3, v[0:1]
	v_add_co_u32 v7, vcc_lo, s18, v0
	s_delay_alu instid0(VALU_DEP_2) | instskip(SKIP_3) | instid1(VALU_DEP_1)
	v_add_co_ci_u32_e32 v8, vcc_lo, s19, v1, vcc_lo
	global_load_b64 v[2:3], v[7:8], off
	s_waitcnt vmcnt(2)
	v_cvt_f64_f32_e32 v[0:1], v11
	v_mul_f64 v[0:1], v[4:5], v[0:1]
	s_waitcnt vmcnt(1)
	s_delay_alu instid0(VALU_DEP_1)
	v_mul_f64 v[9:10], v[9:10], v[0:1]
.LBB93_40:                              ;   Parent Loop BB93_34 Depth=1
                                        ; =>  This Inner Loop Header: Depth=2
	s_waitcnt vmcnt(0)
	s_delay_alu instid0(VALU_DEP_1)
	v_add_f64 v[0:1], v[2:3], v[9:10]
	global_atomic_cmpswap_b64 v[0:1], v[7:8], v[0:3], off glc
	s_waitcnt vmcnt(0)
	v_cmp_eq_u64_e32 vcc_lo, v[0:1], v[2:3]
	v_dual_mov_b32 v3, v1 :: v_dual_mov_b32 v2, v0
	s_or_b32 s5, vcc_lo, s5
	s_delay_alu instid0(SALU_CYCLE_1)
	s_and_not1_b32 exec_lo, exec_lo, s5
	s_cbranch_execnz .LBB93_40
	s_branch .LBB93_33
.LBB93_41:
	s_endpgm
	.section	.rodata,"a",@progbits
	.p2align	6, 0x0
	.amdhsa_kernel _ZL33csrmvn_symm_large_adaptive_kernelIiifdddEvbT_PKS0_N9rocsparse24const_host_device_scalarIT4_EES2_PKT0_PKT1_PKT2_S6_PT3_21rocsparse_index_base_b
		.amdhsa_group_segment_fixed_size 8192
		.amdhsa_private_segment_fixed_size 0
		.amdhsa_kernarg_size 80
		.amdhsa_user_sgpr_count 15
		.amdhsa_user_sgpr_dispatch_ptr 0
		.amdhsa_user_sgpr_queue_ptr 0
		.amdhsa_user_sgpr_kernarg_segment_ptr 1
		.amdhsa_user_sgpr_dispatch_id 0
		.amdhsa_user_sgpr_private_segment_size 0
		.amdhsa_wavefront_size32 1
		.amdhsa_uses_dynamic_stack 0
		.amdhsa_enable_private_segment 0
		.amdhsa_system_sgpr_workgroup_id_x 1
		.amdhsa_system_sgpr_workgroup_id_y 0
		.amdhsa_system_sgpr_workgroup_id_z 0
		.amdhsa_system_sgpr_workgroup_info 0
		.amdhsa_system_vgpr_workitem_id 0
		.amdhsa_next_free_vgpr 17
		.amdhsa_next_free_sgpr 28
		.amdhsa_reserve_vcc 1
		.amdhsa_float_round_mode_32 0
		.amdhsa_float_round_mode_16_64 0
		.amdhsa_float_denorm_mode_32 3
		.amdhsa_float_denorm_mode_16_64 3
		.amdhsa_dx10_clamp 1
		.amdhsa_ieee_mode 1
		.amdhsa_fp16_overflow 0
		.amdhsa_workgroup_processor_mode 1
		.amdhsa_memory_ordered 1
		.amdhsa_forward_progress 0
		.amdhsa_shared_vgpr_count 0
		.amdhsa_exception_fp_ieee_invalid_op 0
		.amdhsa_exception_fp_denorm_src 0
		.amdhsa_exception_fp_ieee_div_zero 0
		.amdhsa_exception_fp_ieee_overflow 0
		.amdhsa_exception_fp_ieee_underflow 0
		.amdhsa_exception_fp_ieee_inexact 0
		.amdhsa_exception_int_div_zero 0
	.end_amdhsa_kernel
	.section	.text._ZL33csrmvn_symm_large_adaptive_kernelIiifdddEvbT_PKS0_N9rocsparse24const_host_device_scalarIT4_EES2_PKT0_PKT1_PKT2_S6_PT3_21rocsparse_index_base_b,"axG",@progbits,_ZL33csrmvn_symm_large_adaptive_kernelIiifdddEvbT_PKS0_N9rocsparse24const_host_device_scalarIT4_EES2_PKT0_PKT1_PKT2_S6_PT3_21rocsparse_index_base_b,comdat
.Lfunc_end93:
	.size	_ZL33csrmvn_symm_large_adaptive_kernelIiifdddEvbT_PKS0_N9rocsparse24const_host_device_scalarIT4_EES2_PKT0_PKT1_PKT2_S6_PT3_21rocsparse_index_base_b, .Lfunc_end93-_ZL33csrmvn_symm_large_adaptive_kernelIiifdddEvbT_PKS0_N9rocsparse24const_host_device_scalarIT4_EES2_PKT0_PKT1_PKT2_S6_PT3_21rocsparse_index_base_b
                                        ; -- End function
	.section	.AMDGPU.csdata,"",@progbits
; Kernel info:
; codeLenInByte = 2032
; NumSgprs: 30
; NumVgprs: 17
; ScratchSize: 0
; MemoryBound: 0
; FloatMode: 240
; IeeeMode: 1
; LDSByteSize: 8192 bytes/workgroup (compile time only)
; SGPRBlocks: 3
; VGPRBlocks: 2
; NumSGPRsForWavesPerEU: 30
; NumVGPRsForWavesPerEU: 17
; Occupancy: 16
; WaveLimiterHint : 1
; COMPUTE_PGM_RSRC2:SCRATCH_EN: 0
; COMPUTE_PGM_RSRC2:USER_SGPR: 15
; COMPUTE_PGM_RSRC2:TRAP_HANDLER: 0
; COMPUTE_PGM_RSRC2:TGID_X_EN: 1
; COMPUTE_PGM_RSRC2:TGID_Y_EN: 0
; COMPUTE_PGM_RSRC2:TGID_Z_EN: 0
; COMPUTE_PGM_RSRC2:TIDIG_COMP_CNT: 0
	.section	.text._ZN9rocsparseL22csrmvn_adaptive_kernelIlifdddEEvbT_PKS1_PjPKT0_NS_24const_host_device_scalarIT4_EES3_S7_PKT1_PKT2_SA_PT3_21rocsparse_index_base_b,"axG",@progbits,_ZN9rocsparseL22csrmvn_adaptive_kernelIlifdddEEvbT_PKS1_PjPKT0_NS_24const_host_device_scalarIT4_EES3_S7_PKT1_PKT2_SA_PT3_21rocsparse_index_base_b,comdat
	.globl	_ZN9rocsparseL22csrmvn_adaptive_kernelIlifdddEEvbT_PKS1_PjPKT0_NS_24const_host_device_scalarIT4_EES3_S7_PKT1_PKT2_SA_PT3_21rocsparse_index_base_b ; -- Begin function _ZN9rocsparseL22csrmvn_adaptive_kernelIlifdddEEvbT_PKS1_PjPKT0_NS_24const_host_device_scalarIT4_EES3_S7_PKT1_PKT2_SA_PT3_21rocsparse_index_base_b
	.p2align	8
	.type	_ZN9rocsparseL22csrmvn_adaptive_kernelIlifdddEEvbT_PKS1_PjPKT0_NS_24const_host_device_scalarIT4_EES3_S7_PKT1_PKT2_SA_PT3_21rocsparse_index_base_b,@function
_ZN9rocsparseL22csrmvn_adaptive_kernelIlifdddEEvbT_PKS1_PjPKT0_NS_24const_host_device_scalarIT4_EES3_S7_PKT1_PKT2_SA_PT3_21rocsparse_index_base_b: ; @_ZN9rocsparseL22csrmvn_adaptive_kernelIlifdddEEvbT_PKS1_PjPKT0_NS_24const_host_device_scalarIT4_EES3_S7_PKT1_PKT2_SA_PT3_21rocsparse_index_base_b
; %bb.0:
	s_clause 0x2
	s_load_b64 s[30:31], s[0:1], 0x60
	s_load_b64 s[4:5], s[0:1], 0x28
	;; [unrolled: 1-line block ×3, first 2 shown]
	s_mov_b32 s36, s15
	s_waitcnt lgkmcnt(0)
	s_bitcmp1_b32 s31, 0
	v_dual_mov_b32 v8, s5 :: v_dual_mov_b32 v7, s4
	s_cselect_b32 s6, -1, 0
	s_delay_alu instid0(SALU_CYCLE_1)
	s_and_b32 vcc_lo, exec_lo, s6
	s_xor_b32 s6, s6, -1
	s_cbranch_vccnz .LBB94_2
; %bb.1:
	v_dual_mov_b32 v1, s4 :: v_dual_mov_b32 v2, s5
	flat_load_b64 v[7:8], v[1:2]
.LBB94_2:
	v_dual_mov_b32 v6, s3 :: v_dual_mov_b32 v5, s2
	s_and_not1_b32 vcc_lo, exec_lo, s6
	s_cbranch_vccnz .LBB94_4
; %bb.3:
	v_dual_mov_b32 v1, s2 :: v_dual_mov_b32 v2, s3
	flat_load_b64 v[5:6], v[1:2]
.LBB94_4:
	s_waitcnt vmcnt(0) lgkmcnt(0)
	v_cmp_neq_f64_e32 vcc_lo, 0, v[7:8]
	v_cmp_neq_f64_e64 s2, 1.0, v[5:6]
	s_delay_alu instid0(VALU_DEP_1) | instskip(NEXT) | instid1(SALU_CYCLE_1)
	s_or_b32 s2, vcc_lo, s2
	s_and_saveexec_b32 s3, s2
	s_cbranch_execz .LBB94_116
; %bb.5:
	s_clause 0x2
	s_load_b64 s[2:3], s[0:1], 0x10
	s_load_b64 s[6:7], s[0:1], 0x20
	;; [unrolled: 1-line block ×3, first 2 shown]
	s_ashr_i32 s37, s36, 31
	s_delay_alu instid0(SALU_CYCLE_1)
	s_lshl_b64 s[4:5], s[36:37], 3
	s_waitcnt lgkmcnt(0)
	s_add_u32 s2, s2, s4
	s_addc_u32 s3, s3, s5
	s_lshl_b64 s[38:39], s[36:37], 2
	s_load_b128 s[20:23], s[2:3], 0x0
	s_load_b256 s[12:19], s[0:1], 0x30
	s_mov_b32 s3, -1
	s_waitcnt lgkmcnt(0)
	s_sub_i32 s2, s22, s20
	s_add_u32 s4, s6, s38
	s_addc_u32 s5, s7, s39
	s_lshl_b64 s[34:35], s[20:21], 3
	s_delay_alu instid0(SALU_CYCLE_1)
	s_add_u32 s26, s12, s34
	s_addc_u32 s27, s13, s35
	s_load_b32 s31, s[4:5], 0x0
	s_load_b64 s[28:29], s[26:27], 0x0
	s_cmp_lt_i32 s2, 2
	s_cbranch_scc0 .LBB94_72
; %bb.6:
	s_cmp_lg_u32 s2, 1
	s_cselect_b32 s2, -1, 0
	s_waitcnt lgkmcnt(0)
	s_cmp_lg_u32 s31, 0
	s_cselect_b32 s3, -1, 0
	s_delay_alu instid0(SALU_CYCLE_1) | instskip(NEXT) | instid1(SALU_CYCLE_1)
	s_or_b32 s2, s2, s3
	s_and_b32 vcc_lo, exec_lo, s2
	s_mov_b32 s2, -1
	s_cbranch_vccnz .LBB94_35
; %bb.7:
	v_cmp_le_i64_e64 s2, s[22:23], s[20:21]
	s_delay_alu instid0(VALU_DEP_1)
	s_and_b32 vcc_lo, exec_lo, s2
	s_cbranch_vccnz .LBB94_34
; %bb.8:
	v_cmp_neq_f64_e64 s2, 0, v[5:6]
	v_sub_co_u32 v13, s3, v0, s30
	s_delay_alu instid0(VALU_DEP_1)
	v_sub_co_ci_u32_e64 v14, null, 0, 0, s3
	v_dual_mov_b32 v16, 0 :: v_dual_lshlrev_b32 v15, 3, v0
	v_cmp_gt_u32_e64 s3, 0x80, v0
	v_cmp_gt_u32_e64 s4, 64, v0
	;; [unrolled: 1-line block ×7, first 2 shown]
	v_cmp_eq_u32_e64 s10, 0, v0
	s_add_u32 s33, s12, 8
	s_addc_u32 s37, s13, 0
	s_mov_b64 s[42:43], s[28:29]
	s_mov_b64 s[40:41], s[20:21]
	s_branch .LBB94_11
.LBB94_9:                               ;   in Loop: Header=BB94_11 Depth=1
	s_or_b32 exec_lo, exec_lo, s46
	s_add_u32 s44, s24, s44
	s_addc_u32 s45, s25, s45
	s_waitcnt lgkmcnt(0)
	global_store_b64 v16, v[1:2], s[44:45]
.LBB94_10:                              ;   in Loop: Header=BB94_11 Depth=1
	s_or_b32 exec_lo, exec_lo, s11
	s_add_u32 s40, s40, 1
	s_addc_u32 s41, s41, 0
	s_delay_alu instid0(SALU_CYCLE_1) | instskip(NEXT) | instid1(VALU_DEP_1)
	v_cmp_ge_i64_e64 s11, s[40:41], s[22:23]
	s_and_b32 vcc_lo, exec_lo, s11
	s_cbranch_vccnz .LBB94_34
.LBB94_11:                              ; =>This Loop Header: Depth=1
                                        ;     Child Loop BB94_13 Depth 2
	s_lshl_b64 s[44:45], s[40:41], 3
	s_mov_b64 s[48:49], s[42:43]
	s_add_u32 s46, s33, s44
	s_addc_u32 s47, s37, s45
	v_add_co_u32 v1, vcc_lo, s48, v13
	s_load_b64 s[42:43], s[46:47], 0x0
	v_mov_b32_e32 v3, 0
	v_add_co_ci_u32_e32 v2, vcc_lo, s49, v14, vcc_lo
	v_mov_b32_e32 v4, 0
	s_mov_b32 s48, exec_lo
	s_waitcnt lgkmcnt(0)
	s_sub_u32 s46, s42, s30
	s_subb_u32 s47, s43, 0
	s_delay_alu instid0(SALU_CYCLE_1)
	v_cmpx_gt_i64_e64 s[46:47], v[1:2]
	s_cbranch_execz .LBB94_15
; %bb.12:                               ;   in Loop: Header=BB94_11 Depth=1
	v_lshlrev_b64 v[11:12], 2, v[1:2]
	v_mov_b32_e32 v3, 0
	v_mov_b32_e32 v4, 0
	s_mov_b32 s49, 0
	s_delay_alu instid0(VALU_DEP_3) | instskip(NEXT) | instid1(VALU_DEP_4)
	v_add_co_u32 v9, vcc_lo, s16, v11
	v_add_co_ci_u32_e32 v10, vcc_lo, s17, v12, vcc_lo
	v_add_co_u32 v11, vcc_lo, s14, v11
	v_add_co_ci_u32_e32 v12, vcc_lo, s15, v12, vcc_lo
	s_set_inst_prefetch_distance 0x1
	.p2align	6
.LBB94_13:                              ;   Parent Loop BB94_11 Depth=1
                                        ; =>  This Inner Loop Header: Depth=2
	global_load_b32 v17, v[11:12], off
	global_load_b32 v19, v[9:10], off
	v_add_co_u32 v11, s11, 0x400, v11
	s_delay_alu instid0(VALU_DEP_1) | instskip(SKIP_4) | instid1(VALU_DEP_2)
	v_add_co_ci_u32_e64 v12, s11, 0, v12, s11
	s_waitcnt vmcnt(1)
	v_subrev_nc_u32_e32 v17, s30, v17
	s_waitcnt vmcnt(0)
	v_cvt_f64_f32_e32 v[19:20], v19
	v_ashrrev_i32_e32 v18, 31, v17
	s_delay_alu instid0(VALU_DEP_1) | instskip(NEXT) | instid1(VALU_DEP_1)
	v_lshlrev_b64 v[17:18], 3, v[17:18]
	v_add_co_u32 v17, vcc_lo, s18, v17
	s_delay_alu instid0(VALU_DEP_2)
	v_add_co_ci_u32_e32 v18, vcc_lo, s19, v18, vcc_lo
	v_add_co_u32 v1, vcc_lo, 0x100, v1
	v_add_co_ci_u32_e32 v2, vcc_lo, 0, v2, vcc_lo
	global_load_b64 v[17:18], v[17:18], off
	v_add_co_u32 v9, vcc_lo, 0x400, v9
	v_add_co_ci_u32_e32 v10, vcc_lo, 0, v10, vcc_lo
	v_cmp_le_i64_e32 vcc_lo, s[46:47], v[1:2]
	s_or_b32 s49, vcc_lo, s49
	v_mul_f64 v[19:20], v[7:8], v[19:20]
	s_waitcnt vmcnt(0)
	s_delay_alu instid0(VALU_DEP_1)
	v_fma_f64 v[3:4], v[19:20], v[17:18], v[3:4]
	s_and_not1_b32 exec_lo, exec_lo, s49
	s_cbranch_execnz .LBB94_13
; %bb.14:                               ;   in Loop: Header=BB94_11 Depth=1
	s_set_inst_prefetch_distance 0x2
	s_or_b32 exec_lo, exec_lo, s49
.LBB94_15:                              ;   in Loop: Header=BB94_11 Depth=1
	s_delay_alu instid0(SALU_CYCLE_1)
	s_or_b32 exec_lo, exec_lo, s48
	ds_store_b64 v15, v[3:4]
	s_waitcnt lgkmcnt(0)
	s_waitcnt_vscnt null, 0x0
	s_barrier
	buffer_gl0_inv
	s_and_saveexec_b32 s11, s3
	s_cbranch_execz .LBB94_17
; %bb.16:                               ;   in Loop: Header=BB94_11 Depth=1
	ds_load_2addr_stride64_b64 v[1:4], v15 offset1:2
	s_waitcnt lgkmcnt(0)
	v_add_f64 v[1:2], v[1:2], v[3:4]
	ds_store_b64 v15, v[1:2]
.LBB94_17:                              ;   in Loop: Header=BB94_11 Depth=1
	s_or_b32 exec_lo, exec_lo, s11
	s_waitcnt lgkmcnt(0)
	s_barrier
	buffer_gl0_inv
	s_and_saveexec_b32 s11, s4
	s_cbranch_execz .LBB94_19
; %bb.18:                               ;   in Loop: Header=BB94_11 Depth=1
	ds_load_2addr_stride64_b64 v[1:4], v15 offset1:1
	s_waitcnt lgkmcnt(0)
	v_add_f64 v[1:2], v[1:2], v[3:4]
	ds_store_b64 v15, v[1:2]
.LBB94_19:                              ;   in Loop: Header=BB94_11 Depth=1
	s_or_b32 exec_lo, exec_lo, s11
	s_waitcnt lgkmcnt(0)
	s_barrier
	buffer_gl0_inv
	s_and_saveexec_b32 s11, s5
	s_cbranch_execz .LBB94_21
; %bb.20:                               ;   in Loop: Header=BB94_11 Depth=1
	ds_load_2addr_b64 v[1:4], v15 offset1:32
	s_waitcnt lgkmcnt(0)
	v_add_f64 v[1:2], v[1:2], v[3:4]
	ds_store_b64 v15, v[1:2]
.LBB94_21:                              ;   in Loop: Header=BB94_11 Depth=1
	s_or_b32 exec_lo, exec_lo, s11
	s_waitcnt lgkmcnt(0)
	s_barrier
	buffer_gl0_inv
	s_and_saveexec_b32 s11, s6
	s_cbranch_execz .LBB94_23
; %bb.22:                               ;   in Loop: Header=BB94_11 Depth=1
	ds_load_2addr_b64 v[1:4], v15 offset1:16
	s_waitcnt lgkmcnt(0)
	v_add_f64 v[1:2], v[1:2], v[3:4]
	ds_store_b64 v15, v[1:2]
.LBB94_23:                              ;   in Loop: Header=BB94_11 Depth=1
	;; [unrolled: 12-line block ×5, first 2 shown]
	s_or_b32 exec_lo, exec_lo, s11
	s_waitcnt lgkmcnt(0)
	s_barrier
	buffer_gl0_inv
	s_and_saveexec_b32 s11, s10
	s_cbranch_execz .LBB94_31
; %bb.30:                               ;   in Loop: Header=BB94_11 Depth=1
	ds_load_b128 v[1:4], v16
	s_waitcnt lgkmcnt(0)
	v_add_f64 v[1:2], v[1:2], v[3:4]
	ds_store_b64 v16, v[1:2]
.LBB94_31:                              ;   in Loop: Header=BB94_11 Depth=1
	s_or_b32 exec_lo, exec_lo, s11
	s_waitcnt lgkmcnt(0)
	s_barrier
	buffer_gl0_inv
	s_and_saveexec_b32 s11, s10
	s_cbranch_execz .LBB94_10
; %bb.32:                               ;   in Loop: Header=BB94_11 Depth=1
	ds_load_b64 v[1:2], v16
	s_and_saveexec_b32 s46, s2
	s_cbranch_execz .LBB94_9
; %bb.33:                               ;   in Loop: Header=BB94_11 Depth=1
	s_add_u32 s48, s24, s44
	s_addc_u32 s49, s25, s45
	global_load_b64 v[3:4], v16, s[48:49]
	s_waitcnt vmcnt(0) lgkmcnt(0)
	v_fma_f64 v[1:2], v[5:6], v[3:4], v[1:2]
	s_branch .LBB94_9
.LBB94_34:
	s_mov_b32 s2, 0
.LBB94_35:
	s_delay_alu instid0(SALU_CYCLE_1)
	s_and_not1_b32 vcc_lo, exec_lo, s2
	s_cbranch_vccnz .LBB94_71
; %bb.36:
	s_load_b64 s[6:7], s[0:1], 0x18
	s_sub_i32 s8, s36, s31
	v_mov_b32_e32 v1, 0
	v_or_b32_e32 v3, s31, v0
	v_mov_b32_e32 v2, 0
	s_mov_b32 s10, exec_lo
	s_waitcnt lgkmcnt(0)
	s_add_u32 s4, s6, s38
	s_addc_u32 s5, s7, s39
	s_load_b32 s33, s[4:5], 0x0
	v_cmpx_eq_u32_e32 0, v3
	s_cbranch_execz .LBB94_40
; %bb.37:
	v_add_f64 v[1:2], v[5:6], -1.0
	s_add_u32 s2, s24, s34
	s_addc_u32 s3, s25, s35
	s_mov_b32 s11, exec_lo
	s_load_b64 s[2:3], s[2:3], 0x0
	v_mbcnt_lo_u32_b32 v3, s11, 0
	s_mov_b32 s36, exec_lo
	s_waitcnt vmcnt(0) expcnt(0) lgkmcnt(0)
	s_waitcnt_vscnt null, 0x0
	s_delay_alu instid0(VALU_DEP_1)
	v_cmpx_eq_u32_e32 0, v3
	s_cbranch_execz .LBB94_39
; %bb.38:
	s_ashr_i32 s9, s8, 31
	s_delay_alu instid0(SALU_CYCLE_1) | instskip(NEXT) | instid1(SALU_CYCLE_1)
	s_lshl_b64 s[38:39], s[8:9], 2
	s_add_u32 s38, s6, s38
	s_addc_u32 s39, s7, s39
	s_bcnt1_i32_b32 s9, s11
	s_delay_alu instid0(SALU_CYCLE_1) | instskip(NEXT) | instid1(SALU_CYCLE_1)
	s_and_b32 s9, s9, 1
	v_dual_mov_b32 v3, 0 :: v_dual_mov_b32 v4, s9
	global_atomic_xor_b32 v3, v4, s[38:39]
.LBB94_39:
	s_or_b32 exec_lo, exec_lo, s36
	s_delay_alu instid0(VALU_DEP_3)
	v_mul_f64 v[1:2], v[1:2], s[2:3]
.LBB94_40:
	s_or_b32 exec_lo, exec_lo, s10
	s_load_b64 s[2:3], s[26:27], 0x8
	s_mul_i32 s10, s31, 0xc00
	s_sub_u32 s11, s28, s30
	s_subb_u32 s36, s29, 0
	s_mul_hi_i32 s9, s31, 0xc00
	s_add_u32 s11, s11, s10
	s_addc_u32 s10, s36, s9
	v_add_co_u32 v3, s9, s11, v0
	s_delay_alu instid0(VALU_DEP_1) | instskip(SKIP_4) | instid1(SALU_CYCLE_1)
	v_add_co_ci_u32_e64 v4, null, s10, 0, s9
	s_mov_b32 s9, exec_lo
	s_waitcnt lgkmcnt(0)
	s_sub_u32 s2, s2, s30
	s_subb_u32 s3, s3, 0
	v_cmpx_gt_i64_e64 s[2:3], v[3:4]
	s_cbranch_execz .LBB94_44
; %bb.41:
	v_lshlrev_b64 v[11:12], 2, v[3:4]
	s_add_u32 s36, s11, 0xc00
	s_addc_u32 s37, s10, 0
	s_delay_alu instid0(SALU_CYCLE_1) | instskip(NEXT) | instid1(VALU_DEP_2)
	v_cmp_lt_i64_e64 s10, s[36:37], s[2:3]
	v_add_co_u32 v9, vcc_lo, s16, v11
	s_delay_alu instid0(VALU_DEP_3)
	v_add_co_ci_u32_e32 v10, vcc_lo, s17, v12, vcc_lo
	v_add_co_u32 v11, vcc_lo, s14, v11
	v_add_co_ci_u32_e32 v12, vcc_lo, s15, v12, vcc_lo
	s_and_b32 s10, s10, exec_lo
	s_cselect_b32 s11, s37, s3
	s_cselect_b32 s10, s36, s2
	s_mov_b32 s3, 0
	s_set_inst_prefetch_distance 0x1
	.p2align	6
.LBB94_42:                              ; =>This Inner Loop Header: Depth=1
	global_load_b32 v13, v[11:12], off
	global_load_b32 v15, v[9:10], off
	v_add_co_u32 v11, s2, 0x400, v11
	s_delay_alu instid0(VALU_DEP_1) | instskip(SKIP_4) | instid1(VALU_DEP_2)
	v_add_co_ci_u32_e64 v12, s2, 0, v12, s2
	s_waitcnt vmcnt(1)
	v_subrev_nc_u32_e32 v13, s30, v13
	s_waitcnt vmcnt(0)
	v_cvt_f64_f32_e32 v[15:16], v15
	v_ashrrev_i32_e32 v14, 31, v13
	s_delay_alu instid0(VALU_DEP_1) | instskip(NEXT) | instid1(VALU_DEP_1)
	v_lshlrev_b64 v[13:14], 3, v[13:14]
	v_add_co_u32 v13, vcc_lo, s18, v13
	s_delay_alu instid0(VALU_DEP_2)
	v_add_co_ci_u32_e32 v14, vcc_lo, s19, v14, vcc_lo
	v_add_co_u32 v3, vcc_lo, 0x100, v3
	v_add_co_ci_u32_e32 v4, vcc_lo, 0, v4, vcc_lo
	global_load_b64 v[13:14], v[13:14], off
	v_add_co_u32 v9, vcc_lo, 0x400, v9
	v_add_co_ci_u32_e32 v10, vcc_lo, 0, v10, vcc_lo
	v_cmp_le_i64_e32 vcc_lo, s[10:11], v[3:4]
	s_or_b32 s3, vcc_lo, s3
	v_mul_f64 v[15:16], v[7:8], v[15:16]
	s_waitcnt vmcnt(0)
	s_delay_alu instid0(VALU_DEP_1)
	v_fma_f64 v[1:2], v[15:16], v[13:14], v[1:2]
	s_and_not1_b32 exec_lo, exec_lo, s3
	s_cbranch_execnz .LBB94_42
; %bb.43:
	s_set_inst_prefetch_distance 0x2
	s_or_b32 exec_lo, exec_lo, s3
.LBB94_44:
	s_delay_alu instid0(SALU_CYCLE_1)
	s_or_b32 exec_lo, exec_lo, s9
	v_lshlrev_b32_e32 v3, 3, v0
	s_mov_b32 s2, exec_lo
	ds_store_b64 v3, v[1:2]
	s_waitcnt lgkmcnt(0)
	s_waitcnt_vscnt null, 0x0
	s_barrier
	buffer_gl0_inv
	v_cmpx_gt_u32_e32 0x80, v0
	s_cbranch_execz .LBB94_46
; %bb.45:
	ds_load_2addr_stride64_b64 v[9:12], v3 offset1:2
	s_waitcnt lgkmcnt(0)
	v_add_f64 v[1:2], v[9:10], v[11:12]
	ds_store_b64 v3, v[1:2]
.LBB94_46:
	s_or_b32 exec_lo, exec_lo, s2
	s_delay_alu instid0(SALU_CYCLE_1)
	s_mov_b32 s2, exec_lo
	s_waitcnt lgkmcnt(0)
	s_barrier
	buffer_gl0_inv
	v_cmpx_gt_u32_e32 64, v0
	s_cbranch_execz .LBB94_48
; %bb.47:
	ds_load_2addr_stride64_b64 v[9:12], v3 offset1:1
	s_waitcnt lgkmcnt(0)
	v_add_f64 v[1:2], v[9:10], v[11:12]
	ds_store_b64 v3, v[1:2]
.LBB94_48:
	s_or_b32 exec_lo, exec_lo, s2
	s_delay_alu instid0(SALU_CYCLE_1)
	s_mov_b32 s2, exec_lo
	s_waitcnt lgkmcnt(0)
	s_barrier
	buffer_gl0_inv
	v_cmpx_gt_u32_e32 32, v0
	s_cbranch_execz .LBB94_50
; %bb.49:
	ds_load_2addr_b64 v[9:12], v3 offset1:32
	s_waitcnt lgkmcnt(0)
	v_add_f64 v[1:2], v[9:10], v[11:12]
	ds_store_b64 v3, v[1:2]
.LBB94_50:
	s_or_b32 exec_lo, exec_lo, s2
	s_delay_alu instid0(SALU_CYCLE_1)
	s_mov_b32 s2, exec_lo
	s_waitcnt lgkmcnt(0)
	s_barrier
	buffer_gl0_inv
	v_cmpx_gt_u32_e32 16, v0
	s_cbranch_execz .LBB94_52
; %bb.51:
	ds_load_2addr_b64 v[9:12], v3 offset1:16
	s_waitcnt lgkmcnt(0)
	v_add_f64 v[1:2], v[9:10], v[11:12]
	ds_store_b64 v3, v[1:2]
.LBB94_52:
	;; [unrolled: 14-line block ×5, first 2 shown]
	s_or_b32 exec_lo, exec_lo, s2
	v_cmp_eq_u32_e32 vcc_lo, 0, v0
	s_waitcnt lgkmcnt(0)
	s_barrier
	buffer_gl0_inv
	s_and_saveexec_b32 s2, vcc_lo
	s_cbranch_execz .LBB94_60
; %bb.59:
	v_mov_b32_e32 v9, 0
	ds_load_b128 v[1:4], v9
	s_waitcnt lgkmcnt(0)
	v_add_f64 v[1:2], v[1:2], v[3:4]
	ds_store_b64 v9, v[1:2]
.LBB94_60:
	s_or_b32 exec_lo, exec_lo, s2
	s_waitcnt lgkmcnt(0)
	s_barrier
	buffer_gl0_inv
	s_and_saveexec_b32 s10, vcc_lo
	s_cbranch_execz .LBB94_70
; %bb.61:
	s_cmp_eq_u32 s31, 0
	s_cbranch_scc1 .LBB94_67
; %bb.62:
	s_ashr_i32 s9, s8, 31
	v_mov_b32_e32 v1, 0
	s_lshl_b64 s[2:3], s[8:9], 2
	s_delay_alu instid0(SALU_CYCLE_1)
	s_add_u32 s2, s6, s2
	s_addc_u32 s3, s7, s3
	s_branch .LBB94_64
.LBB94_63:                              ;   in Loop: Header=BB94_64 Depth=1
	s_or_b32 exec_lo, exec_lo, s6
	s_waitcnt vmcnt(0)
	v_readfirstlane_b32 s6, v2
	s_delay_alu instid0(VALU_DEP_1)
	s_cmp_eq_u32 s6, s33
	s_cbranch_scc0 .LBB94_66
.LBB94_64:                              ; =>This Inner Loop Header: Depth=1
	v_mbcnt_lo_u32_b32 v2, exec_lo, 0
	s_delay_alu instid0(VALU_DEP_1)
	v_cmp_eq_u32_e32 vcc_lo, 0, v2
                                        ; implicit-def: $vgpr2
	s_and_saveexec_b32 s6, vcc_lo
	s_cbranch_execz .LBB94_63
; %bb.65:                               ;   in Loop: Header=BB94_64 Depth=1
	global_load_b32 v2, v1, s[2:3] glc
	s_branch .LBB94_63
.LBB94_66:
	v_mov_b32_e32 v1, 0
	global_load_b32 v2, v1, s[4:5]
	s_waitcnt vmcnt(0)
	v_xor_b32_e32 v2, 1, v2
	global_store_b32 v1, v2, s[4:5]
.LBB94_67:
	s_mov_b32 s4, exec_lo
	s_delay_alu instid0(SALU_CYCLE_1) | instskip(NEXT) | instid1(VALU_DEP_1)
	v_mbcnt_lo_u32_b32 v1, s4, 0
	v_cmp_eq_u32_e32 vcc_lo, 0, v1
	s_and_b32 s2, exec_lo, vcc_lo
	s_delay_alu instid0(SALU_CYCLE_1)
	s_mov_b32 exec_lo, s2
	s_cbranch_execz .LBB94_70
; %bb.68:
	v_mov_b32_e32 v11, 0
	s_add_u32 s2, s24, s34
	s_addc_u32 s3, s25, s35
	s_bcnt1_i32_b32 s4, s4
	s_delay_alu instid0(SALU_CYCLE_1)
	v_cvt_f64_u32_e32 v[1:2], s4
	global_load_b64 v[3:4], v11, s[2:3]
	ds_load_b64 v[9:10], v11
	s_mov_b32 s4, 0
	s_waitcnt lgkmcnt(0)
	v_mul_f64 v[9:10], v[9:10], v[1:2]
.LBB94_69:                              ; =>This Inner Loop Header: Depth=1
	s_waitcnt vmcnt(0)
	s_delay_alu instid0(VALU_DEP_1)
	v_add_f64 v[1:2], v[3:4], v[9:10]
	global_atomic_cmpswap_b64 v[1:2], v11, v[1:4], s[2:3] glc
	s_waitcnt vmcnt(0)
	v_cmp_eq_u64_e32 vcc_lo, v[1:2], v[3:4]
	v_dual_mov_b32 v4, v2 :: v_dual_mov_b32 v3, v1
	s_or_b32 s4, vcc_lo, s4
	s_delay_alu instid0(SALU_CYCLE_1)
	s_and_not1_b32 exec_lo, exec_lo, s4
	s_cbranch_execnz .LBB94_69
.LBB94_70:
	s_or_b32 exec_lo, exec_lo, s10
.LBB94_71:
	s_mov_b32 s3, 0
.LBB94_72:
	s_delay_alu instid0(SALU_CYCLE_1)
	s_and_not1_b32 vcc_lo, exec_lo, s3
	s_cbranch_vccnz .LBB94_116
; %bb.73:
	s_load_b64 s[0:1], s[0:1], 0x8
	v_sub_co_u32 v1, s2, v0, s30
	s_delay_alu instid0(VALU_DEP_1) | instskip(SKIP_1) | instid1(VALU_DEP_2)
	v_sub_co_ci_u32_e64 v2, null, 0, 0, s2
	s_waitcnt lgkmcnt(0)
	v_add_co_u32 v1, vcc_lo, s28, v1
	s_delay_alu instid0(VALU_DEP_2) | instskip(NEXT) | instid1(VALU_DEP_2)
	v_add_co_ci_u32_e32 v2, vcc_lo, s29, v2, vcc_lo
	v_add_co_u32 v3, vcc_lo, 0x300, v1
	s_delay_alu instid0(VALU_DEP_2) | instskip(NEXT) | instid1(VALU_DEP_1)
	v_add_co_ci_u32_e32 v4, vcc_lo, 0, v2, vcc_lo
	v_cmp_le_i64_e32 vcc_lo, s[0:1], v[3:4]
	s_and_saveexec_b32 s0, vcc_lo
	s_delay_alu instid0(SALU_CYCLE_1)
	s_xor_b32 s1, exec_lo, s0
	s_cbranch_execz .LBB94_78
; %bb.74:
	s_lshl_b64 s[2:3], s[22:23], 3
	s_mov_b32 s4, exec_lo
	s_add_u32 s2, s12, s2
	s_addc_u32 s3, s13, s3
	s_load_b64 s[2:3], s[2:3], 0x0
	s_waitcnt lgkmcnt(0)
	s_sub_u32 s2, s2, s30
	s_subb_u32 s3, s3, 0
	s_delay_alu instid0(SALU_CYCLE_1)
	v_cmpx_gt_i64_e64 s[2:3], v[1:2]
	s_cbranch_execz .LBB94_77
; %bb.75:
	v_lshlrev_b64 v[9:10], 2, v[1:2]
	v_lshlrev_b32_e32 v11, 3, v0
	s_mov_b32 s5, 0
	s_delay_alu instid0(VALU_DEP_2) | instskip(NEXT) | instid1(VALU_DEP_3)
	v_add_co_u32 v3, vcc_lo, s16, v9
	v_add_co_ci_u32_e32 v4, vcc_lo, s17, v10, vcc_lo
	v_add_co_u32 v9, vcc_lo, s14, v9
	v_add_co_ci_u32_e32 v10, vcc_lo, s15, v10, vcc_lo
	s_set_inst_prefetch_distance 0x1
	.p2align	6
.LBB94_76:                              ; =>This Inner Loop Header: Depth=1
	global_load_b32 v12, v[9:10], off
	global_load_b32 v14, v[3:4], off
	s_waitcnt vmcnt(1)
	v_subrev_nc_u32_e32 v12, s30, v12
	s_waitcnt vmcnt(0)
	v_cvt_f64_f32_e32 v[14:15], v14
	s_delay_alu instid0(VALU_DEP_2) | instskip(NEXT) | instid1(VALU_DEP_1)
	v_ashrrev_i32_e32 v13, 31, v12
	v_lshlrev_b64 v[12:13], 3, v[12:13]
	s_delay_alu instid0(VALU_DEP_1) | instskip(NEXT) | instid1(VALU_DEP_2)
	v_add_co_u32 v12, vcc_lo, s18, v12
	v_add_co_ci_u32_e32 v13, vcc_lo, s19, v13, vcc_lo
	v_add_co_u32 v1, vcc_lo, 0x100, v1
	v_add_co_ci_u32_e32 v2, vcc_lo, 0, v2, vcc_lo
	global_load_b64 v[12:13], v[12:13], off
	v_add_co_u32 v3, vcc_lo, 0x400, v3
	v_add_co_ci_u32_e32 v4, vcc_lo, 0, v4, vcc_lo
	v_cmp_le_i64_e64 s0, s[2:3], v[1:2]
	v_add_co_u32 v9, vcc_lo, 0x400, v9
	v_add_co_ci_u32_e32 v10, vcc_lo, 0, v10, vcc_lo
	s_delay_alu instid0(VALU_DEP_3) | instskip(SKIP_2) | instid1(VALU_DEP_1)
	s_or_b32 s5, s0, s5
	v_mul_f64 v[14:15], v[7:8], v[14:15]
	s_waitcnt vmcnt(0)
	v_mul_f64 v[12:13], v[14:15], v[12:13]
	ds_store_b64 v11, v[12:13]
	v_add_nc_u32_e32 v11, 0x800, v11
	s_and_not1_b32 exec_lo, exec_lo, s5
	s_cbranch_execnz .LBB94_76
.LBB94_77:
	s_set_inst_prefetch_distance 0x2
	s_or_b32 exec_lo, exec_lo, s4
                                        ; implicit-def: $vgpr1_vgpr2
                                        ; implicit-def: $vgpr7_vgpr8
.LBB94_78:
	s_or_saveexec_b32 s0, s1
	v_lshlrev_b32_e32 v11, 3, v0
	s_xor_b32 exec_lo, exec_lo, s0
	s_cbranch_execz .LBB94_80
; %bb.79:
	v_lshlrev_b64 v[1:2], 2, v[1:2]
	s_delay_alu instid0(VALU_DEP_1) | instskip(NEXT) | instid1(VALU_DEP_2)
	v_add_co_u32 v3, vcc_lo, s14, v1
	v_add_co_ci_u32_e32 v4, vcc_lo, s15, v2, vcc_lo
	v_add_co_u32 v1, vcc_lo, s16, v1
	v_add_co_ci_u32_e32 v2, vcc_lo, s17, v2, vcc_lo
	s_clause 0x3
	global_load_b32 v9, v[3:4], off
	global_load_b32 v10, v[3:4], off offset:1024
	global_load_b32 v12, v[3:4], off offset:2048
	;; [unrolled: 1-line block ×3, first 2 shown]
	s_clause 0x3
	global_load_b32 v14, v[1:2], off
	global_load_b32 v16, v[1:2], off offset:1024
	global_load_b32 v18, v[1:2], off offset:2048
	;; [unrolled: 1-line block ×3, first 2 shown]
	s_waitcnt vmcnt(7)
	v_subrev_nc_u32_e32 v1, s30, v9
	s_waitcnt vmcnt(6)
	v_subrev_nc_u32_e32 v3, s30, v10
	;; [unrolled: 2-line block ×4, first 2 shown]
	s_waitcnt vmcnt(3)
	v_cvt_f64_f32_e32 v[14:15], v14
	v_ashrrev_i32_e32 v2, 31, v1
	v_ashrrev_i32_e32 v4, 31, v3
	v_ashrrev_i32_e32 v10, 31, v9
	v_ashrrev_i32_e32 v13, 31, v12
	s_waitcnt vmcnt(2)
	v_cvt_f64_f32_e32 v[16:17], v16
	v_lshlrev_b64 v[1:2], 3, v[1:2]
	v_lshlrev_b64 v[3:4], 3, v[3:4]
	;; [unrolled: 1-line block ×4, first 2 shown]
	s_waitcnt vmcnt(1)
	v_cvt_f64_f32_e32 v[18:19], v18
	s_waitcnt vmcnt(0)
	v_cvt_f64_f32_e32 v[20:21], v20
	v_add_co_u32 v1, vcc_lo, s18, v1
	v_add_co_ci_u32_e32 v2, vcc_lo, s19, v2, vcc_lo
	v_add_co_u32 v3, vcc_lo, s18, v3
	v_add_co_ci_u32_e32 v4, vcc_lo, s19, v4, vcc_lo
	;; [unrolled: 2-line block ×4, first 2 shown]
	s_clause 0x3
	global_load_b64 v[1:2], v[1:2], off
	global_load_b64 v[3:4], v[3:4], off
	;; [unrolled: 1-line block ×4, first 2 shown]
	v_mul_f64 v[14:15], v[7:8], v[14:15]
	v_mul_f64 v[16:17], v[7:8], v[16:17]
	;; [unrolled: 1-line block ×4, first 2 shown]
	s_waitcnt vmcnt(3)
	s_delay_alu instid0(VALU_DEP_4) | instskip(SKIP_1) | instid1(VALU_DEP_4)
	v_mul_f64 v[1:2], v[14:15], v[1:2]
	s_waitcnt vmcnt(2)
	v_mul_f64 v[3:4], v[16:17], v[3:4]
	s_waitcnt vmcnt(1)
	s_delay_alu instid0(VALU_DEP_4) | instskip(SKIP_1) | instid1(VALU_DEP_4)
	v_mul_f64 v[9:10], v[18:19], v[9:10]
	s_waitcnt vmcnt(0)
	v_mul_f64 v[7:8], v[7:8], v[12:13]
	ds_store_2addr_stride64_b64 v11, v[1:2], v[3:4] offset1:4
	ds_store_2addr_stride64_b64 v11, v[9:10], v[7:8] offset0:8 offset1:12
.LBB94_80:
	s_or_b32 exec_lo, exec_lo, s0
	s_cmp_lt_i32 s31, 2
	s_mov_b32 s0, -1
	s_waitcnt lgkmcnt(0)
	s_waitcnt_vscnt null, 0x0
	s_barrier
	buffer_gl0_inv
	s_cbranch_scc0 .LBB94_91
; %bb.81:
	v_add_co_u32 v7, s0, s20, v0
	s_delay_alu instid0(VALU_DEP_1) | instskip(SKIP_1) | instid1(VALU_DEP_1)
	v_add_co_ci_u32_e64 v8, null, s21, 0, s0
	s_mov_b32 s2, exec_lo
	v_cmpx_gt_i64_e64 s[22:23], v[7:8]
	s_cbranch_execz .LBB94_90
; %bb.82:
	v_cmp_neq_f64_e32 vcc_lo, 0, v[5:6]
	s_lshl_b32 s0, s28, 3
	s_mov_b32 s3, 0
	s_sub_i32 s4, 0, s0
	s_branch .LBB94_84
.LBB94_83:                              ;   in Loop: Header=BB94_84 Depth=1
	s_or_b32 exec_lo, exec_lo, s1
	v_add_co_u32 v7, s0, 0x100, v7
	s_delay_alu instid0(VALU_DEP_1) | instskip(SKIP_1) | instid1(VALU_DEP_1)
	v_add_co_ci_u32_e64 v8, s0, 0, v8, s0
	v_add_co_u32 v9, s1, s24, v9
	v_add_co_ci_u32_e64 v10, s1, s25, v10, s1
	s_delay_alu instid0(VALU_DEP_3) | instskip(SKIP_2) | instid1(SALU_CYCLE_1)
	v_cmp_le_i64_e64 s0, s[22:23], v[7:8]
	global_store_b64 v[9:10], v[2:3], off
	s_or_b32 s3, s0, s3
	s_and_not1_b32 exec_lo, exec_lo, s3
	s_cbranch_execz .LBB94_90
.LBB94_84:                              ; =>This Loop Header: Depth=1
                                        ;     Child Loop BB94_86 Depth 2
	v_lshlrev_b64 v[9:10], 3, v[7:8]
	s_mov_b32 s1, exec_lo
	s_delay_alu instid0(VALU_DEP_1) | instskip(NEXT) | instid1(VALU_DEP_1)
	v_add_co_u32 v1, s0, s12, v9
	v_add_co_ci_u32_e64 v2, s0, s13, v10, s0
	global_load_b128 v[1:4], v[1:2], off
	s_waitcnt vmcnt(0)
	v_subrev_nc_u32_e32 v12, s28, v3
	v_mov_b32_e32 v2, 0
	v_subrev_nc_u32_e32 v4, s28, v1
	v_mov_b32_e32 v3, 0
	s_delay_alu instid0(VALU_DEP_2)
	v_cmpx_lt_i32_e64 v4, v12
	s_cbranch_execz .LBB94_88
; %bb.85:                               ;   in Loop: Header=BB94_84 Depth=1
	v_mov_b32_e32 v2, 0
	v_mov_b32_e32 v3, 0
	v_lshl_add_u32 v1, v1, 3, s4
	s_mov_b32 s5, 0
.LBB94_86:                              ;   Parent Loop BB94_84 Depth=1
                                        ; =>  This Inner Loop Header: Depth=2
	ds_load_b64 v[13:14], v1
	v_add_nc_u32_e32 v4, 1, v4
	v_add_nc_u32_e32 v1, 8, v1
	s_delay_alu instid0(VALU_DEP_2) | instskip(NEXT) | instid1(VALU_DEP_1)
	v_cmp_ge_i32_e64 s0, v4, v12
	s_or_b32 s5, s0, s5
	s_waitcnt lgkmcnt(0)
	v_add_f64 v[2:3], v[2:3], v[13:14]
	s_and_not1_b32 exec_lo, exec_lo, s5
	s_cbranch_execnz .LBB94_86
; %bb.87:                               ;   in Loop: Header=BB94_84 Depth=1
	s_or_b32 exec_lo, exec_lo, s5
.LBB94_88:                              ;   in Loop: Header=BB94_84 Depth=1
	s_delay_alu instid0(SALU_CYCLE_1)
	s_or_b32 exec_lo, exec_lo, s1
	s_and_saveexec_b32 s1, vcc_lo
	s_cbranch_execz .LBB94_83
; %bb.89:                               ;   in Loop: Header=BB94_84 Depth=1
	v_add_co_u32 v12, s0, s24, v9
	s_delay_alu instid0(VALU_DEP_1)
	v_add_co_ci_u32_e64 v13, s0, s25, v10, s0
	global_load_b64 v[12:13], v[12:13], off
	s_waitcnt vmcnt(0)
	v_fma_f64 v[2:3], v[5:6], v[12:13], v[2:3]
	s_branch .LBB94_83
.LBB94_90:
	s_or_b32 exec_lo, exec_lo, s2
	s_mov_b32 s0, 0
.LBB94_91:
	s_delay_alu instid0(SALU_CYCLE_1)
	s_and_not1_b32 vcc_lo, exec_lo, s0
	s_cbranch_vccnz .LBB94_116
; %bb.92:
	s_clz_i32_u32 s0, s31
	s_add_i32 s1, s31, -1
	s_xor_b32 s0, s0, 31
	v_mov_b32_e32 v3, 0
	v_lshrrev_b32_e32 v7, s0, v0
	v_and_b32_e32 v0, s1, v0
	v_mov_b32_e32 v4, 0
	s_mov_b32 s1, exec_lo
	s_delay_alu instid0(VALU_DEP_3) | instskip(NEXT) | instid1(VALU_DEP_1)
	v_add_co_u32 v1, s0, s20, v7
	v_add_co_ci_u32_e64 v2, null, s21, 0, s0
	s_delay_alu instid0(VALU_DEP_1)
	v_cmp_le_i64_e32 vcc_lo, s[22:23], v[1:2]
	v_cmpx_gt_i64_e64 s[22:23], v[1:2]
	s_cbranch_execz .LBB94_98
; %bb.93:
	v_lshlrev_b32_e32 v3, 3, v7
	s_mov_b32 s2, exec_lo
	s_clause 0x1
	global_load_b32 v4, v3, s[26:27]
	global_load_b32 v3, v3, s[26:27] offset:8
	s_waitcnt vmcnt(1)
	v_subrev_nc_u32_e32 v4, s28, v4
	s_waitcnt vmcnt(0)
	v_subrev_nc_u32_e32 v7, s28, v3
	s_delay_alu instid0(VALU_DEP_2) | instskip(SKIP_1) | instid1(VALU_DEP_2)
	v_dual_mov_b32 v3, 0 :: v_dual_add_nc_u32 v8, v0, v4
	v_mov_b32_e32 v4, 0
	v_cmpx_lt_i32_e64 v8, v7
	s_cbranch_execz .LBB94_97
; %bb.94:
	v_mov_b32_e32 v3, 0
	v_dual_mov_b32 v4, 0 :: v_dual_lshlrev_b32 v9, 3, v8
	s_lshl_b32 s4, s31, 3
	s_mov_b32 s3, 0
.LBB94_95:                              ; =>This Inner Loop Header: Depth=1
	ds_load_b64 v[12:13], v9
	v_add_nc_u32_e32 v8, s31, v8
	v_add_nc_u32_e32 v9, s4, v9
	s_delay_alu instid0(VALU_DEP_2) | instskip(NEXT) | instid1(VALU_DEP_1)
	v_cmp_ge_i32_e64 s0, v8, v7
	s_or_b32 s3, s0, s3
	s_waitcnt lgkmcnt(0)
	v_add_f64 v[3:4], v[3:4], v[12:13]
	s_and_not1_b32 exec_lo, exec_lo, s3
	s_cbranch_execnz .LBB94_95
; %bb.96:
	s_or_b32 exec_lo, exec_lo, s3
.LBB94_97:
	s_delay_alu instid0(SALU_CYCLE_1)
	s_or_b32 exec_lo, exec_lo, s2
.LBB94_98:
	s_delay_alu instid0(SALU_CYCLE_1)
	s_or_b32 exec_lo, exec_lo, s1
	s_cmpk_lt_i32 s31, 0x81
	s_waitcnt_vscnt null, 0x0
	s_barrier
	buffer_gl0_inv
	ds_store_b64 v11, v[3:4]
	s_waitcnt lgkmcnt(0)
	s_barrier
	buffer_gl0_inv
	s_cbranch_scc1 .LBB94_100
; %bb.99:
	ds_load_b64 v[7:8], v11 offset:1024
	s_waitcnt lgkmcnt(0)
	s_barrier
	buffer_gl0_inv
	v_add_f64 v[3:4], v[3:4], v[7:8]
	ds_store_b64 v11, v[3:4]
.LBB94_100:
	s_cmpk_lt_i32 s31, 0x41
	s_waitcnt lgkmcnt(0)
	s_barrier
	buffer_gl0_inv
	s_cbranch_scc1 .LBB94_102
; %bb.101:
	ds_load_b64 v[7:8], v11 offset:512
	s_waitcnt lgkmcnt(0)
	s_barrier
	buffer_gl0_inv
	v_add_f64 v[3:4], v[3:4], v[7:8]
	ds_store_b64 v11, v[3:4]
.LBB94_102:
	s_cmp_lt_i32 s31, 33
	s_waitcnt lgkmcnt(0)
	s_barrier
	buffer_gl0_inv
	s_cbranch_scc1 .LBB94_104
; %bb.103:
	ds_load_b64 v[7:8], v11 offset:256
	s_waitcnt lgkmcnt(0)
	s_barrier
	buffer_gl0_inv
	v_add_f64 v[3:4], v[3:4], v[7:8]
	ds_store_b64 v11, v[3:4]
.LBB94_104:
	s_cmp_lt_i32 s31, 17
	;; [unrolled: 13-line block ×4, first 2 shown]
	s_waitcnt lgkmcnt(0)
	s_barrier
	buffer_gl0_inv
	s_cbranch_scc1 .LBB94_110
; %bb.109:
	ds_load_b64 v[7:8], v11 offset:32
	s_waitcnt lgkmcnt(0)
	s_barrier
	buffer_gl0_inv
	v_add_f64 v[3:4], v[3:4], v[7:8]
	ds_store_b64 v11, v[3:4]
.LBB94_110:
	s_cmp_eq_u32 s31, 2
	s_waitcnt lgkmcnt(0)
	s_barrier
	buffer_gl0_inv
	s_cbranch_scc1 .LBB94_112
; %bb.111:
	ds_load_b64 v[7:8], v11 offset:16
	s_waitcnt lgkmcnt(0)
	s_barrier
	buffer_gl0_inv
	v_add_f64 v[3:4], v[3:4], v[7:8]
	ds_store_b64 v11, v[3:4]
.LBB94_112:
	s_waitcnt lgkmcnt(0)
	s_barrier
	buffer_gl0_inv
	ds_load_b64 v[7:8], v11 offset:8
	v_cmp_eq_u32_e64 s0, 0, v0
	s_xor_b32 s1, vcc_lo, -1
	s_waitcnt lgkmcnt(0)
	s_barrier
	buffer_gl0_inv
	s_and_b32 s0, s0, s1
	v_add_f64 v[3:4], v[3:4], v[7:8]
	ds_store_b64 v11, v[3:4]
	s_and_b32 exec_lo, exec_lo, s0
	s_cbranch_execz .LBB94_116
; %bb.113:
	v_lshlrev_b64 v[0:1], 3, v[1:2]
	s_mov_b32 s0, exec_lo
	v_cmpx_neq_f64_e32 0, v[5:6]
	s_cbranch_execz .LBB94_115
; %bb.114:
	s_delay_alu instid0(VALU_DEP_2) | instskip(NEXT) | instid1(VALU_DEP_3)
	v_add_co_u32 v7, vcc_lo, s24, v0
	v_add_co_ci_u32_e32 v8, vcc_lo, s25, v1, vcc_lo
	global_load_b64 v[7:8], v[7:8], off
	s_waitcnt vmcnt(0)
	v_fma_f64 v[3:4], v[5:6], v[7:8], v[3:4]
.LBB94_115:
	s_or_b32 exec_lo, exec_lo, s0
	s_delay_alu instid0(VALU_DEP_2)
	v_add_co_u32 v0, vcc_lo, s24, v0
	v_add_co_ci_u32_e32 v1, vcc_lo, s25, v1, vcc_lo
	global_store_b64 v[0:1], v[3:4], off
.LBB94_116:
	s_nop 0
	s_sendmsg sendmsg(MSG_DEALLOC_VGPRS)
	s_endpgm
	.section	.rodata,"a",@progbits
	.p2align	6, 0x0
	.amdhsa_kernel _ZN9rocsparseL22csrmvn_adaptive_kernelIlifdddEEvbT_PKS1_PjPKT0_NS_24const_host_device_scalarIT4_EES3_S7_PKT1_PKT2_SA_PT3_21rocsparse_index_base_b
		.amdhsa_group_segment_fixed_size 8192
		.amdhsa_private_segment_fixed_size 0
		.amdhsa_kernarg_size 104
		.amdhsa_user_sgpr_count 15
		.amdhsa_user_sgpr_dispatch_ptr 0
		.amdhsa_user_sgpr_queue_ptr 0
		.amdhsa_user_sgpr_kernarg_segment_ptr 1
		.amdhsa_user_sgpr_dispatch_id 0
		.amdhsa_user_sgpr_private_segment_size 0
		.amdhsa_wavefront_size32 1
		.amdhsa_uses_dynamic_stack 0
		.amdhsa_enable_private_segment 0
		.amdhsa_system_sgpr_workgroup_id_x 1
		.amdhsa_system_sgpr_workgroup_id_y 0
		.amdhsa_system_sgpr_workgroup_id_z 0
		.amdhsa_system_sgpr_workgroup_info 0
		.amdhsa_system_vgpr_workitem_id 0
		.amdhsa_next_free_vgpr 22
		.amdhsa_next_free_sgpr 50
		.amdhsa_reserve_vcc 1
		.amdhsa_float_round_mode_32 0
		.amdhsa_float_round_mode_16_64 0
		.amdhsa_float_denorm_mode_32 3
		.amdhsa_float_denorm_mode_16_64 3
		.amdhsa_dx10_clamp 1
		.amdhsa_ieee_mode 1
		.amdhsa_fp16_overflow 0
		.amdhsa_workgroup_processor_mode 1
		.amdhsa_memory_ordered 1
		.amdhsa_forward_progress 0
		.amdhsa_shared_vgpr_count 0
		.amdhsa_exception_fp_ieee_invalid_op 0
		.amdhsa_exception_fp_denorm_src 0
		.amdhsa_exception_fp_ieee_div_zero 0
		.amdhsa_exception_fp_ieee_overflow 0
		.amdhsa_exception_fp_ieee_underflow 0
		.amdhsa_exception_fp_ieee_inexact 0
		.amdhsa_exception_int_div_zero 0
	.end_amdhsa_kernel
	.section	.text._ZN9rocsparseL22csrmvn_adaptive_kernelIlifdddEEvbT_PKS1_PjPKT0_NS_24const_host_device_scalarIT4_EES3_S7_PKT1_PKT2_SA_PT3_21rocsparse_index_base_b,"axG",@progbits,_ZN9rocsparseL22csrmvn_adaptive_kernelIlifdddEEvbT_PKS1_PjPKT0_NS_24const_host_device_scalarIT4_EES3_S7_PKT1_PKT2_SA_PT3_21rocsparse_index_base_b,comdat
.Lfunc_end94:
	.size	_ZN9rocsparseL22csrmvn_adaptive_kernelIlifdddEEvbT_PKS1_PjPKT0_NS_24const_host_device_scalarIT4_EES3_S7_PKT1_PKT2_SA_PT3_21rocsparse_index_base_b, .Lfunc_end94-_ZN9rocsparseL22csrmvn_adaptive_kernelIlifdddEEvbT_PKS1_PjPKT0_NS_24const_host_device_scalarIT4_EES3_S7_PKT1_PKT2_SA_PT3_21rocsparse_index_base_b
                                        ; -- End function
	.section	.AMDGPU.csdata,"",@progbits
; Kernel info:
; codeLenInByte = 4844
; NumSgprs: 52
; NumVgprs: 22
; ScratchSize: 0
; MemoryBound: 0
; FloatMode: 240
; IeeeMode: 1
; LDSByteSize: 8192 bytes/workgroup (compile time only)
; SGPRBlocks: 6
; VGPRBlocks: 2
; NumSGPRsForWavesPerEU: 52
; NumVGPRsForWavesPerEU: 22
; Occupancy: 16
; WaveLimiterHint : 1
; COMPUTE_PGM_RSRC2:SCRATCH_EN: 0
; COMPUTE_PGM_RSRC2:USER_SGPR: 15
; COMPUTE_PGM_RSRC2:TRAP_HANDLER: 0
; COMPUTE_PGM_RSRC2:TGID_X_EN: 1
; COMPUTE_PGM_RSRC2:TGID_Y_EN: 0
; COMPUTE_PGM_RSRC2:TGID_Z_EN: 0
; COMPUTE_PGM_RSRC2:TIDIG_COMP_CNT: 0
	.section	.text._ZN9rocsparseL27csrmvn_symm_adaptive_kernelIlifdddEEvbT_S1_PKS1_NS_24const_host_device_scalarIT4_EES3_PKT0_PKT1_PKT2_S6_PT3_21rocsparse_index_base_b,"axG",@progbits,_ZN9rocsparseL27csrmvn_symm_adaptive_kernelIlifdddEEvbT_S1_PKS1_NS_24const_host_device_scalarIT4_EES3_PKT0_PKT1_PKT2_S6_PT3_21rocsparse_index_base_b,comdat
	.globl	_ZN9rocsparseL27csrmvn_symm_adaptive_kernelIlifdddEEvbT_S1_PKS1_NS_24const_host_device_scalarIT4_EES3_PKT0_PKT1_PKT2_S6_PT3_21rocsparse_index_base_b ; -- Begin function _ZN9rocsparseL27csrmvn_symm_adaptive_kernelIlifdddEEvbT_S1_PKS1_NS_24const_host_device_scalarIT4_EES3_PKT0_PKT1_PKT2_S6_PT3_21rocsparse_index_base_b
	.p2align	8
	.type	_ZN9rocsparseL27csrmvn_symm_adaptive_kernelIlifdddEEvbT_S1_PKS1_NS_24const_host_device_scalarIT4_EES3_PKT0_PKT1_PKT2_S6_PT3_21rocsparse_index_base_b,@function
_ZN9rocsparseL27csrmvn_symm_adaptive_kernelIlifdddEEvbT_S1_PKS1_NS_24const_host_device_scalarIT4_EES3_PKT0_PKT1_PKT2_S6_PT3_21rocsparse_index_base_b: ; @_ZN9rocsparseL27csrmvn_symm_adaptive_kernelIlifdddEEvbT_S1_PKS1_NS_24const_host_device_scalarIT4_EES3_PKT0_PKT1_PKT2_S6_PT3_21rocsparse_index_base_b
; %bb.0:
	s_clause 0x2
	s_load_b64 s[24:25], s[0:1], 0x58
	s_load_b64 s[6:7], s[0:1], 0x20
	;; [unrolled: 1-line block ×3, first 2 shown]
	s_mov_b32 s4, s15
	s_waitcnt lgkmcnt(0)
	s_bitcmp1_b32 s25, 0
	v_dual_mov_b32 v11, s7 :: v_dual_mov_b32 v10, s6
	s_cselect_b32 s5, -1, 0
	s_delay_alu instid0(SALU_CYCLE_1)
	s_and_b32 vcc_lo, exec_lo, s5
	s_xor_b32 s5, s5, -1
	s_cbranch_vccnz .LBB95_2
; %bb.1:
	v_dual_mov_b32 v1, s6 :: v_dual_mov_b32 v2, s7
	flat_load_b64 v[10:11], v[1:2]
.LBB95_2:
	v_dual_mov_b32 v1, s2 :: v_dual_mov_b32 v2, s3
	s_and_not1_b32 vcc_lo, exec_lo, s5
	s_cbranch_vccnz .LBB95_4
; %bb.3:
	v_dual_mov_b32 v1, s2 :: v_dual_mov_b32 v2, s3
	flat_load_b64 v[1:2], v[1:2]
.LBB95_4:
	s_waitcnt vmcnt(0) lgkmcnt(0)
	v_cmp_neq_f64_e32 vcc_lo, 0, v[10:11]
	v_cmp_neq_f64_e64 s2, 1.0, v[1:2]
	s_delay_alu instid0(VALU_DEP_1) | instskip(NEXT) | instid1(SALU_CYCLE_1)
	s_or_b32 s2, vcc_lo, s2
	s_and_saveexec_b32 s3, s2
	s_cbranch_execz .LBB95_180
; %bb.5:
	s_load_b64 s[2:3], s[0:1], 0x18
	s_mov_b32 s6, 0
	s_ashr_i32 s5, s4, 31
	s_mov_b32 s7, s6
	v_dual_mov_b32 v1, s6 :: v_dual_lshlrev_b32 v18, 3, v0
	v_mov_b32_e32 v2, s7
	s_lshl_b64 s[4:5], s[4:5], 3
	ds_store_2addr_stride64_b64 v18, v[1:2], v[1:2] offset1:4
	ds_store_2addr_stride64_b64 v18, v[1:2], v[1:2] offset0:8 offset1:12
	s_waitcnt lgkmcnt(0)
	s_barrier
	buffer_gl0_inv
	s_add_u32 s2, s2, s4
	s_addc_u32 s3, s3, s5
	s_load_b128 s[16:19], s[2:3], 0x0
	s_clause 0x1
	s_load_b256 s[8:15], s[0:1], 0x28
	s_load_b64 s[20:21], s[0:1], 0x50
	s_waitcnt lgkmcnt(0)
	s_sub_u32 s22, s18, s16
	s_subb_u32 s23, s19, s17
	s_delay_alu instid0(SALU_CYCLE_1) | instskip(NEXT) | instid1(VALU_DEP_1)
	v_cmp_gt_i64_e64 s2, s[22:23], 2
	s_and_b32 vcc_lo, exec_lo, s2
	s_mov_b32 s2, -1
	s_cbranch_vccnz .LBB95_43
; %bb.6:
	v_cmp_gt_i64_e64 s2, s[18:19], s[16:17]
	v_sub_co_u32 v9, s3, v0, s24
	s_delay_alu instid0(VALU_DEP_1) | instskip(NEXT) | instid1(VALU_DEP_3)
	v_sub_co_ci_u32_e64 v12, null, 0, 0, s3
	s_and_b32 vcc_lo, exec_lo, s2
	s_cbranch_vccnz .LBB95_8
; %bb.7:
	s_lshl_b64 s[2:3], s[16:17], 3
	s_delay_alu instid0(SALU_CYCLE_1)
	s_add_u32 s2, s8, s2
	s_addc_u32 s3, s9, s3
	s_load_b64 s[26:27], s[2:3], 0x0
	s_cbranch_execz .LBB95_9
	s_branch .LBB95_32
.LBB95_8:
                                        ; implicit-def: $sgpr26_sgpr27
.LBB95_9:
	s_lshl_b64 s[2:3], s[16:17], 3
	v_cmp_gt_u32_e64 s4, 16, v0
	s_add_u32 s2, s8, s2
	s_addc_u32 s3, s9, s3
	v_cmp_gt_u32_e64 s5, 4, v0
	s_waitcnt lgkmcnt(0)
	s_load_b64 s[26:27], s[2:3], 0x0
	v_cmp_gt_u32_e64 s2, 0x100, v0
	v_cmp_gt_u32_e64 s3, 64, v0
	v_cmp_eq_u32_e64 s6, 0, v0
	v_mov_b32_e32 v13, 0
	s_add_u32 s25, s8, 8
	s_addc_u32 s33, s9, 0
	s_mov_b64 s[28:29], s[16:17]
	s_waitcnt lgkmcnt(0)
	s_mov_b64 s[30:31], s[26:27]
	s_branch .LBB95_11
.LBB95_10:                              ;   in Loop: Header=BB95_11 Depth=1
	s_or_b32 exec_lo, exec_lo, s7
	s_add_u32 s28, s28, 1
	s_addc_u32 s29, s29, 0
	s_delay_alu instid0(SALU_CYCLE_1) | instskip(NEXT) | instid1(VALU_DEP_1)
	v_cmp_ge_i64_e64 s7, s[28:29], s[18:19]
	s_and_b32 vcc_lo, exec_lo, s7
	s_cbranch_vccnz .LBB95_32
.LBB95_11:                              ; =>This Loop Header: Depth=1
                                        ;     Child Loop BB95_13 Depth 2
                                        ;     Child Loop BB95_27 Depth 2
	;; [unrolled: 1-line block ×3, first 2 shown]
	s_lshl_b64 s[34:35], s[28:29], 3
	s_mov_b64 s[38:39], s[30:31]
	s_add_u32 s36, s25, s34
	s_addc_u32 s37, s33, s35
	v_add_co_u32 v1, vcc_lo, s38, v9
	s_load_b64 s[30:31], s[36:37], 0x0
	v_mov_b32_e32 v3, 0
	v_add_co_ci_u32_e32 v2, vcc_lo, s39, v12, vcc_lo
	v_mov_b32_e32 v4, 0
	s_mov_b32 s38, exec_lo
	s_waitcnt lgkmcnt(0)
	s_sub_u32 s36, s30, s24
	s_subb_u32 s37, s31, 0
	s_delay_alu instid0(SALU_CYCLE_1)
	v_cmpx_gt_i64_e64 s[36:37], v[1:2]
	s_cbranch_execz .LBB95_15
; %bb.12:                               ;   in Loop: Header=BB95_11 Depth=1
	v_lshlrev_b64 v[7:8], 2, v[1:2]
	v_mov_b32_e32 v3, 0
	v_mov_b32_e32 v4, 0
	s_mov_b32 s39, 0
	s_delay_alu instid0(VALU_DEP_3) | instskip(NEXT) | instid1(VALU_DEP_4)
	v_add_co_u32 v5, vcc_lo, s10, v7
	v_add_co_ci_u32_e32 v6, vcc_lo, s11, v8, vcc_lo
	v_add_co_u32 v7, vcc_lo, s12, v7
	v_add_co_ci_u32_e32 v8, vcc_lo, s13, v8, vcc_lo
	s_set_inst_prefetch_distance 0x1
	.p2align	6
.LBB95_13:                              ;   Parent Loop BB95_11 Depth=1
                                        ; =>  This Inner Loop Header: Depth=2
	global_load_b32 v14, v[5:6], off
	global_load_b32 v16, v[7:8], off
	v_add_co_u32 v7, s7, 0x400, v7
	s_delay_alu instid0(VALU_DEP_1) | instskip(SKIP_4) | instid1(VALU_DEP_2)
	v_add_co_ci_u32_e64 v8, s7, 0, v8, s7
	s_waitcnt vmcnt(1)
	v_subrev_nc_u32_e32 v14, s24, v14
	s_waitcnt vmcnt(0)
	v_cvt_f64_f32_e32 v[16:17], v16
	v_ashrrev_i32_e32 v15, 31, v14
	s_delay_alu instid0(VALU_DEP_1) | instskip(NEXT) | instid1(VALU_DEP_1)
	v_lshlrev_b64 v[14:15], 3, v[14:15]
	v_add_co_u32 v14, vcc_lo, s14, v14
	s_delay_alu instid0(VALU_DEP_2)
	v_add_co_ci_u32_e32 v15, vcc_lo, s15, v15, vcc_lo
	v_add_co_u32 v1, vcc_lo, 0x100, v1
	v_add_co_ci_u32_e32 v2, vcc_lo, 0, v2, vcc_lo
	global_load_b64 v[14:15], v[14:15], off
	v_add_co_u32 v5, vcc_lo, 0x400, v5
	v_add_co_ci_u32_e32 v6, vcc_lo, 0, v6, vcc_lo
	v_cmp_le_i64_e32 vcc_lo, s[36:37], v[1:2]
	s_or_b32 s39, vcc_lo, s39
	s_waitcnt vmcnt(0)
	v_fma_f64 v[3:4], v[16:17], v[14:15], v[3:4]
	s_and_not1_b32 exec_lo, exec_lo, s39
	s_cbranch_execnz .LBB95_13
; %bb.14:                               ;   in Loop: Header=BB95_11 Depth=1
	s_set_inst_prefetch_distance 0x2
	s_or_b32 exec_lo, exec_lo, s39
.LBB95_15:                              ;   in Loop: Header=BB95_11 Depth=1
	s_delay_alu instid0(SALU_CYCLE_1)
	s_or_b32 exec_lo, exec_lo, s38
	ds_store_b64 v18, v[3:4]
	s_waitcnt lgkmcnt(0)
	s_barrier
	buffer_gl0_inv
	s_and_saveexec_b32 s7, s2
	s_cbranch_execz .LBB95_17
; %bb.16:                               ;   in Loop: Header=BB95_11 Depth=1
	ds_load_2addr_stride64_b64 v[1:4], v18 offset1:4
	ds_load_2addr_stride64_b64 v[5:8], v18 offset0:8 offset1:12
	s_waitcnt lgkmcnt(0)
	v_add_f64 v[3:4], v[3:4], v[5:6]
	s_delay_alu instid0(VALU_DEP_1) | instskip(NEXT) | instid1(VALU_DEP_1)
	v_add_f64 v[3:4], v[3:4], v[7:8]
	v_add_f64 v[1:2], v[1:2], v[3:4]
	ds_store_b64 v18, v[1:2]
.LBB95_17:                              ;   in Loop: Header=BB95_11 Depth=1
	s_or_b32 exec_lo, exec_lo, s7
	s_waitcnt lgkmcnt(0)
	s_barrier
	buffer_gl0_inv
	s_and_saveexec_b32 s7, s3
	s_cbranch_execz .LBB95_19
; %bb.18:                               ;   in Loop: Header=BB95_11 Depth=1
	ds_load_2addr_stride64_b64 v[1:4], v18 offset1:1
	ds_load_2addr_stride64_b64 v[5:8], v18 offset0:2 offset1:3
	s_waitcnt lgkmcnt(0)
	v_add_f64 v[3:4], v[3:4], v[5:6]
	s_delay_alu instid0(VALU_DEP_1) | instskip(NEXT) | instid1(VALU_DEP_1)
	v_add_f64 v[3:4], v[3:4], v[7:8]
	v_add_f64 v[1:2], v[1:2], v[3:4]
	ds_store_b64 v18, v[1:2]
.LBB95_19:                              ;   in Loop: Header=BB95_11 Depth=1
	s_or_b32 exec_lo, exec_lo, s7
	s_waitcnt lgkmcnt(0)
	s_barrier
	buffer_gl0_inv
	s_and_saveexec_b32 s7, s4
	s_cbranch_execz .LBB95_21
; %bb.20:                               ;   in Loop: Header=BB95_11 Depth=1
	ds_load_2addr_b64 v[1:4], v18 offset1:16
	ds_load_2addr_b64 v[5:8], v18 offset0:32 offset1:48
	s_waitcnt lgkmcnt(0)
	v_add_f64 v[3:4], v[3:4], v[5:6]
	s_delay_alu instid0(VALU_DEP_1) | instskip(NEXT) | instid1(VALU_DEP_1)
	v_add_f64 v[3:4], v[3:4], v[7:8]
	v_add_f64 v[1:2], v[1:2], v[3:4]
	ds_store_b64 v18, v[1:2]
.LBB95_21:                              ;   in Loop: Header=BB95_11 Depth=1
	s_or_b32 exec_lo, exec_lo, s7
	s_waitcnt lgkmcnt(0)
	s_barrier
	buffer_gl0_inv
	s_and_saveexec_b32 s7, s5
	s_cbranch_execz .LBB95_23
; %bb.22:                               ;   in Loop: Header=BB95_11 Depth=1
	ds_load_2addr_b64 v[1:4], v18 offset1:4
	ds_load_2addr_b64 v[5:8], v18 offset0:8 offset1:12
	s_waitcnt lgkmcnt(0)
	v_add_f64 v[3:4], v[3:4], v[5:6]
	s_delay_alu instid0(VALU_DEP_1) | instskip(NEXT) | instid1(VALU_DEP_1)
	v_add_f64 v[3:4], v[3:4], v[7:8]
	v_add_f64 v[1:2], v[1:2], v[3:4]
	ds_store_b64 v18, v[1:2]
.LBB95_23:                              ;   in Loop: Header=BB95_11 Depth=1
	s_or_b32 exec_lo, exec_lo, s7
	s_waitcnt lgkmcnt(0)
	s_barrier
	buffer_gl0_inv
	s_and_saveexec_b32 s7, s6
	s_cbranch_execz .LBB95_25
; %bb.24:                               ;   in Loop: Header=BB95_11 Depth=1
	ds_load_2addr_b64 v[1:4], v13 offset0:1 offset1:2
	ds_load_b64 v[5:6], v18
	s_waitcnt lgkmcnt(1)
	v_add_f64 v[1:2], v[1:2], v[3:4]
	ds_load_b64 v[3:4], v13 offset:24
	s_waitcnt lgkmcnt(0)
	v_add_f64 v[1:2], v[1:2], v[3:4]
	s_delay_alu instid0(VALU_DEP_1)
	v_add_f64 v[1:2], v[5:6], v[1:2]
	ds_store_b64 v18, v[1:2]
.LBB95_25:                              ;   in Loop: Header=BB95_11 Depth=1
	s_or_b32 exec_lo, exec_lo, s7
	s_waitcnt lgkmcnt(0)
	s_barrier
	buffer_gl0_inv
	s_and_saveexec_b32 s7, s6
	s_cbranch_execz .LBB95_10
; %bb.26:                               ;   in Loop: Header=BB95_11 Depth=1
	ds_load_b64 v[1:2], v13
	v_mov_b32_e32 v5, 0
	v_bfrev_b32_e32 v6, 1
	s_mov_b32 s36, exec_lo
	s_waitcnt lgkmcnt(0)
	v_mul_f64 v[1:2], v[10:11], v[1:2]
.LBB95_27:                              ;   Parent Loop BB95_11 Depth=1
                                        ; =>  This Inner Loop Header: Depth=2
	s_ctz_i32_b32 s37, s36
	s_delay_alu instid0(VALU_DEP_1) | instid1(SALU_CYCLE_1)
	v_readlane_b32 s39, v2, s37
	s_delay_alu instid0(VALU_DEP_2) | instskip(SKIP_1) | instid1(SALU_CYCLE_1)
	v_readlane_b32 s38, v1, s37
	s_lshl_b32 s37, 1, s37
	s_and_not1_b32 s36, s36, s37
	s_delay_alu instid0(VALU_DEP_1)
	v_add_f64 v[5:6], v[5:6], s[38:39]
	s_cmp_lg_u32 s36, 0
	s_cbranch_scc1 .LBB95_27
; %bb.28:                               ;   in Loop: Header=BB95_11 Depth=1
	v_mbcnt_lo_u32_b32 v1, exec_lo, 0
	s_mov_b32 s36, exec_lo
	s_delay_alu instid0(VALU_DEP_1)
	v_cmpx_eq_u32_e32 0, v1
	s_xor_b32 s36, exec_lo, s36
	s_cbranch_execz .LBB95_10
; %bb.29:                               ;   in Loop: Header=BB95_11 Depth=1
	s_add_u32 s34, s20, s34
	s_addc_u32 s35, s21, s35
	s_mov_b32 s36, 0
	global_load_b64 v[3:4], v13, s[34:35]
.LBB95_30:                              ;   Parent Loop BB95_11 Depth=1
                                        ; =>  This Inner Loop Header: Depth=2
	s_waitcnt vmcnt(0)
	v_add_f64 v[1:2], v[3:4], v[5:6]
	global_atomic_cmpswap_b64 v[1:2], v13, v[1:4], s[34:35] glc
	s_waitcnt vmcnt(0)
	v_cmp_eq_u64_e32 vcc_lo, v[1:2], v[3:4]
	v_dual_mov_b32 v4, v2 :: v_dual_mov_b32 v3, v1
	s_or_b32 s36, vcc_lo, s36
	s_delay_alu instid0(SALU_CYCLE_1)
	s_and_not1_b32 exec_lo, exec_lo, s36
	s_cbranch_execnz .LBB95_30
; %bb.31:                               ;   in Loop: Header=BB95_11 Depth=1
	s_or_b32 exec_lo, exec_lo, s36
	s_branch .LBB95_10
.LBB95_32:
	s_lshl_b64 s[2:3], s[18:19], 3
	s_waitcnt lgkmcnt(0)
	v_add_co_u32 v5, vcc_lo, s26, v9
	s_add_u32 s2, s8, s2
	s_addc_u32 s3, s9, s3
	v_add_co_ci_u32_e32 v6, vcc_lo, s27, v12, vcc_lo
	s_load_b64 s[2:3], s[2:3], 0x0
	s_waitcnt lgkmcnt(0)
	s_sub_u32 s4, s2, s24
	s_subb_u32 s5, s3, 0
	s_mov_b32 s3, exec_lo
	v_cmpx_gt_i64_e64 s[4:5], v[5:6]
	s_cbranch_execz .LBB95_42
; %bb.33:
	s_add_u32 s6, s18, -1
	s_addc_u32 s7, s19, -1
	s_add_u32 s26, s18, -2
	v_cmp_gt_i64_e64 s2, s[6:7], s[16:17]
	s_addc_u32 s27, s19, -1
	s_delay_alu instid0(SALU_CYCLE_1)
	s_cmp_lg_u64 s[26:27], s[16:17]
	s_mov_b32 s26, 0
	s_cselect_b32 s25, -1, 0
	s_delay_alu instid0(VALU_DEP_1) | instid1(SALU_CYCLE_1)
	s_and_b32 s25, s2, s25
	s_branch .LBB95_35
.LBB95_34:                              ;   in Loop: Header=BB95_35 Depth=1
	s_or_b32 exec_lo, exec_lo, s2
	v_add_co_u32 v5, vcc_lo, 0x100, v5
	v_add_co_ci_u32_e32 v6, vcc_lo, 0, v6, vcc_lo
	s_delay_alu instid0(VALU_DEP_1) | instskip(SKIP_1) | instid1(SALU_CYCLE_1)
	v_cmp_le_i64_e32 vcc_lo, s[4:5], v[5:6]
	s_or_b32 s26, vcc_lo, s26
	s_and_not1_b32 exec_lo, exec_lo, s26
	s_cbranch_execz .LBB95_42
.LBB95_35:                              ; =>This Loop Header: Depth=1
                                        ;     Child Loop BB95_37 Depth 2
                                        ;     Child Loop BB95_41 Depth 2
	v_dual_mov_b32 v1, s16 :: v_dual_mov_b32 v2, s17
	v_dual_mov_b32 v3, s6 :: v_dual_mov_b32 v4, s7
	s_and_not1_b32 vcc_lo, exec_lo, s25
	s_cbranch_vccnz .LBB95_39
; %bb.36:                               ;   in Loop: Header=BB95_35 Depth=1
	v_dual_mov_b32 v1, s16 :: v_dual_mov_b32 v2, s17
	v_dual_mov_b32 v3, s6 :: v_dual_mov_b32 v4, s7
	s_mov_b32 s27, 0
	s_set_inst_prefetch_distance 0x1
	.p2align	6
.LBB95_37:                              ;   Parent Loop BB95_35 Depth=1
                                        ; =>  This Inner Loop Header: Depth=2
	s_delay_alu instid0(VALU_DEP_1) | instskip(NEXT) | instid1(VALU_DEP_2)
	v_add_co_u32 v7, vcc_lo, v3, v1
	v_add_co_ci_u32_e32 v8, vcc_lo, v4, v2, vcc_lo
	s_delay_alu instid0(VALU_DEP_1) | instskip(NEXT) | instid1(VALU_DEP_1)
	v_lshrrev_b32_e32 v9, 31, v8
	v_add_co_u32 v7, vcc_lo, v7, v9
	v_add_co_ci_u32_e32 v8, vcc_lo, 0, v8, vcc_lo
	s_delay_alu instid0(VALU_DEP_1) | instskip(NEXT) | instid1(VALU_DEP_1)
	v_ashrrev_i64 v[7:8], 1, v[7:8]
	v_lshlrev_b64 v[12:13], 3, v[7:8]
	s_delay_alu instid0(VALU_DEP_1) | instskip(NEXT) | instid1(VALU_DEP_2)
	v_add_co_u32 v12, vcc_lo, s8, v12
	v_add_co_ci_u32_e32 v13, vcc_lo, s9, v13, vcc_lo
	global_load_b64 v[12:13], v[12:13], off
	s_waitcnt vmcnt(0)
	v_sub_co_u32 v12, vcc_lo, v12, s24
	v_subrev_co_ci_u32_e32 v13, vcc_lo, 0, v13, vcc_lo
	s_delay_alu instid0(VALU_DEP_1) | instskip(SKIP_2) | instid1(VALU_DEP_2)
	v_cmp_gt_i64_e32 vcc_lo, v[12:13], v[5:6]
	v_dual_cndmask_b32 v4, v4, v8 :: v_dual_cndmask_b32 v3, v3, v7
	v_dual_cndmask_b32 v2, v8, v2 :: v_dual_cndmask_b32 v1, v7, v1
	v_add_co_u32 v7, vcc_lo, v3, -1
	s_delay_alu instid0(VALU_DEP_3) | instskip(NEXT) | instid1(VALU_DEP_3)
	v_add_co_ci_u32_e32 v8, vcc_lo, -1, v4, vcc_lo
	v_cmp_ge_i64_e32 vcc_lo, v[1:2], v[3:4]
	s_delay_alu instid0(VALU_DEP_2) | instskip(NEXT) | instid1(VALU_DEP_1)
	v_cmp_eq_u64_e64 s2, v[1:2], v[7:8]
	s_or_b32 s2, vcc_lo, s2
	s_delay_alu instid0(SALU_CYCLE_1) | instskip(NEXT) | instid1(SALU_CYCLE_1)
	s_and_b32 s2, exec_lo, s2
	s_or_b32 s27, s2, s27
	s_delay_alu instid0(SALU_CYCLE_1)
	s_and_not1_b32 exec_lo, exec_lo, s27
	s_cbranch_execnz .LBB95_37
; %bb.38:                               ;   in Loop: Header=BB95_35 Depth=1
	s_set_inst_prefetch_distance 0x2
	s_or_b32 exec_lo, exec_lo, s27
.LBB95_39:                              ;   in Loop: Header=BB95_35 Depth=1
	s_delay_alu instid0(VALU_DEP_1) | instskip(SKIP_2) | instid1(VALU_DEP_2)
	v_lshlrev_b64 v[7:8], 3, v[3:4]
	v_lshlrev_b64 v[12:13], 2, v[5:6]
	s_mov_b32 s2, exec_lo
	v_add_co_u32 v7, vcc_lo, s8, v7
	s_delay_alu instid0(VALU_DEP_3) | instskip(NEXT) | instid1(VALU_DEP_3)
	v_add_co_ci_u32_e32 v8, vcc_lo, s9, v8, vcc_lo
	v_add_co_u32 v14, vcc_lo, s10, v12
	s_delay_alu instid0(VALU_DEP_4)
	v_add_co_ci_u32_e32 v15, vcc_lo, s11, v13, vcc_lo
	global_load_b64 v[7:8], v[7:8], off
	global_load_b32 v9, v[14:15], off
	s_waitcnt vmcnt(1)
	v_sub_co_u32 v7, vcc_lo, v7, s24
	v_subrev_co_ci_u32_e32 v8, vcc_lo, 0, v8, vcc_lo
	s_delay_alu instid0(VALU_DEP_1) | instskip(SKIP_2) | instid1(VALU_DEP_1)
	v_cmp_gt_i64_e32 vcc_lo, v[7:8], v[5:6]
	s_waitcnt vmcnt(0)
	v_subrev_nc_u32_e32 v7, s24, v9
	v_ashrrev_i32_e32 v8, 31, v7
	v_dual_cndmask_b32 v2, v4, v2 :: v_dual_cndmask_b32 v1, v3, v1
	s_delay_alu instid0(VALU_DEP_1)
	v_cmpx_ne_u64_e64 v[1:2], v[7:8]
	s_cbranch_execz .LBB95_34
; %bb.40:                               ;   in Loop: Header=BB95_35 Depth=1
	v_add_co_u32 v3, vcc_lo, s12, v12
	v_add_co_ci_u32_e32 v4, vcc_lo, s13, v13, vcc_lo
	v_lshlrev_b64 v[1:2], 3, v[1:2]
	s_mov_b32 s27, 0
	global_load_b32 v9, v[3:4], off
	v_lshlrev_b64 v[3:4], 3, v[7:8]
	v_add_co_u32 v1, vcc_lo, s14, v1
	v_add_co_ci_u32_e32 v2, vcc_lo, s15, v2, vcc_lo
	s_delay_alu instid0(VALU_DEP_3) | instskip(NEXT) | instid1(VALU_DEP_4)
	v_add_co_u32 v7, vcc_lo, s20, v3
	v_add_co_ci_u32_e32 v8, vcc_lo, s21, v4, vcc_lo
	global_load_b64 v[1:2], v[1:2], off
	global_load_b64 v[3:4], v[7:8], off
	s_waitcnt vmcnt(2)
	v_cvt_f64_f32_e32 v[12:13], v9
	s_delay_alu instid0(VALU_DEP_1) | instskip(SKIP_1) | instid1(VALU_DEP_1)
	v_mul_f64 v[12:13], v[10:11], v[12:13]
	s_waitcnt vmcnt(1)
	v_mul_f64 v[12:13], v[1:2], v[12:13]
.LBB95_41:                              ;   Parent Loop BB95_35 Depth=1
                                        ; =>  This Inner Loop Header: Depth=2
	s_waitcnt vmcnt(0)
	s_delay_alu instid0(VALU_DEP_1)
	v_add_f64 v[1:2], v[3:4], v[12:13]
	global_atomic_cmpswap_b64 v[1:2], v[7:8], v[1:4], off glc
	s_waitcnt vmcnt(0)
	v_cmp_eq_u64_e32 vcc_lo, v[1:2], v[3:4]
	v_dual_mov_b32 v4, v2 :: v_dual_mov_b32 v3, v1
	s_or_b32 s27, vcc_lo, s27
	s_delay_alu instid0(SALU_CYCLE_1)
	s_and_not1_b32 exec_lo, exec_lo, s27
	s_cbranch_execnz .LBB95_41
	s_branch .LBB95_34
.LBB95_42:
	s_or_b32 exec_lo, exec_lo, s3
	s_mov_b32 s2, 0
.LBB95_43:
	s_delay_alu instid0(SALU_CYCLE_1)
	s_and_b32 vcc_lo, exec_lo, s2
	s_cbranch_vccz .LBB95_180
; %bb.44:
	s_load_b32 s2, s[0:1], 0x6c
	s_mov_b32 s7, 0
	s_mov_b64 s[28:29], 0
	s_waitcnt lgkmcnt(0)
	s_and_b32 s6, s2, 0xffff
	s_delay_alu instid0(SALU_CYCLE_1) | instskip(NEXT) | instid1(VALU_DEP_1)
	v_cmp_lt_u64_e64 s2, s[6:7], s[22:23]
	s_and_b32 vcc_lo, exec_lo, s2
	s_cbranch_vccnz .LBB95_46
; %bb.45:
	v_cvt_f32_u32_e32 v1, s22
	s_sub_i32 s3, 0, s22
	s_delay_alu instid0(VALU_DEP_1) | instskip(SKIP_2) | instid1(VALU_DEP_1)
	v_rcp_iflag_f32_e32 v1, v1
	s_waitcnt_depctr 0xfff
	v_mul_f32_e32 v1, 0x4f7ffffe, v1
	v_cvt_u32_f32_e32 v1, v1
	s_delay_alu instid0(VALU_DEP_1) | instskip(NEXT) | instid1(VALU_DEP_1)
	v_readfirstlane_b32 s2, v1
	s_mul_i32 s3, s3, s2
	s_delay_alu instid0(SALU_CYCLE_1) | instskip(NEXT) | instid1(SALU_CYCLE_1)
	s_mul_hi_u32 s3, s2, s3
	s_add_i32 s2, s2, s3
	s_delay_alu instid0(SALU_CYCLE_1) | instskip(NEXT) | instid1(SALU_CYCLE_1)
	s_mul_hi_u32 s2, s6, s2
	s_mul_i32 s3, s2, s22
	s_add_i32 s4, s2, 1
	s_sub_i32 s3, s6, s3
	s_delay_alu instid0(SALU_CYCLE_1)
	s_sub_i32 s5, s3, s22
	s_cmp_ge_u32 s3, s22
	s_cselect_b32 s2, s4, s2
	s_cselect_b32 s3, s5, s3
	s_add_i32 s4, s2, 1
	s_cmp_ge_u32 s3, s22
	s_cselect_b32 s28, s4, s2
.LBB95_46:
	s_lshl_b64 s[2:3], s[16:17], 3
	v_sub_co_u32 v1, s7, v0, s24
	s_add_u32 s26, s8, s2
	s_addc_u32 s27, s9, s3
	s_load_b64 s[4:5], s[26:27], 0x0
	s_load_b128 s[0:3], s[0:1], 0x8
	v_sub_co_ci_u32_e64 v2, null, 0, 0, s7
	s_waitcnt lgkmcnt(0)
	v_add_co_u32 v6, vcc_lo, s4, v1
	s_delay_alu instid0(VALU_DEP_2) | instskip(SKIP_1) | instid1(VALU_DEP_3)
	v_add_co_ci_u32_e32 v7, vcc_lo, s5, v2, vcc_lo
	v_mov_b32_e32 v1, 0
	v_add_co_u32 v8, vcc_lo, 0x300, v6
	s_delay_alu instid0(VALU_DEP_3) | instskip(NEXT) | instid1(VALU_DEP_1)
	v_add_co_ci_u32_e32 v9, vcc_lo, 0, v7, vcc_lo
	v_cmp_le_i64_e32 vcc_lo, s[0:1], v[8:9]
	s_and_saveexec_b32 s0, vcc_lo
	s_delay_alu instid0(SALU_CYCLE_1)
	s_xor_b32 s7, exec_lo, s0
	s_cbranch_execnz .LBB95_49
; %bb.47:
	s_or_saveexec_b32 s1, s7
	v_lshlrev_b64 v[2:3], 2, v[6:7]
	s_xor_b32 exec_lo, exec_lo, s1
	s_cbranch_execnz .LBB95_53
.LBB95_48:
	s_or_b32 exec_lo, exec_lo, s1
	s_delay_alu instid0(SALU_CYCLE_1)
	s_mov_b32 s1, exec_lo
	v_cmpx_gt_i64_e64 s[2:3], v[0:1]
	s_cbranch_execnz .LBB95_54
	s_branch .LBB95_56
.LBB95_49:
	s_lshl_b64 s[0:1], s[18:19], 3
	s_mov_b32 s25, exec_lo
	s_add_u32 s0, s8, s0
	s_addc_u32 s1, s9, s1
	s_load_b64 s[0:1], s[0:1], 0x0
	s_waitcnt lgkmcnt(0)
	s_sub_u32 s30, s0, s4
	s_subb_u32 s31, s1, s5
	s_delay_alu instid0(SALU_CYCLE_1)
	v_cmpx_gt_i64_e64 s[30:31], v[0:1]
	s_cbranch_execz .LBB95_52
; %bb.50:
	v_lshlrev_b64 v[2:3], 2, v[6:7]
	v_dual_mov_b32 v12, v18 :: v_dual_mov_b32 v5, v1
	v_mov_b32_e32 v4, v0
	s_mov_b32 s29, 0
	s_delay_alu instid0(VALU_DEP_3) | instskip(NEXT) | instid1(VALU_DEP_1)
	v_add_co_u32 v2, s0, s12, v2
	v_add_co_ci_u32_e64 v3, s0, s13, v3, s0
	.p2align	6
.LBB95_51:                              ; =>This Inner Loop Header: Depth=1
	global_load_b32 v13, v[2:3], off
	v_add_co_u32 v4, s0, 0x100, v4
	s_delay_alu instid0(VALU_DEP_1) | instskip(SKIP_1) | instid1(VALU_DEP_1)
	v_add_co_ci_u32_e64 v5, s0, 0, v5, s0
	v_add_co_u32 v2, s0, 0x400, v2
	v_add_co_ci_u32_e64 v3, s0, 0, v3, s0
	s_delay_alu instid0(VALU_DEP_3) | instskip(NEXT) | instid1(VALU_DEP_1)
	v_cmp_le_i64_e64 s1, s[30:31], v[4:5]
	s_or_b32 s29, s1, s29
	s_waitcnt vmcnt(0)
	v_cvt_f64_f32_e32 v[13:14], v13
	s_delay_alu instid0(VALU_DEP_1)
	v_mul_f64 v[13:14], v[10:11], v[13:14]
	ds_store_b64 v12, v[13:14]
	v_add_nc_u32_e32 v12, 0x800, v12
	s_and_not1_b32 exec_lo, exec_lo, s29
	s_cbranch_execnz .LBB95_51
.LBB95_52:
	s_or_b32 exec_lo, exec_lo, s25
                                        ; implicit-def: $vgpr10_vgpr11
	s_or_saveexec_b32 s1, s7
	v_lshlrev_b64 v[2:3], 2, v[6:7]
	s_xor_b32 exec_lo, exec_lo, s1
	s_cbranch_execz .LBB95_48
.LBB95_53:
	s_delay_alu instid0(VALU_DEP_1) | instskip(NEXT) | instid1(VALU_DEP_1)
	v_add_co_u32 v4, s0, s12, v2
	v_add_co_ci_u32_e64 v5, s0, s13, v3, s0
	s_clause 0x3
	global_load_b32 v12, v[4:5], off
	global_load_b32 v13, v[4:5], off offset:1024
	global_load_b32 v14, v[4:5], off offset:2048
	;; [unrolled: 1-line block ×3, first 2 shown]
	s_waitcnt vmcnt(3)
	v_cvt_f64_f32_e32 v[4:5], v12
	s_waitcnt vmcnt(2)
	v_cvt_f64_f32_e32 v[12:13], v13
	s_waitcnt vmcnt(1)
	v_cvt_f64_f32_e32 v[14:15], v14
	s_waitcnt vmcnt(0)
	v_cvt_f64_f32_e32 v[16:17], v16
	s_delay_alu instid0(VALU_DEP_4) | instskip(NEXT) | instid1(VALU_DEP_4)
	v_mul_f64 v[4:5], v[10:11], v[4:5]
	v_mul_f64 v[12:13], v[10:11], v[12:13]
	s_delay_alu instid0(VALU_DEP_4) | instskip(NEXT) | instid1(VALU_DEP_4)
	v_mul_f64 v[14:15], v[10:11], v[14:15]
	v_mul_f64 v[10:11], v[10:11], v[16:17]
	ds_store_2addr_stride64_b64 v18, v[4:5], v[12:13] offset1:4
	ds_store_2addr_stride64_b64 v18, v[14:15], v[10:11] offset0:8 offset1:12
	s_or_b32 exec_lo, exec_lo, s1
	s_delay_alu instid0(SALU_CYCLE_1)
	s_mov_b32 s1, exec_lo
	v_cmpx_gt_i64_e64 s[2:3], v[0:1]
	s_cbranch_execz .LBB95_56
.LBB95_54:
	v_dual_mov_b32 v4, 0 :: v_dual_mov_b32 v11, v1
	v_lshl_add_u32 v12, v0, 3, 0x2000
	v_mov_b32_e32 v10, v0
	s_mov_b32 s7, 0
	s_delay_alu instid0(VALU_DEP_3)
	v_mov_b32_e32 v5, v4
.LBB95_55:                              ; =>This Inner Loop Header: Depth=1
	s_delay_alu instid0(VALU_DEP_2) | instskip(NEXT) | instid1(VALU_DEP_1)
	v_add_co_u32 v10, s0, 0x100, v10
	v_add_co_ci_u32_e64 v11, s0, 0, v11, s0
	ds_store_b64 v12, v[4:5]
	v_add_nc_u32_e32 v12, 0x800, v12
	v_cmp_le_i64_e64 s0, s[2:3], v[10:11]
	s_delay_alu instid0(VALU_DEP_1) | instskip(NEXT) | instid1(SALU_CYCLE_1)
	s_or_b32 s7, s0, s7
	s_and_not1_b32 exec_lo, exec_lo, s7
	s_cbranch_execnz .LBB95_55
.LBB95_56:
	s_or_b32 exec_lo, exec_lo, s1
	v_cmp_ge_i64_e64 s0, s[18:19], s[2:3]
	s_sub_u32 s1, s18, s2
	s_subb_u32 s7, s19, s3
	s_waitcnt lgkmcnt(0)
	s_barrier
	buffer_gl0_inv
	s_and_b32 s0, s0, exec_lo
	s_cselect_b32 s13, s7, 0
	s_cselect_b32 s12, s1, 0
	s_and_saveexec_b32 s0, vcc_lo
	s_delay_alu instid0(SALU_CYCLE_1)
	s_xor_b32 s7, exec_lo, s0
	s_cbranch_execz .LBB95_77
; %bb.57:
	s_lshl_b64 s[0:1], s[18:19], 3
	s_mov_b32 s25, exec_lo
	s_add_u32 s0, s8, s0
	s_addc_u32 s1, s9, s1
	s_load_b64 s[0:1], s[0:1], 0x0
	s_waitcnt lgkmcnt(0)
	s_sub_u32 s30, s0, s4
	s_subb_u32 s31, s1, s5
	s_delay_alu instid0(SALU_CYCLE_1)
	v_cmpx_gt_i64_e64 s[30:31], v[0:1]
	s_cbranch_execz .LBB95_76
; %bb.58:
	s_add_u32 s34, s18, -1
	s_addc_u32 s35, s19, -1
	s_add_u32 s36, s18, -2
	v_cmp_gt_i64_e64 s29, s[34:35], s[16:17]
	s_addc_u32 s37, s19, -1
	s_mov_b64 s[38:39], 0
	s_cmp_lg_u64 s[36:37], s[16:17]
	s_cselect_b32 s33, -1, 0
	s_delay_alu instid0(VALU_DEP_1) | instid1(SALU_CYCLE_1)
	s_and_b32 s29, s29, s33
	s_sub_u32 s36, s0, s24
	s_subb_u32 s37, s1, 0
	s_mov_b32 s1, 0
	s_branch .LBB95_61
.LBB95_59:                              ;   in Loop: Header=BB95_61 Depth=1
	s_or_b32 exec_lo, exec_lo, s0
.LBB95_60:                              ;   in Loop: Header=BB95_61 Depth=1
	s_delay_alu instid0(SALU_CYCLE_1) | instskip(SKIP_4) | instid1(VALU_DEP_1)
	s_or_b32 exec_lo, exec_lo, s33
	v_lshlrev_b64 v[2:3], 3, v[8:9]
	s_add_u32 s38, s38, 0x100
	s_addc_u32 s39, s39, 0
	v_add_co_u32 v4, s0, s38, v0
	v_add_co_ci_u32_e64 v5, null, s39, 0, s0
	s_delay_alu instid0(VALU_DEP_3) | instskip(SKIP_1) | instid1(VALU_DEP_3)
	v_add_co_u32 v2, vcc_lo, s14, v2
	v_add_co_ci_u32_e32 v3, vcc_lo, s15, v3, vcc_lo
	v_cmp_le_i64_e32 vcc_lo, s[30:31], v[4:5]
	v_lshlrev_b32_e32 v4, 3, v16
	global_load_b64 v[2:3], v[2:3], off
	s_or_b32 s1, vcc_lo, s1
	s_waitcnt vmcnt(0) lgkmcnt(0)
	v_mul_f64 v[2:3], v[2:3], v[10:11]
	ds_store_b64 v4, v[2:3]
	s_and_not1_b32 exec_lo, exec_lo, s1
	s_cbranch_execz .LBB95_76
.LBB95_61:                              ; =>This Loop Header: Depth=1
                                        ;     Child Loop BB95_63 Depth 2
                                        ;     Child Loop BB95_70 Depth 2
	;; [unrolled: 1-line block ×3, first 2 shown]
	v_add_co_u32 v2, vcc_lo, s38, v6
	v_add_co_ci_u32_e32 v3, vcc_lo, s39, v7, vcc_lo
	v_dual_mov_b32 v4, s16 :: v_dual_mov_b32 v5, s17
	v_dual_mov_b32 v10, s34 :: v_dual_mov_b32 v11, s35
	s_and_not1_b32 vcc_lo, exec_lo, s29
	s_cbranch_vccnz .LBB95_65
; %bb.62:                               ;   in Loop: Header=BB95_61 Depth=1
	v_dual_mov_b32 v4, s16 :: v_dual_mov_b32 v5, s17
	v_dual_mov_b32 v10, s34 :: v_dual_mov_b32 v11, s35
	s_mov_b32 s33, 0
	s_set_inst_prefetch_distance 0x1
	.p2align	6
.LBB95_63:                              ;   Parent Loop BB95_61 Depth=1
                                        ; =>  This Inner Loop Header: Depth=2
	s_delay_alu instid0(VALU_DEP_1) | instskip(NEXT) | instid1(VALU_DEP_2)
	v_add_co_u32 v8, vcc_lo, v10, v4
	v_add_co_ci_u32_e32 v9, vcc_lo, v11, v5, vcc_lo
	s_delay_alu instid0(VALU_DEP_1) | instskip(NEXT) | instid1(VALU_DEP_1)
	v_lshrrev_b32_e32 v12, 31, v9
	v_add_co_u32 v8, vcc_lo, v8, v12
	v_add_co_ci_u32_e32 v9, vcc_lo, 0, v9, vcc_lo
	s_delay_alu instid0(VALU_DEP_1) | instskip(NEXT) | instid1(VALU_DEP_1)
	v_ashrrev_i64 v[8:9], 1, v[8:9]
	v_lshlrev_b64 v[12:13], 3, v[8:9]
	s_delay_alu instid0(VALU_DEP_1) | instskip(NEXT) | instid1(VALU_DEP_2)
	v_add_co_u32 v12, vcc_lo, s8, v12
	v_add_co_ci_u32_e32 v13, vcc_lo, s9, v13, vcc_lo
	global_load_b64 v[12:13], v[12:13], off
	s_waitcnt vmcnt(0)
	v_sub_co_u32 v12, vcc_lo, v12, s24
	v_subrev_co_ci_u32_e32 v13, vcc_lo, 0, v13, vcc_lo
	s_delay_alu instid0(VALU_DEP_1) | instskip(SKIP_2) | instid1(VALU_DEP_2)
	v_cmp_gt_i64_e32 vcc_lo, v[12:13], v[2:3]
	v_dual_cndmask_b32 v11, v11, v9 :: v_dual_cndmask_b32 v10, v10, v8
	v_dual_cndmask_b32 v5, v9, v5 :: v_dual_cndmask_b32 v4, v8, v4
	v_add_co_u32 v8, vcc_lo, v10, -1
	s_delay_alu instid0(VALU_DEP_3) | instskip(NEXT) | instid1(VALU_DEP_3)
	v_add_co_ci_u32_e32 v9, vcc_lo, -1, v11, vcc_lo
	v_cmp_ge_i64_e32 vcc_lo, v[4:5], v[10:11]
	s_delay_alu instid0(VALU_DEP_2) | instskip(NEXT) | instid1(VALU_DEP_1)
	v_cmp_eq_u64_e64 s0, v[4:5], v[8:9]
	s_or_b32 s0, vcc_lo, s0
	s_delay_alu instid0(SALU_CYCLE_1) | instskip(NEXT) | instid1(SALU_CYCLE_1)
	s_and_b32 s0, exec_lo, s0
	s_or_b32 s33, s0, s33
	s_delay_alu instid0(SALU_CYCLE_1)
	s_and_not1_b32 exec_lo, exec_lo, s33
	s_cbranch_execnz .LBB95_63
; %bb.64:                               ;   in Loop: Header=BB95_61 Depth=1
	s_set_inst_prefetch_distance 0x2
	s_or_b32 exec_lo, exec_lo, s33
.LBB95_65:                              ;   in Loop: Header=BB95_61 Depth=1
	s_delay_alu instid0(VALU_DEP_1) | instskip(SKIP_3) | instid1(VALU_DEP_4)
	v_lshlrev_b64 v[8:9], 3, v[10:11]
	v_lshlrev_b64 v[12:13], 2, v[2:3]
	v_add_co_u32 v16, null, s38, v0
	v_cmp_le_i64_e64 s0, s[36:37], v[2:3]
	v_add_co_u32 v8, vcc_lo, s8, v8
	v_add_co_ci_u32_e32 v9, vcc_lo, s9, v9, vcc_lo
	v_add_co_u32 v12, vcc_lo, s10, v12
	v_add_co_ci_u32_e32 v13, vcc_lo, s11, v13, vcc_lo
	global_load_b64 v[8:9], v[8:9], off
	global_load_b32 v14, v[12:13], off
	s_waitcnt vmcnt(1)
	v_sub_co_u32 v12, vcc_lo, v8, s24
	v_subrev_co_ci_u32_e32 v13, vcc_lo, 0, v9, vcc_lo
	s_waitcnt vmcnt(0)
	v_subrev_nc_u32_e32 v8, s24, v14
	v_lshlrev_b32_e32 v14, 3, v16
	s_delay_alu instid0(VALU_DEP_3) | instskip(NEXT) | instid1(VALU_DEP_3)
	v_cmp_gt_i64_e32 vcc_lo, v[12:13], v[2:3]
	v_ashrrev_i32_e32 v9, 31, v8
	v_dual_cndmask_b32 v5, v11, v5 :: v_dual_cndmask_b32 v4, v10, v4
                                        ; implicit-def: $vgpr10_vgpr11
	s_delay_alu instid0(VALU_DEP_1) | instskip(SKIP_1) | instid1(SALU_CYCLE_1)
	v_cmp_eq_u64_e32 vcc_lo, v[4:5], v[8:9]
	s_or_b32 s0, vcc_lo, s0
	s_and_saveexec_b32 s33, s0
	s_delay_alu instid0(SALU_CYCLE_1)
	s_xor_b32 s0, exec_lo, s33
	s_cbranch_execz .LBB95_67
; %bb.66:                               ;   in Loop: Header=BB95_61 Depth=1
	ds_load_b64 v[10:11], v14
                                        ; implicit-def: $vgpr4_vgpr5
                                        ; implicit-def: $vgpr14
.LBB95_67:                              ;   in Loop: Header=BB95_61 Depth=1
	s_and_not1_saveexec_b32 s33, s0
	s_cbranch_execz .LBB95_60
; %bb.68:                               ;   in Loop: Header=BB95_61 Depth=1
	v_cmp_gt_i64_e32 vcc_lo, s[12:13], v[8:9]
	v_cmp_le_i64_e64 s0, s[18:19], v[8:9]
	v_lshlrev_b64 v[2:3], 3, v[4:5]
                                        ; implicit-def: $vgpr10_vgpr11
	s_delay_alu instid0(VALU_DEP_2) | instskip(NEXT) | instid1(SALU_CYCLE_1)
	s_or_b32 s0, vcc_lo, s0
	s_and_saveexec_b32 s40, s0
	s_delay_alu instid0(SALU_CYCLE_1)
	s_xor_b32 s0, exec_lo, s40
	s_cbranch_execz .LBB95_72
; %bb.69:                               ;   in Loop: Header=BB95_61 Depth=1
	s_delay_alu instid0(VALU_DEP_1)
	v_add_co_u32 v2, vcc_lo, s14, v2
	v_add_co_ci_u32_e32 v3, vcc_lo, s15, v3, vcc_lo
	v_lshlrev_b64 v[4:5], 3, v[8:9]
	s_waitcnt lgkmcnt(0)
	ds_load_b64 v[10:11], v14
	s_mov_b32 s40, 0
	global_load_b64 v[2:3], v[2:3], off
	v_add_co_u32 v12, vcc_lo, s20, v4
	v_add_co_ci_u32_e32 v13, vcc_lo, s21, v5, vcc_lo
	global_load_b64 v[4:5], v[12:13], off
	s_waitcnt vmcnt(1) lgkmcnt(0)
	v_mul_f64 v[14:15], v[10:11], v[2:3]
.LBB95_70:                              ;   Parent Loop BB95_61 Depth=1
                                        ; =>  This Inner Loop Header: Depth=2
	s_waitcnt vmcnt(0)
	s_delay_alu instid0(VALU_DEP_1)
	v_add_f64 v[2:3], v[4:5], v[14:15]
	global_atomic_cmpswap_b64 v[2:3], v[12:13], v[2:5], off glc
	s_waitcnt vmcnt(0)
	v_cmp_eq_u64_e32 vcc_lo, v[2:3], v[4:5]
	v_dual_mov_b32 v5, v3 :: v_dual_mov_b32 v4, v2
	s_or_b32 s40, vcc_lo, s40
	s_delay_alu instid0(SALU_CYCLE_1)
	s_and_not1_b32 exec_lo, exec_lo, s40
	s_cbranch_execnz .LBB95_70
; %bb.71:                               ;   in Loop: Header=BB95_61 Depth=1
	s_or_b32 exec_lo, exec_lo, s40
                                        ; implicit-def: $vgpr14
                                        ; implicit-def: $vgpr2_vgpr3
.LBB95_72:                              ;   in Loop: Header=BB95_61 Depth=1
	s_and_not1_saveexec_b32 s0, s0
	s_cbranch_execz .LBB95_59
; %bb.73:                               ;   in Loop: Header=BB95_61 Depth=1
	v_add_co_u32 v2, vcc_lo, s14, v2
	v_add_co_ci_u32_e32 v3, vcc_lo, s15, v3, vcc_lo
	s_waitcnt lgkmcnt(0)
	ds_load_b64 v[10:11], v14
	v_subrev_nc_u32_e32 v4, s12, v8
	s_mov_b32 s40, 0
	global_load_b64 v[2:3], v[2:3], off
	v_lshl_add_u32 v12, v4, 3, 0x2000
	ds_load_b64 v[4:5], v12
	s_waitcnt vmcnt(0) lgkmcnt(1)
	v_mul_f64 v[2:3], v[10:11], v[2:3]
.LBB95_74:                              ;   Parent Loop BB95_61 Depth=1
                                        ; =>  This Inner Loop Header: Depth=2
	s_waitcnt lgkmcnt(0)
	s_delay_alu instid0(VALU_DEP_1)
	v_add_f64 v[13:14], v[4:5], v[2:3]
	ds_cmpstore_rtn_b64 v[13:14], v12, v[13:14], v[4:5]
	s_waitcnt lgkmcnt(0)
	v_cmp_eq_u64_e32 vcc_lo, v[13:14], v[4:5]
	v_dual_mov_b32 v4, v13 :: v_dual_mov_b32 v5, v14
	s_or_b32 s40, vcc_lo, s40
	s_delay_alu instid0(SALU_CYCLE_1)
	s_and_not1_b32 exec_lo, exec_lo, s40
	s_cbranch_execnz .LBB95_74
; %bb.75:                               ;   in Loop: Header=BB95_61 Depth=1
	s_or_b32 exec_lo, exec_lo, s40
	s_branch .LBB95_59
.LBB95_76:
	s_or_b32 exec_lo, exec_lo, s25
                                        ; implicit-def: $vgpr8_vgpr9
                                        ; implicit-def: $vgpr6
                                        ; implicit-def: $vgpr2_vgpr3
.LBB95_77:
	s_and_not1_saveexec_b32 s1, s7
	s_cbranch_execz .LBB95_135
; %bb.78:
	s_add_u32 s30, s18, -1
	s_addc_u32 s31, s19, -1
	s_add_u32 s34, s18, -2
	v_cmp_le_i64_e64 s0, s[30:31], s[16:17]
	s_addc_u32 s35, s19, -1
	v_dual_mov_b32 v4, s16 :: v_dual_mov_b32 v5, s17
	s_cmp_eq_u64 s[34:35], s[16:17]
	v_dual_mov_b32 v13, s30 :: v_dual_mov_b32 v14, s31
	s_cselect_b32 s7, -1, 0
	s_delay_alu instid0(SALU_CYCLE_1) | instskip(NEXT) | instid1(SALU_CYCLE_1)
	s_or_b32 s7, s0, s7
	s_and_b32 vcc_lo, exec_lo, s7
	s_cbranch_vccnz .LBB95_82
; %bb.79:
	v_dual_mov_b32 v4, s16 :: v_dual_mov_b32 v5, s17
	v_dual_mov_b32 v13, s30 :: v_dual_mov_b32 v14, s31
	s_mov_b32 s25, 0
	s_set_inst_prefetch_distance 0x1
	.p2align	6
.LBB95_80:                              ; =>This Inner Loop Header: Depth=1
	s_delay_alu instid0(VALU_DEP_1) | instskip(NEXT) | instid1(VALU_DEP_2)
	v_add_co_u32 v10, vcc_lo, v13, v4
	v_add_co_ci_u32_e32 v11, vcc_lo, v14, v5, vcc_lo
	s_delay_alu instid0(VALU_DEP_1) | instskip(NEXT) | instid1(VALU_DEP_1)
	v_lshrrev_b32_e32 v12, 31, v11
	v_add_co_u32 v10, vcc_lo, v10, v12
	v_add_co_ci_u32_e32 v11, vcc_lo, 0, v11, vcc_lo
	s_delay_alu instid0(VALU_DEP_1) | instskip(NEXT) | instid1(VALU_DEP_1)
	v_ashrrev_i64 v[10:11], 1, v[10:11]
	v_lshlrev_b64 v[15:16], 3, v[10:11]
	s_delay_alu instid0(VALU_DEP_1) | instskip(NEXT) | instid1(VALU_DEP_2)
	v_add_co_u32 v15, vcc_lo, s8, v15
	v_add_co_ci_u32_e32 v16, vcc_lo, s9, v16, vcc_lo
	global_load_b64 v[15:16], v[15:16], off
	s_waitcnt vmcnt(0)
	v_sub_co_u32 v15, vcc_lo, v15, s24
	v_subrev_co_ci_u32_e32 v16, vcc_lo, 0, v16, vcc_lo
	s_delay_alu instid0(VALU_DEP_1) | instskip(SKIP_2) | instid1(VALU_DEP_2)
	v_cmp_gt_i64_e32 vcc_lo, v[15:16], v[6:7]
	v_dual_cndmask_b32 v14, v14, v11 :: v_dual_cndmask_b32 v13, v13, v10
	v_dual_cndmask_b32 v5, v11, v5 :: v_dual_cndmask_b32 v4, v10, v4
	v_add_co_u32 v10, vcc_lo, v13, -1
	s_delay_alu instid0(VALU_DEP_3) | instskip(NEXT) | instid1(VALU_DEP_3)
	v_add_co_ci_u32_e32 v11, vcc_lo, -1, v14, vcc_lo
	v_cmp_ge_i64_e32 vcc_lo, v[4:5], v[13:14]
	s_delay_alu instid0(VALU_DEP_2) | instskip(NEXT) | instid1(VALU_DEP_1)
	v_cmp_eq_u64_e64 s0, v[4:5], v[10:11]
	s_or_b32 s0, vcc_lo, s0
	s_delay_alu instid0(SALU_CYCLE_1) | instskip(NEXT) | instid1(SALU_CYCLE_1)
	s_and_b32 s0, exec_lo, s0
	s_or_b32 s25, s0, s25
	s_delay_alu instid0(SALU_CYCLE_1)
	s_and_not1_b32 exec_lo, exec_lo, s25
	s_cbranch_execnz .LBB95_80
; %bb.81:
	s_set_inst_prefetch_distance 0x2
	s_or_b32 exec_lo, exec_lo, s25
.LBB95_82:
	v_lshlrev_b64 v[10:11], 3, v[13:14]
	s_xor_b32 s7, s7, -1
	s_mov_b32 s25, exec_lo
	s_delay_alu instid0(VALU_DEP_1) | instskip(NEXT) | instid1(VALU_DEP_2)
	v_add_co_u32 v10, vcc_lo, s8, v10
	v_add_co_ci_u32_e32 v11, vcc_lo, s9, v11, vcc_lo
	global_load_b64 v[15:16], v[10:11], off
	v_add_co_u32 v10, vcc_lo, s10, v2
	v_add_co_ci_u32_e32 v11, vcc_lo, s11, v3, vcc_lo
	s_lshl_b64 s[10:11], s[18:19], 3
	s_delay_alu instid0(SALU_CYCLE_1)
	s_add_u32 s10, s8, s10
	global_load_b32 v12, v[10:11], off
	s_addc_u32 s11, s9, s11
	s_waitcnt vmcnt(1)
	v_sub_co_u32 v2, vcc_lo, v15, s24
	v_subrev_co_ci_u32_e32 v3, vcc_lo, 0, v16, vcc_lo
	s_delay_alu instid0(VALU_DEP_1) | instskip(SKIP_3) | instid1(VALU_DEP_2)
	v_cmp_gt_i64_e32 vcc_lo, v[2:3], v[6:7]
	s_waitcnt vmcnt(0)
	v_subrev_nc_u32_e32 v12, s24, v12
	v_dual_cndmask_b32 v3, v14, v5 :: v_dual_cndmask_b32 v2, v13, v4
	v_ashrrev_i32_e32 v13, 31, v12
	s_delay_alu instid0(VALU_DEP_1)
	v_cmpx_ne_u64_e64 v[2:3], v[12:13]
	s_cbranch_execz .LBB95_92
; %bb.83:
	s_load_b64 s[34:35], s[10:11], 0x0
	s_waitcnt lgkmcnt(0)
	s_sub_u32 s34, s34, s24
	s_subb_u32 s35, s35, 0
	s_delay_alu instid0(SALU_CYCLE_1)
	v_cmp_gt_i64_e32 vcc_lo, s[34:35], v[6:7]
	s_and_b32 exec_lo, exec_lo, vcc_lo
	s_cbranch_execz .LBB95_92
; %bb.84:
	v_cmp_gt_i64_e32 vcc_lo, s[12:13], v[12:13]
	v_cmp_le_i64_e64 s0, s[18:19], v[12:13]
	v_lshlrev_b64 v[2:3], 3, v[2:3]
	s_delay_alu instid0(VALU_DEP_2) | instskip(NEXT) | instid1(SALU_CYCLE_1)
	s_or_b32 s0, vcc_lo, s0
	s_and_saveexec_b32 s29, s0
	s_delay_alu instid0(SALU_CYCLE_1)
	s_xor_b32 s0, exec_lo, s29
	s_cbranch_execz .LBB95_88
; %bb.85:
	s_delay_alu instid0(VALU_DEP_1)
	v_add_co_u32 v2, vcc_lo, s14, v2
	v_add_co_ci_u32_e32 v3, vcc_lo, s15, v3, vcc_lo
	v_lshlrev_b64 v[4:5], 3, v[12:13]
	ds_load_b64 v[16:17], v18
	s_mov_b32 s29, 0
	global_load_b64 v[2:3], v[2:3], off
	v_add_co_u32 v14, vcc_lo, s20, v4
	v_add_co_ci_u32_e32 v15, vcc_lo, s21, v5, vcc_lo
	global_load_b64 v[4:5], v[14:15], off
	s_waitcnt vmcnt(1) lgkmcnt(0)
	v_mul_f64 v[16:17], v[16:17], v[2:3]
.LBB95_86:                              ; =>This Inner Loop Header: Depth=1
	s_waitcnt vmcnt(0)
	s_delay_alu instid0(VALU_DEP_1)
	v_add_f64 v[2:3], v[4:5], v[16:17]
	global_atomic_cmpswap_b64 v[2:3], v[14:15], v[2:5], off glc
	s_waitcnt vmcnt(0)
	v_cmp_eq_u64_e32 vcc_lo, v[2:3], v[4:5]
	v_dual_mov_b32 v5, v3 :: v_dual_mov_b32 v4, v2
	s_or_b32 s29, vcc_lo, s29
	s_delay_alu instid0(SALU_CYCLE_1)
	s_and_not1_b32 exec_lo, exec_lo, s29
	s_cbranch_execnz .LBB95_86
; %bb.87:
	s_or_b32 exec_lo, exec_lo, s29
                                        ; implicit-def: $vgpr2_vgpr3
.LBB95_88:
	s_and_not1_saveexec_b32 s0, s0
	s_cbranch_execz .LBB95_92
; %bb.89:
	v_add_co_u32 v2, vcc_lo, s14, v2
	v_add_co_ci_u32_e32 v3, vcc_lo, s15, v3, vcc_lo
	ds_load_b64 v[4:5], v18
	s_mov_b32 s0, 0
	global_load_b64 v[2:3], v[2:3], off
	s_waitcnt vmcnt(0) lgkmcnt(0)
	v_mul_f64 v[2:3], v[4:5], v[2:3]
	v_subrev_nc_u32_e32 v4, s12, v12
	s_delay_alu instid0(VALU_DEP_1)
	v_lshl_add_u32 v14, v4, 3, 0x2000
	ds_load_b64 v[4:5], v14
.LBB95_90:                              ; =>This Inner Loop Header: Depth=1
	s_waitcnt lgkmcnt(0)
	v_add_f64 v[15:16], v[4:5], v[2:3]
	ds_cmpstore_rtn_b64 v[15:16], v14, v[15:16], v[4:5]
	s_waitcnt lgkmcnt(0)
	v_cmp_eq_u64_e32 vcc_lo, v[15:16], v[4:5]
	v_dual_mov_b32 v4, v15 :: v_dual_mov_b32 v5, v16
	s_or_b32 s0, vcc_lo, s0
	s_delay_alu instid0(SALU_CYCLE_1)
	s_and_not1_b32 exec_lo, exec_lo, s0
	s_cbranch_execnz .LBB95_90
; %bb.91:
	s_or_b32 exec_lo, exec_lo, s0
.LBB95_92:
	s_delay_alu instid0(SALU_CYCLE_1)
	s_or_b32 exec_lo, exec_lo, s25
	v_lshlrev_b64 v[2:3], 3, v[12:13]
	ds_load_b64 v[4:5], v18
	v_cndmask_b32_e64 v19, 0, 1, s7
	v_dual_mov_b32 v13, s30 :: v_dual_mov_b32 v14, s31
	v_add_co_u32 v2, vcc_lo, s14, v2
	v_add_co_ci_u32_e32 v3, vcc_lo, s15, v3, vcc_lo
	global_load_b64 v[2:3], v[2:3], off
	s_waitcnt vmcnt(0) lgkmcnt(0)
	v_mul_f64 v[15:16], v[2:3], v[4:5]
	v_add_co_u32 v2, vcc_lo, 0x100, v6
	v_add_co_ci_u32_e32 v3, vcc_lo, 0, v7, vcc_lo
	v_dual_mov_b32 v4, s16 :: v_dual_mov_b32 v5, s17
	s_and_not1_b32 vcc_lo, exec_lo, s7
	ds_store_b64 v18, v[15:16]
	s_cbranch_vccnz .LBB95_96
; %bb.93:
	v_dual_mov_b32 v4, s16 :: v_dual_mov_b32 v5, s17
	v_dual_mov_b32 v13, s30 :: v_dual_mov_b32 v14, s31
	s_mov_b32 s7, 0
	s_set_inst_prefetch_distance 0x1
	.p2align	6
.LBB95_94:                              ; =>This Inner Loop Header: Depth=1
	s_delay_alu instid0(VALU_DEP_1) | instskip(NEXT) | instid1(VALU_DEP_2)
	v_add_co_u32 v12, vcc_lo, v13, v4
	v_add_co_ci_u32_e32 v16, vcc_lo, v14, v5, vcc_lo
	s_delay_alu instid0(VALU_DEP_1) | instskip(NEXT) | instid1(VALU_DEP_1)
	v_lshrrev_b32_e32 v15, 31, v16
	v_add_co_u32 v15, vcc_lo, v12, v15
	v_add_co_ci_u32_e32 v16, vcc_lo, 0, v16, vcc_lo
	s_delay_alu instid0(VALU_DEP_1) | instskip(NEXT) | instid1(VALU_DEP_1)
	v_ashrrev_i64 v[15:16], 1, v[15:16]
	v_lshlrev_b64 v[20:21], 3, v[15:16]
	s_delay_alu instid0(VALU_DEP_1) | instskip(NEXT) | instid1(VALU_DEP_2)
	v_add_co_u32 v20, vcc_lo, s8, v20
	v_add_co_ci_u32_e32 v21, vcc_lo, s9, v21, vcc_lo
	global_load_b64 v[20:21], v[20:21], off
	s_waitcnt vmcnt(0)
	v_sub_co_u32 v20, vcc_lo, v20, s24
	v_subrev_co_ci_u32_e32 v21, vcc_lo, 0, v21, vcc_lo
	s_delay_alu instid0(VALU_DEP_1) | instskip(SKIP_2) | instid1(VALU_DEP_2)
	v_cmp_gt_i64_e32 vcc_lo, v[20:21], v[2:3]
	v_dual_cndmask_b32 v14, v14, v16 :: v_dual_cndmask_b32 v13, v13, v15
	v_dual_cndmask_b32 v5, v16, v5 :: v_dual_cndmask_b32 v4, v15, v4
	v_add_co_u32 v15, vcc_lo, v13, -1
	s_delay_alu instid0(VALU_DEP_3) | instskip(NEXT) | instid1(VALU_DEP_3)
	v_add_co_ci_u32_e32 v16, vcc_lo, -1, v14, vcc_lo
	v_cmp_ge_i64_e32 vcc_lo, v[4:5], v[13:14]
	s_delay_alu instid0(VALU_DEP_2) | instskip(NEXT) | instid1(VALU_DEP_1)
	v_cmp_eq_u64_e64 s0, v[4:5], v[15:16]
	s_or_b32 s0, vcc_lo, s0
	s_delay_alu instid0(SALU_CYCLE_1) | instskip(NEXT) | instid1(SALU_CYCLE_1)
	s_and_b32 s0, exec_lo, s0
	s_or_b32 s7, s0, s7
	s_delay_alu instid0(SALU_CYCLE_1)
	s_and_not1_b32 exec_lo, exec_lo, s7
	s_cbranch_execnz .LBB95_94
; %bb.95:
	s_set_inst_prefetch_distance 0x2
	s_or_b32 exec_lo, exec_lo, s7
.LBB95_96:
	v_lshlrev_b64 v[15:16], 3, v[13:14]
	s_mov_b32 s7, exec_lo
	s_delay_alu instid0(VALU_DEP_1) | instskip(NEXT) | instid1(VALU_DEP_2)
	v_add_co_u32 v15, vcc_lo, s8, v15
	v_add_co_ci_u32_e32 v16, vcc_lo, s9, v16, vcc_lo
	global_load_b64 v[15:16], v[15:16], off
	global_load_b32 v12, v[10:11], off offset:1024
	s_waitcnt vmcnt(1)
	v_sub_co_u32 v15, vcc_lo, v15, s24
	v_subrev_co_ci_u32_e32 v16, vcc_lo, 0, v16, vcc_lo
	s_waitcnt vmcnt(0)
	v_subrev_nc_u32_e32 v12, s24, v12
	s_delay_alu instid0(VALU_DEP_2) | instskip(SKIP_1) | instid1(VALU_DEP_3)
	v_cmp_gt_i64_e32 vcc_lo, v[15:16], v[2:3]
	v_dual_cndmask_b32 v5, v14, v5 :: v_dual_cndmask_b32 v4, v13, v4
	v_ashrrev_i32_e32 v13, 31, v12
	s_delay_alu instid0(VALU_DEP_1)
	v_cmpx_ne_u64_e64 v[4:5], v[12:13]
	s_cbranch_execz .LBB95_106
; %bb.97:
	s_load_b64 s[34:35], s[10:11], 0x0
	s_waitcnt lgkmcnt(0)
	s_sub_u32 s34, s34, s24
	s_subb_u32 s35, s35, 0
	s_delay_alu instid0(SALU_CYCLE_1)
	v_cmp_gt_i64_e32 vcc_lo, s[34:35], v[2:3]
	s_and_b32 exec_lo, exec_lo, vcc_lo
	s_cbranch_execz .LBB95_106
; %bb.98:
	v_cmp_gt_i64_e32 vcc_lo, s[12:13], v[12:13]
	v_cmp_le_i64_e64 s0, s[18:19], v[12:13]
	v_lshlrev_b64 v[2:3], 3, v[4:5]
	s_delay_alu instid0(VALU_DEP_2) | instskip(NEXT) | instid1(SALU_CYCLE_1)
	s_or_b32 s0, vcc_lo, s0
	s_and_saveexec_b32 s25, s0
	s_delay_alu instid0(SALU_CYCLE_1)
	s_xor_b32 s0, exec_lo, s25
	s_cbranch_execz .LBB95_102
; %bb.99:
	s_delay_alu instid0(VALU_DEP_1)
	v_add_co_u32 v2, vcc_lo, s14, v2
	v_add_co_ci_u32_e32 v3, vcc_lo, s15, v3, vcc_lo
	v_lshlrev_b64 v[4:5], 3, v[12:13]
	ds_load_b64 v[16:17], v18 offset:2048
	s_mov_b32 s25, 0
	global_load_b64 v[2:3], v[2:3], off
	v_add_co_u32 v14, vcc_lo, s20, v4
	v_add_co_ci_u32_e32 v15, vcc_lo, s21, v5, vcc_lo
	global_load_b64 v[4:5], v[14:15], off
	s_waitcnt vmcnt(1) lgkmcnt(0)
	v_mul_f64 v[16:17], v[16:17], v[2:3]
.LBB95_100:                             ; =>This Inner Loop Header: Depth=1
	s_waitcnt vmcnt(0)
	s_delay_alu instid0(VALU_DEP_1)
	v_add_f64 v[2:3], v[4:5], v[16:17]
	global_atomic_cmpswap_b64 v[2:3], v[14:15], v[2:5], off glc
	s_waitcnt vmcnt(0)
	v_cmp_eq_u64_e32 vcc_lo, v[2:3], v[4:5]
	v_dual_mov_b32 v5, v3 :: v_dual_mov_b32 v4, v2
	s_or_b32 s25, vcc_lo, s25
	s_delay_alu instid0(SALU_CYCLE_1)
	s_and_not1_b32 exec_lo, exec_lo, s25
	s_cbranch_execnz .LBB95_100
; %bb.101:
	s_or_b32 exec_lo, exec_lo, s25
                                        ; implicit-def: $vgpr2_vgpr3
.LBB95_102:
	s_and_not1_saveexec_b32 s0, s0
	s_cbranch_execz .LBB95_106
; %bb.103:
	v_add_co_u32 v2, vcc_lo, s14, v2
	v_add_co_ci_u32_e32 v3, vcc_lo, s15, v3, vcc_lo
	ds_load_b64 v[4:5], v18 offset:2048
	s_mov_b32 s0, 0
	global_load_b64 v[2:3], v[2:3], off
	s_waitcnt vmcnt(0) lgkmcnt(0)
	v_mul_f64 v[2:3], v[4:5], v[2:3]
	v_subrev_nc_u32_e32 v4, s12, v12
	s_delay_alu instid0(VALU_DEP_1)
	v_lshl_add_u32 v14, v4, 3, 0x2000
	ds_load_b64 v[4:5], v14
.LBB95_104:                             ; =>This Inner Loop Header: Depth=1
	s_waitcnt lgkmcnt(0)
	v_add_f64 v[15:16], v[4:5], v[2:3]
	ds_cmpstore_rtn_b64 v[15:16], v14, v[15:16], v[4:5]
	s_waitcnt lgkmcnt(0)
	v_cmp_eq_u64_e32 vcc_lo, v[15:16], v[4:5]
	v_dual_mov_b32 v4, v15 :: v_dual_mov_b32 v5, v16
	s_or_b32 s0, vcc_lo, s0
	s_delay_alu instid0(SALU_CYCLE_1)
	s_and_not1_b32 exec_lo, exec_lo, s0
	s_cbranch_execnz .LBB95_104
; %bb.105:
	s_or_b32 exec_lo, exec_lo, s0
.LBB95_106:
	s_delay_alu instid0(SALU_CYCLE_1)
	s_or_b32 exec_lo, exec_lo, s7
	v_lshlrev_b64 v[2:3], 3, v[12:13]
	ds_load_b64 v[4:5], v18 offset:2048
	v_dual_mov_b32 v12, s30 :: v_dual_mov_b32 v13, s31
	v_add_co_u32 v2, vcc_lo, s14, v2
	v_add_co_ci_u32_e32 v3, vcc_lo, s15, v3, vcc_lo
	v_cmp_ne_u32_e32 vcc_lo, 1, v19
	global_load_b64 v[2:3], v[2:3], off
	s_and_b32 vcc_lo, exec_lo, vcc_lo
	s_waitcnt vmcnt(0) lgkmcnt(0)
	v_mul_f64 v[14:15], v[2:3], v[4:5]
	v_add_co_u32 v2, s0, 0x200, v6
	s_delay_alu instid0(VALU_DEP_1)
	v_add_co_ci_u32_e64 v3, s0, 0, v7, s0
	v_dual_mov_b32 v4, s16 :: v_dual_mov_b32 v5, s17
	ds_store_b64 v18, v[14:15] offset:2048
	s_cbranch_vccnz .LBB95_110
; %bb.107:
	v_dual_mov_b32 v4, s16 :: v_dual_mov_b32 v5, s17
	v_dual_mov_b32 v12, s30 :: v_dual_mov_b32 v13, s31
	s_mov_b32 s7, 0
	s_set_inst_prefetch_distance 0x1
	.p2align	6
.LBB95_108:                             ; =>This Inner Loop Header: Depth=1
	s_delay_alu instid0(VALU_DEP_1) | instskip(NEXT) | instid1(VALU_DEP_2)
	v_add_co_u32 v6, vcc_lo, v12, v4
	v_add_co_ci_u32_e32 v7, vcc_lo, v13, v5, vcc_lo
	s_delay_alu instid0(VALU_DEP_1) | instskip(NEXT) | instid1(VALU_DEP_1)
	v_lshrrev_b32_e32 v14, 31, v7
	v_add_co_u32 v6, vcc_lo, v6, v14
	v_add_co_ci_u32_e32 v7, vcc_lo, 0, v7, vcc_lo
	s_delay_alu instid0(VALU_DEP_1) | instskip(NEXT) | instid1(VALU_DEP_1)
	v_ashrrev_i64 v[6:7], 1, v[6:7]
	v_lshlrev_b64 v[14:15], 3, v[6:7]
	s_delay_alu instid0(VALU_DEP_1) | instskip(NEXT) | instid1(VALU_DEP_2)
	v_add_co_u32 v14, vcc_lo, s8, v14
	v_add_co_ci_u32_e32 v15, vcc_lo, s9, v15, vcc_lo
	global_load_b64 v[14:15], v[14:15], off
	s_waitcnt vmcnt(0)
	v_sub_co_u32 v14, vcc_lo, v14, s24
	v_subrev_co_ci_u32_e32 v15, vcc_lo, 0, v15, vcc_lo
	s_delay_alu instid0(VALU_DEP_1) | instskip(SKIP_2) | instid1(VALU_DEP_2)
	v_cmp_gt_i64_e32 vcc_lo, v[14:15], v[2:3]
	v_dual_cndmask_b32 v13, v13, v7 :: v_dual_cndmask_b32 v12, v12, v6
	v_dual_cndmask_b32 v5, v7, v5 :: v_dual_cndmask_b32 v4, v6, v4
	v_add_co_u32 v6, vcc_lo, v12, -1
	s_delay_alu instid0(VALU_DEP_3) | instskip(NEXT) | instid1(VALU_DEP_3)
	v_add_co_ci_u32_e32 v7, vcc_lo, -1, v13, vcc_lo
	v_cmp_ge_i64_e32 vcc_lo, v[4:5], v[12:13]
	s_delay_alu instid0(VALU_DEP_2) | instskip(NEXT) | instid1(VALU_DEP_1)
	v_cmp_eq_u64_e64 s0, v[4:5], v[6:7]
	s_or_b32 s0, vcc_lo, s0
	s_delay_alu instid0(SALU_CYCLE_1) | instskip(NEXT) | instid1(SALU_CYCLE_1)
	s_and_b32 s0, exec_lo, s0
	s_or_b32 s7, s0, s7
	s_delay_alu instid0(SALU_CYCLE_1)
	s_and_not1_b32 exec_lo, exec_lo, s7
	s_cbranch_execnz .LBB95_108
; %bb.109:
	s_set_inst_prefetch_distance 0x2
	s_or_b32 exec_lo, exec_lo, s7
.LBB95_110:
	v_lshlrev_b64 v[6:7], 3, v[12:13]
	s_mov_b32 s7, exec_lo
	s_delay_alu instid0(VALU_DEP_1) | instskip(NEXT) | instid1(VALU_DEP_2)
	v_add_co_u32 v6, vcc_lo, s8, v6
	v_add_co_ci_u32_e32 v7, vcc_lo, s9, v7, vcc_lo
	global_load_b64 v[6:7], v[6:7], off
	global_load_b32 v14, v[10:11], off offset:2048
	s_waitcnt vmcnt(1)
	v_sub_co_u32 v6, vcc_lo, v6, s24
	v_subrev_co_ci_u32_e32 v7, vcc_lo, 0, v7, vcc_lo
	s_delay_alu instid0(VALU_DEP_1) | instskip(SKIP_2) | instid1(VALU_DEP_1)
	v_cmp_gt_i64_e32 vcc_lo, v[6:7], v[2:3]
	s_waitcnt vmcnt(0)
	v_subrev_nc_u32_e32 v6, s24, v14
	v_ashrrev_i32_e32 v7, 31, v6
	v_dual_cndmask_b32 v5, v13, v5 :: v_dual_cndmask_b32 v4, v12, v4
	s_delay_alu instid0(VALU_DEP_1)
	v_cmpx_ne_u64_e64 v[4:5], v[6:7]
	s_cbranch_execz .LBB95_120
; %bb.111:
	s_load_b64 s[34:35], s[10:11], 0x0
	s_waitcnt lgkmcnt(0)
	s_sub_u32 s34, s34, s24
	s_subb_u32 s35, s35, 0
	s_delay_alu instid0(SALU_CYCLE_1)
	v_cmp_gt_i64_e32 vcc_lo, s[34:35], v[2:3]
	s_and_b32 exec_lo, exec_lo, vcc_lo
	s_cbranch_execz .LBB95_120
; %bb.112:
	v_cmp_gt_i64_e32 vcc_lo, s[12:13], v[6:7]
	v_cmp_le_i64_e64 s0, s[18:19], v[6:7]
	v_lshlrev_b64 v[2:3], 3, v[4:5]
	s_delay_alu instid0(VALU_DEP_2) | instskip(NEXT) | instid1(SALU_CYCLE_1)
	s_or_b32 s0, vcc_lo, s0
	s_and_saveexec_b32 s25, s0
	s_delay_alu instid0(SALU_CYCLE_1)
	s_xor_b32 s0, exec_lo, s25
	s_cbranch_execz .LBB95_116
; %bb.113:
	s_delay_alu instid0(VALU_DEP_1)
	v_add_co_u32 v2, vcc_lo, s14, v2
	v_add_co_ci_u32_e32 v3, vcc_lo, s15, v3, vcc_lo
	v_lshlrev_b64 v[4:5], 3, v[6:7]
	ds_load_b64 v[14:15], v18 offset:4096
	s_mov_b32 s25, 0
	global_load_b64 v[2:3], v[2:3], off
	v_add_co_u32 v12, vcc_lo, s20, v4
	v_add_co_ci_u32_e32 v13, vcc_lo, s21, v5, vcc_lo
	global_load_b64 v[4:5], v[12:13], off
	s_waitcnt vmcnt(1) lgkmcnt(0)
	v_mul_f64 v[14:15], v[14:15], v[2:3]
.LBB95_114:                             ; =>This Inner Loop Header: Depth=1
	s_waitcnt vmcnt(0)
	s_delay_alu instid0(VALU_DEP_1)
	v_add_f64 v[2:3], v[4:5], v[14:15]
	global_atomic_cmpswap_b64 v[2:3], v[12:13], v[2:5], off glc
	s_waitcnt vmcnt(0)
	v_cmp_eq_u64_e32 vcc_lo, v[2:3], v[4:5]
	v_dual_mov_b32 v5, v3 :: v_dual_mov_b32 v4, v2
	s_or_b32 s25, vcc_lo, s25
	s_delay_alu instid0(SALU_CYCLE_1)
	s_and_not1_b32 exec_lo, exec_lo, s25
	s_cbranch_execnz .LBB95_114
; %bb.115:
	s_or_b32 exec_lo, exec_lo, s25
                                        ; implicit-def: $vgpr2_vgpr3
.LBB95_116:
	s_and_not1_saveexec_b32 s0, s0
	s_cbranch_execz .LBB95_120
; %bb.117:
	v_add_co_u32 v2, vcc_lo, s14, v2
	v_add_co_ci_u32_e32 v3, vcc_lo, s15, v3, vcc_lo
	ds_load_b64 v[4:5], v18 offset:4096
	s_mov_b32 s0, 0
	global_load_b64 v[2:3], v[2:3], off
	s_waitcnt vmcnt(0) lgkmcnt(0)
	v_mul_f64 v[2:3], v[4:5], v[2:3]
	v_subrev_nc_u32_e32 v4, s12, v6
	s_delay_alu instid0(VALU_DEP_1)
	v_lshl_add_u32 v12, v4, 3, 0x2000
	ds_load_b64 v[4:5], v12
.LBB95_118:                             ; =>This Inner Loop Header: Depth=1
	s_waitcnt lgkmcnt(0)
	v_add_f64 v[13:14], v[4:5], v[2:3]
	ds_cmpstore_rtn_b64 v[13:14], v12, v[13:14], v[4:5]
	s_waitcnt lgkmcnt(0)
	v_cmp_eq_u64_e32 vcc_lo, v[13:14], v[4:5]
	v_dual_mov_b32 v4, v13 :: v_dual_mov_b32 v5, v14
	s_or_b32 s0, vcc_lo, s0
	s_delay_alu instid0(SALU_CYCLE_1)
	s_and_not1_b32 exec_lo, exec_lo, s0
	s_cbranch_execnz .LBB95_118
; %bb.119:
	s_or_b32 exec_lo, exec_lo, s0
.LBB95_120:
	s_delay_alu instid0(SALU_CYCLE_1)
	s_or_b32 exec_lo, exec_lo, s7
	v_lshlrev_b64 v[2:3], 3, v[6:7]
	ds_load_b64 v[4:5], v18 offset:4096
	v_add_co_u32 v2, vcc_lo, s14, v2
	v_add_co_ci_u32_e32 v3, vcc_lo, s15, v3, vcc_lo
	v_cmp_ne_u32_e32 vcc_lo, 1, v19
	global_load_b64 v[2:3], v[2:3], off
	s_and_b32 vcc_lo, exec_lo, vcc_lo
	s_waitcnt vmcnt(0) lgkmcnt(0)
	v_mul_f64 v[6:7], v[2:3], v[4:5]
	v_dual_mov_b32 v2, s16 :: v_dual_mov_b32 v3, s17
	v_dual_mov_b32 v4, s30 :: v_dual_mov_b32 v5, s31
	ds_store_b64 v18, v[6:7] offset:4096
	s_cbranch_vccnz .LBB95_124
; %bb.121:
	v_dual_mov_b32 v2, s16 :: v_dual_mov_b32 v3, s17
	v_dual_mov_b32 v4, s30 :: v_dual_mov_b32 v5, s31
	s_mov_b32 s7, 0
	s_set_inst_prefetch_distance 0x1
	.p2align	6
.LBB95_122:                             ; =>This Inner Loop Header: Depth=1
	s_delay_alu instid0(VALU_DEP_1) | instskip(NEXT) | instid1(VALU_DEP_2)
	v_add_co_u32 v6, vcc_lo, v4, v2
	v_add_co_ci_u32_e32 v7, vcc_lo, v5, v3, vcc_lo
	s_delay_alu instid0(VALU_DEP_1) | instskip(NEXT) | instid1(VALU_DEP_1)
	v_lshrrev_b32_e32 v12, 31, v7
	v_add_co_u32 v6, vcc_lo, v6, v12
	v_add_co_ci_u32_e32 v7, vcc_lo, 0, v7, vcc_lo
	s_delay_alu instid0(VALU_DEP_1) | instskip(NEXT) | instid1(VALU_DEP_1)
	v_ashrrev_i64 v[6:7], 1, v[6:7]
	v_lshlrev_b64 v[12:13], 3, v[6:7]
	s_delay_alu instid0(VALU_DEP_1) | instskip(NEXT) | instid1(VALU_DEP_2)
	v_add_co_u32 v12, vcc_lo, s8, v12
	v_add_co_ci_u32_e32 v13, vcc_lo, s9, v13, vcc_lo
	global_load_b64 v[12:13], v[12:13], off
	s_waitcnt vmcnt(0)
	v_sub_co_u32 v12, vcc_lo, v12, s24
	v_subrev_co_ci_u32_e32 v13, vcc_lo, 0, v13, vcc_lo
	s_delay_alu instid0(VALU_DEP_1) | instskip(SKIP_2) | instid1(VALU_DEP_2)
	v_cmp_gt_i64_e32 vcc_lo, v[12:13], v[8:9]
	v_dual_cndmask_b32 v5, v5, v7 :: v_dual_cndmask_b32 v4, v4, v6
	v_dual_cndmask_b32 v3, v7, v3 :: v_dual_cndmask_b32 v2, v6, v2
	v_add_co_u32 v6, vcc_lo, v4, -1
	s_delay_alu instid0(VALU_DEP_3) | instskip(NEXT) | instid1(VALU_DEP_3)
	v_add_co_ci_u32_e32 v7, vcc_lo, -1, v5, vcc_lo
	v_cmp_ge_i64_e32 vcc_lo, v[2:3], v[4:5]
	s_delay_alu instid0(VALU_DEP_2) | instskip(NEXT) | instid1(VALU_DEP_1)
	v_cmp_eq_u64_e64 s0, v[2:3], v[6:7]
	s_or_b32 s0, vcc_lo, s0
	s_delay_alu instid0(SALU_CYCLE_1) | instskip(NEXT) | instid1(SALU_CYCLE_1)
	s_and_b32 s0, exec_lo, s0
	s_or_b32 s7, s0, s7
	s_delay_alu instid0(SALU_CYCLE_1)
	s_and_not1_b32 exec_lo, exec_lo, s7
	s_cbranch_execnz .LBB95_122
; %bb.123:
	s_set_inst_prefetch_distance 0x2
	s_or_b32 exec_lo, exec_lo, s7
.LBB95_124:
	v_lshlrev_b64 v[6:7], 3, v[4:5]
	s_mov_b32 s7, exec_lo
	s_delay_alu instid0(VALU_DEP_1) | instskip(NEXT) | instid1(VALU_DEP_2)
	v_add_co_u32 v6, vcc_lo, s8, v6
	v_add_co_ci_u32_e32 v7, vcc_lo, s9, v7, vcc_lo
	global_load_b64 v[6:7], v[6:7], off
	global_load_b32 v10, v[10:11], off offset:3072
	s_waitcnt vmcnt(1)
	v_sub_co_u32 v6, vcc_lo, v6, s24
	v_subrev_co_ci_u32_e32 v7, vcc_lo, 0, v7, vcc_lo
	s_delay_alu instid0(VALU_DEP_1) | instskip(SKIP_2) | instid1(VALU_DEP_1)
	v_cmp_gt_i64_e32 vcc_lo, v[6:7], v[8:9]
	s_waitcnt vmcnt(0)
	v_subrev_nc_u32_e32 v6, s24, v10
	v_ashrrev_i32_e32 v7, 31, v6
	v_dual_cndmask_b32 v3, v5, v3 :: v_dual_cndmask_b32 v2, v4, v2
	s_delay_alu instid0(VALU_DEP_1)
	v_cmpx_ne_u64_e64 v[2:3], v[6:7]
	s_cbranch_execz .LBB95_134
; %bb.125:
	s_load_b64 s[10:11], s[10:11], 0x0
	s_waitcnt lgkmcnt(0)
	s_sub_u32 s10, s10, s24
	s_subb_u32 s11, s11, 0
	s_delay_alu instid0(SALU_CYCLE_1)
	v_cmp_gt_i64_e32 vcc_lo, s[10:11], v[8:9]
	s_and_b32 exec_lo, exec_lo, vcc_lo
	s_cbranch_execz .LBB95_134
; %bb.126:
	v_cmp_gt_i64_e32 vcc_lo, s[12:13], v[6:7]
	v_cmp_le_i64_e64 s0, s[18:19], v[6:7]
	v_lshlrev_b64 v[2:3], 3, v[2:3]
	s_delay_alu instid0(VALU_DEP_2) | instskip(NEXT) | instid1(SALU_CYCLE_1)
	s_or_b32 s0, vcc_lo, s0
	s_and_saveexec_b32 s10, s0
	s_delay_alu instid0(SALU_CYCLE_1)
	s_xor_b32 s0, exec_lo, s10
	s_cbranch_execz .LBB95_130
; %bb.127:
	s_delay_alu instid0(VALU_DEP_1)
	v_add_co_u32 v2, vcc_lo, s14, v2
	v_add_co_ci_u32_e32 v3, vcc_lo, s15, v3, vcc_lo
	v_lshlrev_b64 v[4:5], 3, v[6:7]
	ds_load_b64 v[10:11], v18 offset:6144
	s_mov_b32 s10, 0
	global_load_b64 v[2:3], v[2:3], off
	v_add_co_u32 v8, vcc_lo, s20, v4
	v_add_co_ci_u32_e32 v9, vcc_lo, s21, v5, vcc_lo
	global_load_b64 v[4:5], v[8:9], off
	s_waitcnt vmcnt(1) lgkmcnt(0)
	v_mul_f64 v[10:11], v[10:11], v[2:3]
.LBB95_128:                             ; =>This Inner Loop Header: Depth=1
	s_waitcnt vmcnt(0)
	s_delay_alu instid0(VALU_DEP_1)
	v_add_f64 v[2:3], v[4:5], v[10:11]
	global_atomic_cmpswap_b64 v[2:3], v[8:9], v[2:5], off glc
	s_waitcnt vmcnt(0)
	v_cmp_eq_u64_e32 vcc_lo, v[2:3], v[4:5]
	v_dual_mov_b32 v5, v3 :: v_dual_mov_b32 v4, v2
	s_or_b32 s10, vcc_lo, s10
	s_delay_alu instid0(SALU_CYCLE_1)
	s_and_not1_b32 exec_lo, exec_lo, s10
	s_cbranch_execnz .LBB95_128
; %bb.129:
	s_or_b32 exec_lo, exec_lo, s10
                                        ; implicit-def: $vgpr2_vgpr3
.LBB95_130:
	s_and_not1_saveexec_b32 s0, s0
	s_cbranch_execz .LBB95_134
; %bb.131:
	v_add_co_u32 v2, vcc_lo, s14, v2
	v_add_co_ci_u32_e32 v3, vcc_lo, s15, v3, vcc_lo
	ds_load_b64 v[4:5], v18 offset:6144
	s_mov_b32 s0, 0
	global_load_b64 v[2:3], v[2:3], off
	s_waitcnt vmcnt(0) lgkmcnt(0)
	v_mul_f64 v[2:3], v[4:5], v[2:3]
	v_subrev_nc_u32_e32 v4, s12, v6
	s_delay_alu instid0(VALU_DEP_1)
	v_lshl_add_u32 v8, v4, 3, 0x2000
	ds_load_b64 v[4:5], v8
.LBB95_132:                             ; =>This Inner Loop Header: Depth=1
	s_waitcnt lgkmcnt(0)
	v_add_f64 v[9:10], v[4:5], v[2:3]
	ds_cmpstore_rtn_b64 v[9:10], v8, v[9:10], v[4:5]
	s_waitcnt lgkmcnt(0)
	v_cmp_eq_u64_e32 vcc_lo, v[9:10], v[4:5]
	v_dual_mov_b32 v4, v9 :: v_dual_mov_b32 v5, v10
	s_or_b32 s0, vcc_lo, s0
	s_delay_alu instid0(SALU_CYCLE_1)
	s_and_not1_b32 exec_lo, exec_lo, s0
	s_cbranch_execnz .LBB95_132
; %bb.133:
	s_or_b32 exec_lo, exec_lo, s0
.LBB95_134:
	s_delay_alu instid0(SALU_CYCLE_1)
	s_or_b32 exec_lo, exec_lo, s7
	v_lshlrev_b64 v[2:3], 3, v[6:7]
	ds_load_b64 v[4:5], v18 offset:6144
	v_add_co_u32 v2, vcc_lo, s14, v2
	v_add_co_ci_u32_e32 v3, vcc_lo, s15, v3, vcc_lo
	global_load_b64 v[2:3], v[2:3], off
	s_waitcnt vmcnt(0) lgkmcnt(0)
	v_mul_f64 v[2:3], v[2:3], v[4:5]
	ds_store_b64 v18, v[2:3] offset:6144
.LBB95_135:
	s_or_b32 exec_lo, exec_lo, s1
	v_cmp_lt_i64_e64 s0, s[18:19], s[2:3]
	s_waitcnt lgkmcnt(0)
	s_barrier
	buffer_gl0_inv
	s_and_b32 s0, s0, exec_lo
	s_cselect_b32 s1, s18, s2
	s_cselect_b32 s0, s19, s3
	s_sub_u32 s2, s1, s22
	s_subb_u32 s3, s0, s23
	s_mov_b32 s0, exec_lo
	v_cmpx_gt_i64_e64 s[2:3], v[0:1]
	s_cbranch_execz .LBB95_140
; %bb.136:
	s_lshl_b64 s[10:11], s[12:13], 3
	v_dual_mov_b32 v7, v1 :: v_dual_mov_b32 v6, v0
	s_add_u32 s7, s20, s10
	s_addc_u32 s10, s21, s11
	s_mov_b32 s11, 0
	.p2align	6
.LBB95_137:                             ; =>This Loop Header: Depth=1
                                        ;     Child Loop BB95_138 Depth 2
	s_delay_alu instid0(VALU_DEP_1) | instskip(SKIP_1) | instid1(VALU_DEP_1)
	v_lshlrev_b64 v[2:3], 3, v[6:7]
	s_mov_b32 s12, 0
	v_add_co_u32 v8, vcc_lo, s7, v2
	s_delay_alu instid0(VALU_DEP_2)
	v_add_co_ci_u32_e32 v9, vcc_lo, s10, v3, vcc_lo
	v_lshl_add_u32 v2, v6, 3, 0x2000
	global_load_b64 v[4:5], v[8:9], off
	ds_load_b64 v[10:11], v2
.LBB95_138:                             ;   Parent Loop BB95_137 Depth=1
                                        ; =>  This Inner Loop Header: Depth=2
	s_waitcnt vmcnt(0) lgkmcnt(0)
	v_add_f64 v[2:3], v[4:5], v[10:11]
	global_atomic_cmpswap_b64 v[2:3], v[8:9], v[2:5], off glc
	s_waitcnt vmcnt(0)
	v_cmp_eq_u64_e32 vcc_lo, v[2:3], v[4:5]
	v_dual_mov_b32 v5, v3 :: v_dual_mov_b32 v4, v2
	s_or_b32 s12, vcc_lo, s12
	s_delay_alu instid0(SALU_CYCLE_1)
	s_and_not1_b32 exec_lo, exec_lo, s12
	s_cbranch_execnz .LBB95_138
; %bb.139:                              ;   in Loop: Header=BB95_137 Depth=1
	s_or_b32 exec_lo, exec_lo, s12
	v_add_co_u32 v6, vcc_lo, 0x100, v6
	v_add_co_ci_u32_e32 v7, vcc_lo, 0, v7, vcc_lo
	s_delay_alu instid0(VALU_DEP_1) | instskip(SKIP_1) | instid1(SALU_CYCLE_1)
	v_cmp_le_i64_e32 vcc_lo, s[2:3], v[6:7]
	s_or_b32 s11, vcc_lo, s11
	s_and_not1_b32 exec_lo, exec_lo, s11
	s_cbranch_execnz .LBB95_137
.LBB95_140:
	s_or_b32 exec_lo, exec_lo, s0
	s_add_i32 s0, s28, -1
	v_add_co_u32 v6, s10, s16, v0
	s_ashr_i32 s3, s0, 1
	v_add_co_ci_u32_e64 v7, null, s17, 0, s10
	s_or_b32 s0, s3, s0
	s_delay_alu instid0(SALU_CYCLE_1) | instskip(SKIP_4) | instid1(SALU_CYCLE_1)
	s_ashr_i32 s3, s0, 2
	s_barrier
	s_or_b32 s0, s3, s0
	buffer_gl0_inv
	s_ashr_i32 s3, s0, 4
	s_or_b32 s0, s3, s0
	s_delay_alu instid0(SALU_CYCLE_1) | instskip(NEXT) | instid1(SALU_CYCLE_1)
	s_ashr_i32 s3, s0, 8
	s_or_b32 s0, s3, s0
	s_delay_alu instid0(SALU_CYCLE_1) | instskip(NEXT) | instid1(SALU_CYCLE_1)
	s_ashr_i32 s3, s0, 16
	s_or_b32 s3, s3, s0
	s_mov_b32 s0, -1
	s_add_i32 s3, s3, 1
	s_delay_alu instid0(SALU_CYCLE_1) | instskip(NEXT) | instid1(SALU_CYCLE_1)
	s_ashr_i32 s7, s3, 1
	s_cmp_gt_i32 s7, 1
	s_cbranch_scc1 .LBB95_151
; %bb.141:
	s_mov_b32 s0, exec_lo
	v_cmpx_gt_i64_e64 s[18:19], v[6:7]
	s_cbranch_execz .LBB95_150
; %bb.142:
	s_sub_i32 s1, s1, s18
	v_dual_mov_b32 v9, v7 :: v_dual_mov_b32 v8, v6
	s_lshl_b32 s11, s4, 3
	s_lshl_b32 s1, s1, 3
	s_mov_b32 s10, 0
	s_addk_i32 s1, 0x2000
	s_sub_i32 s11, 0, s11
.LBB95_143:                             ; =>This Loop Header: Depth=1
                                        ;     Child Loop BB95_145 Depth 2
                                        ;     Child Loop BB95_148 Depth 2
	v_lshlrev_b64 v[10:11], 3, v[8:9]
	v_mov_b32_e32 v12, 0
	v_mov_b32_e32 v13, 0
	s_mov_b32 s12, exec_lo
	s_delay_alu instid0(VALU_DEP_3) | instskip(NEXT) | instid1(VALU_DEP_4)
	v_add_co_u32 v2, vcc_lo, s8, v10
	v_add_co_ci_u32_e32 v3, vcc_lo, s9, v11, vcc_lo
	global_load_b128 v[2:5], v[2:3], off
	s_waitcnt vmcnt(0)
	v_cmpx_lt_i64_e64 v[2:3], v[4:5]
	s_cbranch_execz .LBB95_147
; %bb.144:                              ;   in Loop: Header=BB95_143 Depth=1
	v_sub_co_u32 v4, vcc_lo, v4, s4
	v_subrev_co_ci_u32_e32 v5, vcc_lo, s5, v5, vcc_lo
	v_sub_co_u32 v14, vcc_lo, v2, s4
	v_mov_b32_e32 v12, 0
	v_subrev_co_ci_u32_e32 v15, vcc_lo, s5, v3, vcc_lo
	v_mov_b32_e32 v13, 0
	v_lshl_add_u32 v2, v2, 3, s11
	s_mov_b32 s13, 0
.LBB95_145:                             ;   Parent Loop BB95_143 Depth=1
                                        ; =>  This Inner Loop Header: Depth=2
	ds_load_b64 v[16:17], v2
	v_add_co_u32 v14, vcc_lo, v14, 1
	v_add_co_ci_u32_e32 v15, vcc_lo, 0, v15, vcc_lo
	v_add_nc_u32_e32 v2, 8, v2
	s_delay_alu instid0(VALU_DEP_2)
	v_cmp_ge_i64_e32 vcc_lo, v[14:15], v[4:5]
	s_or_b32 s13, vcc_lo, s13
	s_waitcnt lgkmcnt(0)
	v_add_f64 v[12:13], v[12:13], v[16:17]
	s_and_not1_b32 exec_lo, exec_lo, s13
	s_cbranch_execnz .LBB95_145
; %bb.146:                              ;   in Loop: Header=BB95_143 Depth=1
	s_or_b32 exec_lo, exec_lo, s13
.LBB95_147:                             ;   in Loop: Header=BB95_143 Depth=1
	s_delay_alu instid0(SALU_CYCLE_1)
	s_or_b32 exec_lo, exec_lo, s12
	v_add_co_u32 v10, vcc_lo, s20, v10
	v_add_co_ci_u32_e32 v11, vcc_lo, s21, v11, vcc_lo
	v_lshl_add_u32 v2, v8, 3, s1
	s_mov_b32 s12, 0
	global_load_b64 v[4:5], v[10:11], off
	ds_load_b64 v[2:3], v2
	s_waitcnt lgkmcnt(0)
	v_add_f64 v[12:13], v[12:13], v[2:3]
.LBB95_148:                             ;   Parent Loop BB95_143 Depth=1
                                        ; =>  This Inner Loop Header: Depth=2
	s_waitcnt vmcnt(0)
	s_delay_alu instid0(VALU_DEP_1)
	v_add_f64 v[2:3], v[4:5], v[12:13]
	global_atomic_cmpswap_b64 v[2:3], v[10:11], v[2:5], off glc
	s_waitcnt vmcnt(0)
	v_cmp_eq_u64_e32 vcc_lo, v[2:3], v[4:5]
	v_dual_mov_b32 v5, v3 :: v_dual_mov_b32 v4, v2
	s_or_b32 s12, vcc_lo, s12
	s_delay_alu instid0(SALU_CYCLE_1)
	s_and_not1_b32 exec_lo, exec_lo, s12
	s_cbranch_execnz .LBB95_148
; %bb.149:                              ;   in Loop: Header=BB95_143 Depth=1
	s_or_b32 exec_lo, exec_lo, s12
	v_add_co_u32 v8, vcc_lo, v8, s6
	v_add_co_ci_u32_e32 v9, vcc_lo, 0, v9, vcc_lo
	s_delay_alu instid0(VALU_DEP_1) | instskip(SKIP_1) | instid1(SALU_CYCLE_1)
	v_cmp_le_i64_e32 vcc_lo, s[18:19], v[8:9]
	s_or_b32 s10, vcc_lo, s10
	s_and_not1_b32 exec_lo, exec_lo, s10
	s_cbranch_execnz .LBB95_143
.LBB95_150:
	s_or_b32 exec_lo, exec_lo, s0
	s_mov_b32 s0, 0
.LBB95_151:
	s_delay_alu instid0(SALU_CYCLE_1)
	s_and_not1_b32 vcc_lo, exec_lo, s0
	s_cbranch_vccnz .LBB95_180
; %bb.152:
	v_cvt_f32_u32_e32 v13, s7
	s_sub_i32 s1, 0, s7
	v_mov_b32_e32 v11, 0
	s_delay_alu instid0(VALU_DEP_2) | instskip(SKIP_2) | instid1(VALU_DEP_1)
	v_rcp_iflag_f32_e32 v2, v13
	s_waitcnt_depctr 0xfff
	v_mul_f32_e32 v2, 0x4f7ffffe, v2
	v_cvt_u32_f32_e32 v2, v2
	s_delay_alu instid0(VALU_DEP_1) | instskip(NEXT) | instid1(VALU_DEP_1)
	v_mul_lo_u32 v3, s1, v2
	v_mul_hi_u32 v3, v2, v3
	s_delay_alu instid0(VALU_DEP_1) | instskip(NEXT) | instid1(VALU_DEP_1)
	v_add_nc_u32_e32 v2, v2, v3
	v_mul_hi_u32 v2, v0, v2
	s_delay_alu instid0(VALU_DEP_1) | instskip(SKIP_1) | instid1(VALU_DEP_2)
	v_mul_lo_u32 v3, v2, s7
	v_add_nc_u32_e32 v4, 1, v2
	v_sub_nc_u32_e32 v3, v0, v3
	s_delay_alu instid0(VALU_DEP_1) | instskip(SKIP_1) | instid1(VALU_DEP_2)
	v_subrev_nc_u32_e32 v5, s7, v3
	v_cmp_le_u32_e32 vcc_lo, s7, v3
	v_dual_cndmask_b32 v2, v2, v4 :: v_dual_cndmask_b32 v3, v3, v5
	s_delay_alu instid0(VALU_DEP_1) | instskip(NEXT) | instid1(VALU_DEP_2)
	v_add_nc_u32_e32 v4, 1, v2
	v_cmp_le_u32_e32 vcc_lo, s7, v3
	s_delay_alu instid0(VALU_DEP_2) | instskip(NEXT) | instid1(VALU_DEP_1)
	v_cndmask_b32_e32 v10, v2, v4, vcc_lo
	v_lshlrev_b64 v[2:3], 3, v[10:11]
	s_delay_alu instid0(VALU_DEP_1) | instskip(NEXT) | instid1(VALU_DEP_2)
	v_add_co_u32 v2, vcc_lo, s26, v2
	v_add_co_ci_u32_e32 v3, vcc_lo, s27, v3, vcc_lo
	global_load_b128 v[2:5], v[2:3], off
	s_waitcnt vmcnt(0)
	v_sub_co_u32 v8, vcc_lo, v2, s4
	v_subrev_co_ci_u32_e32 v9, vcc_lo, s5, v3, vcc_lo
	v_sub_co_u32 v16, vcc_lo, v4, s4
	v_subrev_co_ci_u32_e32 v17, vcc_lo, s5, v5, vcc_lo
	v_mov_b32_e32 v4, v11
	s_delay_alu instid0(VALU_DEP_3) | instskip(NEXT) | instid1(VALU_DEP_3)
	v_sub_co_u32 v12, vcc_lo, v16, v8
	v_sub_co_ci_u32_e32 v5, vcc_lo, v17, v9, vcc_lo
	s_delay_alu instid0(VALU_DEP_1) | instskip(SKIP_1) | instid1(SALU_CYCLE_1)
	v_cmp_ne_u64_e32 vcc_lo, 0, v[4:5]
                                        ; implicit-def: $vgpr3_vgpr4
	s_and_saveexec_b32 s0, vcc_lo
	s_xor_b32 s5, exec_lo, s0
	s_cbranch_execz .LBB95_154
; %bb.153:
	v_cvt_f32_ubyte0_e32 v3, 0
	s_sub_u32 s0, 0, s7
	s_subb_u32 s6, 0, 0
	s_delay_alu instid0(VALU_DEP_1) | instskip(NEXT) | instid1(VALU_DEP_1)
	v_fmamk_f32 v3, v3, 0x4f800000, v13
	v_rcp_f32_e32 v3, v3
	s_waitcnt_depctr 0xfff
	v_mul_f32_e32 v3, 0x5f7ffffc, v3
	s_delay_alu instid0(VALU_DEP_1) | instskip(NEXT) | instid1(VALU_DEP_1)
	v_mul_f32_e32 v4, 0x2f800000, v3
	v_trunc_f32_e32 v4, v4
	s_delay_alu instid0(VALU_DEP_1) | instskip(SKIP_1) | instid1(VALU_DEP_2)
	v_fmamk_f32 v3, v4, 0xcf800000, v3
	v_cvt_u32_f32_e32 v4, v4
	v_cvt_u32_f32_e32 v3, v3
	s_delay_alu instid0(VALU_DEP_2) | instskip(NEXT) | instid1(VALU_DEP_2)
	v_mul_lo_u32 v13, s0, v4
	v_mul_hi_u32 v14, s0, v3
	v_mul_lo_u32 v15, s6, v3
	s_delay_alu instid0(VALU_DEP_2) | instskip(SKIP_1) | instid1(VALU_DEP_2)
	v_add_nc_u32_e32 v13, v14, v13
	v_mul_lo_u32 v14, s0, v3
	v_add_nc_u32_e32 v13, v13, v15
	s_delay_alu instid0(VALU_DEP_2) | instskip(NEXT) | instid1(VALU_DEP_2)
	v_mul_hi_u32 v15, v3, v14
	v_mul_lo_u32 v19, v3, v13
	v_mul_hi_u32 v20, v3, v13
	v_mul_hi_u32 v21, v4, v14
	v_mul_lo_u32 v14, v4, v14
	v_mul_hi_u32 v22, v4, v13
	v_mul_lo_u32 v13, v4, v13
	v_add_co_u32 v15, vcc_lo, v15, v19
	v_add_co_ci_u32_e32 v19, vcc_lo, 0, v20, vcc_lo
	s_delay_alu instid0(VALU_DEP_2) | instskip(NEXT) | instid1(VALU_DEP_2)
	v_add_co_u32 v14, vcc_lo, v15, v14
	v_add_co_ci_u32_e32 v14, vcc_lo, v19, v21, vcc_lo
	v_add_co_ci_u32_e32 v15, vcc_lo, 0, v22, vcc_lo
	v_ashrrev_i32_e32 v21, 31, v5
	s_delay_alu instid0(VALU_DEP_3) | instskip(NEXT) | instid1(VALU_DEP_3)
	v_add_co_u32 v13, vcc_lo, v14, v13
	v_add_co_ci_u32_e32 v14, vcc_lo, 0, v15, vcc_lo
	s_delay_alu instid0(VALU_DEP_2) | instskip(NEXT) | instid1(VALU_DEP_2)
	v_add_co_u32 v3, vcc_lo, v3, v13
	v_add_co_ci_u32_e32 v4, vcc_lo, v4, v14, vcc_lo
	s_delay_alu instid0(VALU_DEP_2) | instskip(SKIP_1) | instid1(VALU_DEP_3)
	v_mul_hi_u32 v13, s0, v3
	v_mul_lo_u32 v15, s6, v3
	v_mul_lo_u32 v14, s0, v4
	s_delay_alu instid0(VALU_DEP_1) | instskip(SKIP_1) | instid1(VALU_DEP_2)
	v_add_nc_u32_e32 v13, v13, v14
	v_mul_lo_u32 v14, s0, v3
	v_add_nc_u32_e32 v13, v13, v15
	s_delay_alu instid0(VALU_DEP_2) | instskip(NEXT) | instid1(VALU_DEP_2)
	v_mul_hi_u32 v15, v3, v14
	v_mul_lo_u32 v19, v3, v13
	v_mul_hi_u32 v20, v3, v13
	v_mul_hi_u32 v22, v4, v14
	v_mul_lo_u32 v14, v4, v14
	v_mul_hi_u32 v23, v4, v13
	v_mul_lo_u32 v13, v4, v13
	v_add_co_u32 v15, vcc_lo, v15, v19
	v_add_co_ci_u32_e32 v19, vcc_lo, 0, v20, vcc_lo
	s_delay_alu instid0(VALU_DEP_2) | instskip(NEXT) | instid1(VALU_DEP_2)
	v_add_co_u32 v14, vcc_lo, v15, v14
	v_add_co_ci_u32_e32 v14, vcc_lo, v19, v22, vcc_lo
	v_add_co_ci_u32_e32 v15, vcc_lo, 0, v23, vcc_lo
	v_add_co_u32 v12, vcc_lo, v12, v21
	v_add_co_ci_u32_e32 v5, vcc_lo, v5, v21, vcc_lo
	s_delay_alu instid0(VALU_DEP_4) | instskip(NEXT) | instid1(VALU_DEP_4)
	v_add_co_u32 v13, vcc_lo, v14, v13
	v_add_co_ci_u32_e32 v14, vcc_lo, 0, v15, vcc_lo
	s_delay_alu instid0(VALU_DEP_4) | instskip(NEXT) | instid1(VALU_DEP_3)
	v_xor_b32_e32 v19, v12, v21
	v_add_co_u32 v15, vcc_lo, v3, v13
	s_delay_alu instid0(VALU_DEP_3) | instskip(SKIP_1) | instid1(VALU_DEP_3)
	v_add_co_ci_u32_e32 v20, vcc_lo, v4, v14, vcc_lo
	v_xor_b32_e32 v5, v5, v21
	v_mul_hi_u32 v22, v19, v15
	s_delay_alu instid0(VALU_DEP_3) | instskip(NEXT) | instid1(VALU_DEP_3)
	v_mad_u64_u32 v[3:4], null, v19, v20, 0
	v_mad_u64_u32 v[12:13], null, v5, v15, 0
	;; [unrolled: 1-line block ×3, first 2 shown]
	s_delay_alu instid0(VALU_DEP_3) | instskip(NEXT) | instid1(VALU_DEP_4)
	v_add_co_u32 v3, vcc_lo, v22, v3
	v_add_co_ci_u32_e32 v4, vcc_lo, 0, v4, vcc_lo
	s_delay_alu instid0(VALU_DEP_2) | instskip(NEXT) | instid1(VALU_DEP_2)
	v_add_co_u32 v3, vcc_lo, v3, v12
	v_add_co_ci_u32_e32 v3, vcc_lo, v4, v13, vcc_lo
	v_add_co_ci_u32_e32 v4, vcc_lo, 0, v15, vcc_lo
	s_delay_alu instid0(VALU_DEP_2) | instskip(NEXT) | instid1(VALU_DEP_2)
	v_add_co_u32 v14, vcc_lo, v3, v14
	v_add_co_ci_u32_e32 v15, vcc_lo, 0, v4, vcc_lo
	s_delay_alu instid0(VALU_DEP_2) | instskip(NEXT) | instid1(VALU_DEP_1)
	v_mad_u64_u32 v[3:4], null, s7, v14, 0
	v_mad_u64_u32 v[12:13], null, s7, v15, v[4:5]
	s_delay_alu instid0(VALU_DEP_2) | instskip(NEXT) | instid1(VALU_DEP_2)
	v_sub_co_u32 v3, vcc_lo, v19, v3
	v_sub_co_ci_u32_e32 v4, vcc_lo, v5, v12, vcc_lo
	s_delay_alu instid0(VALU_DEP_2) | instskip(NEXT) | instid1(VALU_DEP_2)
	v_sub_co_u32 v5, vcc_lo, v3, s7
	v_subrev_co_ci_u32_e32 v12, vcc_lo, 0, v4, vcc_lo
	s_delay_alu instid0(VALU_DEP_2)
	v_cmp_le_u32_e32 vcc_lo, s7, v5
	v_cmp_eq_u32_e64 s0, 0, v4
	v_cndmask_b32_e64 v5, 0, -1, vcc_lo
	v_add_co_u32 v13, vcc_lo, v14, 2
	v_add_co_ci_u32_e32 v19, vcc_lo, 0, v15, vcc_lo
	v_cmp_le_u32_e32 vcc_lo, s7, v3
	v_cndmask_b32_e64 v3, 0, -1, vcc_lo
	v_cmp_eq_u32_e32 vcc_lo, 0, v12
	s_delay_alu instid0(VALU_DEP_2) | instskip(SKIP_3) | instid1(VALU_DEP_3)
	v_cndmask_b32_e64 v3, -1, v3, s0
	v_cndmask_b32_e32 v5, -1, v5, vcc_lo
	v_add_co_u32 v12, vcc_lo, v14, 1
	v_add_co_ci_u32_e32 v20, vcc_lo, 0, v15, vcc_lo
	v_cmp_ne_u32_e32 vcc_lo, 0, v5
	s_delay_alu instid0(VALU_DEP_2) | instskip(NEXT) | instid1(VALU_DEP_4)
	v_cndmask_b32_e32 v4, v20, v19, vcc_lo
	v_cndmask_b32_e32 v5, v12, v13, vcc_lo
	v_cmp_ne_u32_e32 vcc_lo, 0, v3
                                        ; implicit-def: $vgpr12
	s_delay_alu instid0(VALU_DEP_2) | instskip(NEXT) | instid1(VALU_DEP_1)
	v_dual_cndmask_b32 v3, v15, v4 :: v_dual_cndmask_b32 v4, v14, v5
	v_xor_b32_e32 v5, v3, v21
	s_delay_alu instid0(VALU_DEP_2) | instskip(NEXT) | instid1(VALU_DEP_1)
	v_xor_b32_e32 v4, v4, v21
	v_sub_co_u32 v3, vcc_lo, v4, v21
	s_delay_alu instid0(VALU_DEP_3)
	v_sub_co_ci_u32_e32 v4, vcc_lo, v5, v21, vcc_lo
.LBB95_154:
	s_and_not1_saveexec_b32 s0, s5
	s_cbranch_execz .LBB95_156
; %bb.155:
	v_cvt_f32_u32_e32 v3, s7
	s_delay_alu instid0(VALU_DEP_1) | instskip(SKIP_2) | instid1(VALU_DEP_1)
	v_rcp_iflag_f32_e32 v3, v3
	s_waitcnt_depctr 0xfff
	v_mul_f32_e32 v3, 0x4f7ffffe, v3
	v_cvt_u32_f32_e32 v3, v3
	s_delay_alu instid0(VALU_DEP_1) | instskip(NEXT) | instid1(VALU_DEP_1)
	v_mul_lo_u32 v4, s1, v3
	v_mul_hi_u32 v4, v3, v4
	s_delay_alu instid0(VALU_DEP_1) | instskip(NEXT) | instid1(VALU_DEP_1)
	v_add_nc_u32_e32 v3, v3, v4
	v_mul_hi_u32 v3, v12, v3
	s_delay_alu instid0(VALU_DEP_1) | instskip(SKIP_1) | instid1(VALU_DEP_2)
	v_mul_lo_u32 v4, v3, s7
	v_add_nc_u32_e32 v5, 1, v3
	v_sub_nc_u32_e32 v4, v12, v4
	s_delay_alu instid0(VALU_DEP_1) | instskip(SKIP_1) | instid1(VALU_DEP_2)
	v_subrev_nc_u32_e32 v12, s7, v4
	v_cmp_le_u32_e32 vcc_lo, s7, v4
	v_dual_cndmask_b32 v4, v4, v12 :: v_dual_cndmask_b32 v3, v3, v5
	s_delay_alu instid0(VALU_DEP_1) | instskip(NEXT) | instid1(VALU_DEP_2)
	v_cmp_le_u32_e32 vcc_lo, s7, v4
	v_dual_mov_b32 v4, 0 :: v_dual_add_nc_u32 v5, 1, v3
	s_delay_alu instid0(VALU_DEP_1)
	v_cndmask_b32_e32 v3, v3, v5, vcc_lo
.LBB95_156:
	s_or_b32 exec_lo, exec_lo, s0
	v_cmp_gt_i64_e32 vcc_lo, s[22:23], v[10:11]
	v_mov_b32_e32 v10, 0
	v_mov_b32_e32 v11, 0
	s_and_saveexec_b32 s5, vcc_lo
	s_cbranch_execz .LBB95_170
; %bb.157:
	s_add_i32 s0, s7, -1
	v_mov_b32_e32 v10, 0
	v_dual_mov_b32 v11, 0 :: v_dual_and_b32 v12, s0, v0
	s_mov_b32 s6, exec_lo
	v_cmpx_lt_i64_e32 0, v[3:4]
	s_cbranch_execz .LBB95_167
; %bb.158:
	v_dual_mov_b32 v13, 0 :: v_dual_mov_b32 v10, 0
	v_dual_mov_b32 v14, 0 :: v_dual_mov_b32 v11, 0
	s_mov_b32 s8, exec_lo
	v_cmpx_lt_u64_e32 3, v[3:4]
	s_cbranch_execz .LBB95_162
; %bb.159:
	v_dual_mov_b32 v10, 0 :: v_dual_lshlrev_b32 v5, 3, v2
	s_lshl_b32 s0, s7, 3
	s_lshl_b32 s1, s4, 3
	v_dual_mov_b32 v11, 0 :: v_dual_and_b32 v14, 0x7fffffff, v4
	s_sub_i32 s9, s0, s1
	s_lshl_b32 s0, s7, 4
	v_and_b32_e32 v13, -4, v3
	v_lshl_add_u32 v5, v12, 3, v5
	s_sub_i32 s11, s0, s1
	s_mul_i32 s0, s7, 24
	s_lshl_b32 s10, s7, 5
	s_sub_i32 s13, s0, s1
	s_mov_b32 s12, 0
	s_sub_i32 s14, 0, s1
	s_mov_b64 s[0:1], 0
	.p2align	6
.LBB95_160:                             ; =>This Inner Loop Header: Depth=1
	v_add_nc_u32_e32 v15, s14, v5
	v_add_nc_u32_e32 v23, s11, v5
	;; [unrolled: 1-line block ×3, first 2 shown]
	s_add_u32 s0, s0, 4
	s_addc_u32 s1, s1, 0
	ds_load_b64 v[19:20], v15
	v_add_nc_u32_e32 v15, s9, v5
	v_cmp_eq_u64_e32 vcc_lo, s[0:1], v[13:14]
	v_add_nc_u32_e32 v5, s10, v5
	ds_load_b64 v[21:22], v15
	ds_load_b64 v[23:24], v23
	;; [unrolled: 1-line block ×3, first 2 shown]
	s_or_b32 s12, vcc_lo, s12
	s_waitcnt lgkmcnt(3)
	v_add_f64 v[10:11], v[10:11], v[19:20]
	s_waitcnt lgkmcnt(2)
	s_delay_alu instid0(VALU_DEP_1) | instskip(SKIP_1) | instid1(VALU_DEP_1)
	v_add_f64 v[10:11], v[10:11], v[21:22]
	s_waitcnt lgkmcnt(1)
	v_add_f64 v[10:11], v[10:11], v[23:24]
	s_waitcnt lgkmcnt(0)
	s_delay_alu instid0(VALU_DEP_1)
	v_add_f64 v[10:11], v[10:11], v[25:26]
	s_and_not1_b32 exec_lo, exec_lo, s12
	s_cbranch_execnz .LBB95_160
; %bb.161:
	s_or_b32 exec_lo, exec_lo, s12
.LBB95_162:
	s_delay_alu instid0(SALU_CYCLE_1) | instskip(SKIP_2) | instid1(VALU_DEP_1)
	s_or_b32 exec_lo, exec_lo, s8
	v_dual_mov_b32 v15, 0 :: v_dual_and_b32 v14, 3, v3
	s_mov_b32 s0, exec_lo
	v_cmpx_ne_u64_e32 0, v[14:15]
	s_cbranch_execz .LBB95_166
; %bb.163:
	v_mul_lo_u32 v5, s7, v13
	s_mov_b32 s1, 0
	s_delay_alu instid0(VALU_DEP_1) | instskip(NEXT) | instid1(VALU_DEP_1)
	v_add3_u32 v2, v12, v5, v2
	v_subrev_nc_u32_e32 v2, s4, v2
	s_lshl_b32 s4, s7, 3
	s_delay_alu instid0(VALU_DEP_1)
	v_lshlrev_b32_e32 v2, 3, v2
.LBB95_164:                             ; =>This Inner Loop Header: Depth=1
	ds_load_b64 v[19:20], v2
	v_add_co_u32 v14, vcc_lo, v14, -1
	v_add_co_ci_u32_e32 v15, vcc_lo, -1, v15, vcc_lo
	v_add_nc_u32_e32 v2, s4, v2
	s_delay_alu instid0(VALU_DEP_2)
	v_cmp_eq_u64_e32 vcc_lo, 0, v[14:15]
	s_or_b32 s1, vcc_lo, s1
	s_waitcnt lgkmcnt(0)
	v_add_f64 v[10:11], v[10:11], v[19:20]
	s_and_not1_b32 exec_lo, exec_lo, s1
	s_cbranch_execnz .LBB95_164
; %bb.165:
	s_or_b32 exec_lo, exec_lo, s1
.LBB95_166:
	s_delay_alu instid0(SALU_CYCLE_1)
	s_or_b32 exec_lo, exec_lo, s0
.LBB95_167:
	s_delay_alu instid0(SALU_CYCLE_1) | instskip(SKIP_3) | instid1(VALU_DEP_2)
	s_or_b32 exec_lo, exec_lo, s6
	v_mad_u64_u32 v[14:15], null, v3, s7, v[8:9]
	v_mov_b32_e32 v13, 0
	s_mov_b32 s0, exec_lo
	v_mov_b32_e32 v2, v15
	s_delay_alu instid0(VALU_DEP_1) | instskip(NEXT) | instid1(VALU_DEP_4)
	v_mad_u64_u32 v[8:9], null, v4, s7, v[2:3]
	v_sub_co_u32 v2, vcc_lo, v16, v14
	s_delay_alu instid0(VALU_DEP_2) | instskip(NEXT) | instid1(VALU_DEP_1)
	v_mov_b32_e32 v3, v8
	v_sub_co_ci_u32_e32 v3, vcc_lo, v17, v3, vcc_lo
	s_delay_alu instid0(VALU_DEP_1)
	v_cmpx_gt_i64_e64 v[2:3], v[12:13]
	s_cbranch_execz .LBB95_169
; %bb.168:
	v_add_lshl_u32 v2, v12, v14, 3
	ds_load_b64 v[2:3], v2
	s_waitcnt lgkmcnt(0)
	v_add_f64 v[10:11], v[10:11], v[2:3]
.LBB95_169:
	s_or_b32 exec_lo, exec_lo, s0
.LBB95_170:
	s_delay_alu instid0(SALU_CYCLE_1)
	s_or_b32 exec_lo, exec_lo, s5
	v_cmp_gt_i64_e32 vcc_lo, s[22:23], v[0:1]
	s_barrier
	buffer_gl0_inv
	ds_store_b64 v18, v[10:11]
	s_waitcnt lgkmcnt(0)
	s_barrier
	buffer_gl0_inv
	s_and_b32 exec_lo, exec_lo, vcc_lo
	s_cbranch_execz .LBB95_180
; %bb.171:
	v_mul_lo_u32 v1, s7, v0
	v_mov_b32_e32 v4, 0
	v_mov_b32_e32 v5, 0
	s_cmp_lt_u32 s7, 8
	s_cbranch_scc1 .LBB95_174
; %bb.172:
	s_delay_alu instid0(VALU_DEP_3)
	v_lshlrev_b32_e32 v2, 3, v1
	s_and_b32 s0, s7, 0x7ffffff8
	s_mov_b32 s1, 0
	.p2align	6
.LBB95_173:                             ; =>This Inner Loop Header: Depth=1
	ds_load_2addr_b64 v[8:11], v2 offset1:1
	ds_load_2addr_b64 v[12:15], v2 offset0:2 offset1:3
	s_add_i32 s1, s1, 8
	s_delay_alu instid0(SALU_CYCLE_1) | instskip(SKIP_2) | instid1(VALU_DEP_1)
	s_cmp_eq_u32 s0, s1
	s_waitcnt lgkmcnt(1)
	v_add_f64 v[3:4], v[4:5], v[8:9]
	v_add_f64 v[3:4], v[3:4], v[10:11]
	s_waitcnt lgkmcnt(0)
	s_delay_alu instid0(VALU_DEP_1) | instskip(NEXT) | instid1(VALU_DEP_1)
	v_add_f64 v[3:4], v[3:4], v[12:13]
	v_add_f64 v[3:4], v[3:4], v[14:15]
	ds_load_2addr_b64 v[8:11], v2 offset0:4 offset1:5
	ds_load_2addr_b64 v[12:15], v2 offset0:6 offset1:7
	v_add_nc_u32_e32 v2, 64, v2
	s_waitcnt lgkmcnt(1)
	v_add_f64 v[3:4], v[3:4], v[8:9]
	s_delay_alu instid0(VALU_DEP_1) | instskip(SKIP_1) | instid1(VALU_DEP_1)
	v_add_f64 v[3:4], v[3:4], v[10:11]
	s_waitcnt lgkmcnt(0)
	v_add_f64 v[3:4], v[3:4], v[12:13]
	s_delay_alu instid0(VALU_DEP_1)
	v_add_f64 v[4:5], v[3:4], v[14:15]
	s_cbranch_scc0 .LBB95_173
	s_branch .LBB95_175
.LBB95_174:
	s_mov_b32 s0, 0
.LBB95_175:
	s_bfe_u32 s1, s3, 0x30001
	s_delay_alu instid0(SALU_CYCLE_1)
	s_cmp_eq_u32 s1, 0
	s_cbranch_scc1 .LBB95_178
; %bb.176:
	v_add_lshl_u32 v1, s0, v1, 3
.LBB95_177:                             ; =>This Inner Loop Header: Depth=1
	ds_load_b64 v[2:3], v1
	v_add_nc_u32_e32 v1, 8, v1
	s_add_i32 s1, s1, -1
	s_delay_alu instid0(SALU_CYCLE_1)
	s_cmp_lg_u32 s1, 0
	s_waitcnt lgkmcnt(0)
	v_add_f64 v[4:5], v[4:5], v[2:3]
	s_cbranch_scc1 .LBB95_177
.LBB95_178:
	v_lshlrev_b64 v[1:2], 3, v[6:7]
	v_lshlrev_b32_e32 v0, 3, v0
	s_lshl_b32 s0, s2, 3
	s_delay_alu instid0(VALU_DEP_1) | instid1(SALU_CYCLE_1)
	v_add3_u32 v0, 0x2000, s0, v0
	s_delay_alu instid0(VALU_DEP_3) | instskip(NEXT) | instid1(VALU_DEP_4)
	v_add_co_u32 v6, vcc_lo, s20, v1
	v_add_co_ci_u32_e32 v7, vcc_lo, s21, v2, vcc_lo
	ds_load_b64 v[0:1], v0
	s_mov_b32 s0, 0
	global_load_b64 v[2:3], v[6:7], off
	s_waitcnt lgkmcnt(0)
	v_add_f64 v[4:5], v[4:5], v[0:1]
.LBB95_179:                             ; =>This Inner Loop Header: Depth=1
	s_waitcnt vmcnt(0)
	s_delay_alu instid0(VALU_DEP_1)
	v_add_f64 v[0:1], v[2:3], v[4:5]
	global_atomic_cmpswap_b64 v[0:1], v[6:7], v[0:3], off glc
	s_waitcnt vmcnt(0)
	v_cmp_eq_u64_e32 vcc_lo, v[0:1], v[2:3]
	v_dual_mov_b32 v3, v1 :: v_dual_mov_b32 v2, v0
	s_or_b32 s0, vcc_lo, s0
	s_delay_alu instid0(SALU_CYCLE_1)
	s_and_not1_b32 exec_lo, exec_lo, s0
	s_cbranch_execnz .LBB95_179
.LBB95_180:
	s_endpgm
	.section	.rodata,"a",@progbits
	.p2align	6, 0x0
	.amdhsa_kernel _ZN9rocsparseL27csrmvn_symm_adaptive_kernelIlifdddEEvbT_S1_PKS1_NS_24const_host_device_scalarIT4_EES3_PKT0_PKT1_PKT2_S6_PT3_21rocsparse_index_base_b
		.amdhsa_group_segment_fixed_size 8192
		.amdhsa_private_segment_fixed_size 0
		.amdhsa_kernarg_size 352
		.amdhsa_user_sgpr_count 15
		.amdhsa_user_sgpr_dispatch_ptr 0
		.amdhsa_user_sgpr_queue_ptr 0
		.amdhsa_user_sgpr_kernarg_segment_ptr 1
		.amdhsa_user_sgpr_dispatch_id 0
		.amdhsa_user_sgpr_private_segment_size 0
		.amdhsa_wavefront_size32 1
		.amdhsa_uses_dynamic_stack 0
		.amdhsa_enable_private_segment 0
		.amdhsa_system_sgpr_workgroup_id_x 1
		.amdhsa_system_sgpr_workgroup_id_y 0
		.amdhsa_system_sgpr_workgroup_id_z 0
		.amdhsa_system_sgpr_workgroup_info 0
		.amdhsa_system_vgpr_workitem_id 0
		.amdhsa_next_free_vgpr 27
		.amdhsa_next_free_sgpr 41
		.amdhsa_reserve_vcc 1
		.amdhsa_float_round_mode_32 0
		.amdhsa_float_round_mode_16_64 0
		.amdhsa_float_denorm_mode_32 3
		.amdhsa_float_denorm_mode_16_64 3
		.amdhsa_dx10_clamp 1
		.amdhsa_ieee_mode 1
		.amdhsa_fp16_overflow 0
		.amdhsa_workgroup_processor_mode 1
		.amdhsa_memory_ordered 1
		.amdhsa_forward_progress 0
		.amdhsa_shared_vgpr_count 0
		.amdhsa_exception_fp_ieee_invalid_op 0
		.amdhsa_exception_fp_denorm_src 0
		.amdhsa_exception_fp_ieee_div_zero 0
		.amdhsa_exception_fp_ieee_overflow 0
		.amdhsa_exception_fp_ieee_underflow 0
		.amdhsa_exception_fp_ieee_inexact 0
		.amdhsa_exception_int_div_zero 0
	.end_amdhsa_kernel
	.section	.text._ZN9rocsparseL27csrmvn_symm_adaptive_kernelIlifdddEEvbT_S1_PKS1_NS_24const_host_device_scalarIT4_EES3_PKT0_PKT1_PKT2_S6_PT3_21rocsparse_index_base_b,"axG",@progbits,_ZN9rocsparseL27csrmvn_symm_adaptive_kernelIlifdddEEvbT_S1_PKS1_NS_24const_host_device_scalarIT4_EES3_PKT0_PKT1_PKT2_S6_PT3_21rocsparse_index_base_b,comdat
.Lfunc_end95:
	.size	_ZN9rocsparseL27csrmvn_symm_adaptive_kernelIlifdddEEvbT_S1_PKS1_NS_24const_host_device_scalarIT4_EES3_PKT0_PKT1_PKT2_S6_PT3_21rocsparse_index_base_b, .Lfunc_end95-_ZN9rocsparseL27csrmvn_symm_adaptive_kernelIlifdddEEvbT_S1_PKS1_NS_24const_host_device_scalarIT4_EES3_PKT0_PKT1_PKT2_S6_PT3_21rocsparse_index_base_b
                                        ; -- End function
	.section	.AMDGPU.csdata,"",@progbits
; Kernel info:
; codeLenInByte = 10000
; NumSgprs: 43
; NumVgprs: 27
; ScratchSize: 0
; MemoryBound: 0
; FloatMode: 240
; IeeeMode: 1
; LDSByteSize: 8192 bytes/workgroup (compile time only)
; SGPRBlocks: 5
; VGPRBlocks: 3
; NumSGPRsForWavesPerEU: 43
; NumVGPRsForWavesPerEU: 27
; Occupancy: 16
; WaveLimiterHint : 1
; COMPUTE_PGM_RSRC2:SCRATCH_EN: 0
; COMPUTE_PGM_RSRC2:USER_SGPR: 15
; COMPUTE_PGM_RSRC2:TRAP_HANDLER: 0
; COMPUTE_PGM_RSRC2:TGID_X_EN: 1
; COMPUTE_PGM_RSRC2:TGID_Y_EN: 0
; COMPUTE_PGM_RSRC2:TGID_Z_EN: 0
; COMPUTE_PGM_RSRC2:TIDIG_COMP_CNT: 0
	.section	.text._ZL33csrmvn_symm_large_adaptive_kernelIlifdddEvbT_PKS0_N9rocsparse24const_host_device_scalarIT4_EES2_PKT0_PKT1_PKT2_S6_PT3_21rocsparse_index_base_b,"axG",@progbits,_ZL33csrmvn_symm_large_adaptive_kernelIlifdddEvbT_PKS0_N9rocsparse24const_host_device_scalarIT4_EES2_PKT0_PKT1_PKT2_S6_PT3_21rocsparse_index_base_b,comdat
	.globl	_ZL33csrmvn_symm_large_adaptive_kernelIlifdddEvbT_PKS0_N9rocsparse24const_host_device_scalarIT4_EES2_PKT0_PKT1_PKT2_S6_PT3_21rocsparse_index_base_b ; -- Begin function _ZL33csrmvn_symm_large_adaptive_kernelIlifdddEvbT_PKS0_N9rocsparse24const_host_device_scalarIT4_EES2_PKT0_PKT1_PKT2_S6_PT3_21rocsparse_index_base_b
	.p2align	8
	.type	_ZL33csrmvn_symm_large_adaptive_kernelIlifdddEvbT_PKS0_N9rocsparse24const_host_device_scalarIT4_EES2_PKT0_PKT1_PKT2_S6_PT3_21rocsparse_index_base_b,@function
_ZL33csrmvn_symm_large_adaptive_kernelIlifdddEvbT_PKS0_N9rocsparse24const_host_device_scalarIT4_EES2_PKT0_PKT1_PKT2_S6_PT3_21rocsparse_index_base_b: ; @_ZL33csrmvn_symm_large_adaptive_kernelIlifdddEvbT_PKS0_N9rocsparse24const_host_device_scalarIT4_EES2_PKT0_PKT1_PKT2_S6_PT3_21rocsparse_index_base_b
; %bb.0:
	s_clause 0x2
	s_load_b64 s[6:7], s[0:1], 0x50
	s_load_b64 s[8:9], s[0:1], 0x18
	s_load_b64 s[2:3], s[0:1], 0x40
	s_mov_b32 s4, s15
	s_waitcnt lgkmcnt(0)
	s_bitcmp1_b32 s7, 0
	v_dual_mov_b32 v4, s8 :: v_dual_mov_b32 v5, s9
	s_cselect_b32 s5, -1, 0
	s_delay_alu instid0(SALU_CYCLE_1)
	s_and_b32 vcc_lo, exec_lo, s5
	s_xor_b32 s5, s5, -1
	s_cbranch_vccnz .LBB96_2
; %bb.1:
	v_dual_mov_b32 v1, s8 :: v_dual_mov_b32 v2, s9
	flat_load_b64 v[4:5], v[1:2]
.LBB96_2:
	v_dual_mov_b32 v1, s2 :: v_dual_mov_b32 v2, s3
	s_and_not1_b32 vcc_lo, exec_lo, s5
	s_cbranch_vccnz .LBB96_4
; %bb.3:
	v_dual_mov_b32 v1, s2 :: v_dual_mov_b32 v2, s3
	flat_load_b64 v[1:2], v[1:2]
.LBB96_4:
	s_waitcnt vmcnt(0) lgkmcnt(0)
	v_cmp_neq_f64_e32 vcc_lo, 0, v[4:5]
	v_cmp_neq_f64_e64 s2, 1.0, v[1:2]
	s_delay_alu instid0(VALU_DEP_1) | instskip(NEXT) | instid1(SALU_CYCLE_1)
	s_or_b32 s2, vcc_lo, s2
	s_and_saveexec_b32 s3, s2
	s_cbranch_execz .LBB96_41
; %bb.5:
	s_load_b64 s[8:9], s[0:1], 0x10
	s_mov_b32 s2, 0
	s_ashr_i32 s5, s4, 31
	s_mov_b32 s3, s2
	v_dual_mov_b32 v1, s2 :: v_dual_lshlrev_b32 v10, 3, v0
	v_mov_b32_e32 v2, s3
	s_lshl_b64 s[4:5], s[4:5], 3
	ds_store_2addr_stride64_b64 v10, v[1:2], v[1:2] offset1:4
	ds_store_2addr_stride64_b64 v10, v[1:2], v[1:2] offset0:8 offset1:12
	s_waitcnt lgkmcnt(0)
	s_barrier
	buffer_gl0_inv
	s_add_u32 s4, s8, s4
	s_addc_u32 s5, s9, s5
	s_load_b128 s[16:19], s[4:5], 0x0
	s_clause 0x1
	s_load_b256 s[8:15], s[0:1], 0x20
	s_load_b64 s[20:21], s[0:1], 0x48
	v_sub_co_u32 v11, s1, v0, s6
	s_delay_alu instid0(VALU_DEP_1) | instskip(SKIP_2) | instid1(VALU_DEP_1)
	v_sub_co_ci_u32_e64 v12, null, 0, 0, s1
	s_waitcnt lgkmcnt(0)
	v_cmp_lt_i64_e64 s0, s[16:17], s[18:19]
	s_and_b32 vcc_lo, exec_lo, s0
	s_cbranch_vccnz .LBB96_7
; %bb.6:
	s_lshl_b64 s[0:1], s[16:17], 3
	s_delay_alu instid0(SALU_CYCLE_1)
	s_add_u32 s0, s8, s0
	s_addc_u32 s1, s9, s1
	s_load_b64 s[22:23], s[0:1], 0x0
	s_and_not1_b32 vcc_lo, exec_lo, s2
	s_cbranch_vccz .LBB96_8
	s_branch .LBB96_31
.LBB96_7:
                                        ; implicit-def: $sgpr22_sgpr23
.LBB96_8:
	s_lshl_b64 s[0:1], s[16:17], 3
	v_cmp_gt_u32_e64 s2, 16, v0
	s_add_u32 s0, s8, s0
	s_addc_u32 s1, s9, s1
	v_cmp_gt_u32_e64 s3, 4, v0
	s_waitcnt lgkmcnt(0)
	s_load_b64 s[22:23], s[0:1], 0x0
	v_cmp_gt_u32_e64 s0, 0x100, v0
	v_cmp_gt_u32_e64 s1, 64, v0
	v_cmp_eq_u32_e64 s4, 0, v0
	v_mov_b32_e32 v13, 0
	s_add_u32 s7, s8, 8
	s_addc_u32 s33, s9, 0
	s_mov_b64 s[24:25], s[16:17]
	s_waitcnt lgkmcnt(0)
	s_mov_b64 s[26:27], s[22:23]
	s_branch .LBB96_10
.LBB96_9:                               ;   in Loop: Header=BB96_10 Depth=1
	s_or_b32 exec_lo, exec_lo, s5
	s_add_u32 s24, s24, 1
	s_addc_u32 s25, s25, 0
	s_delay_alu instid0(SALU_CYCLE_1) | instskip(NEXT) | instid1(VALU_DEP_1)
	v_cmp_ge_i64_e64 s5, s[24:25], s[18:19]
	s_and_b32 vcc_lo, exec_lo, s5
	s_cbranch_vccnz .LBB96_31
.LBB96_10:                              ; =>This Loop Header: Depth=1
                                        ;     Child Loop BB96_12 Depth 2
                                        ;     Child Loop BB96_26 Depth 2
                                        ;     Child Loop BB96_29 Depth 2
	s_lshl_b64 s[28:29], s[24:25], 3
	s_mov_b64 s[34:35], s[26:27]
	s_add_u32 s30, s7, s28
	s_addc_u32 s31, s33, s29
	v_add_co_u32 v0, vcc_lo, s34, v11
	s_load_b64 s[26:27], s[30:31], 0x0
	v_mov_b32_e32 v2, 0
	v_add_co_ci_u32_e32 v1, vcc_lo, s35, v12, vcc_lo
	v_mov_b32_e32 v3, 0
	s_mov_b32 s34, exec_lo
	s_waitcnt lgkmcnt(0)
	s_sub_u32 s30, s26, s6
	s_subb_u32 s31, s27, 0
	s_delay_alu instid0(SALU_CYCLE_1)
	v_cmpx_gt_i64_e64 s[30:31], v[0:1]
	s_cbranch_execz .LBB96_14
; %bb.11:                               ;   in Loop: Header=BB96_10 Depth=1
	v_lshlrev_b64 v[8:9], 2, v[0:1]
	v_mov_b32_e32 v2, 0
	v_mov_b32_e32 v3, 0
	s_mov_b32 s35, 0
	s_delay_alu instid0(VALU_DEP_3) | instskip(NEXT) | instid1(VALU_DEP_4)
	v_add_co_u32 v6, vcc_lo, s10, v8
	v_add_co_ci_u32_e32 v7, vcc_lo, s11, v9, vcc_lo
	v_add_co_u32 v8, vcc_lo, s12, v8
	v_add_co_ci_u32_e32 v9, vcc_lo, s13, v9, vcc_lo
	s_set_inst_prefetch_distance 0x1
	.p2align	6
.LBB96_12:                              ;   Parent Loop BB96_10 Depth=1
                                        ; =>  This Inner Loop Header: Depth=2
	global_load_b32 v14, v[6:7], off
	global_load_b32 v16, v[8:9], off
	v_add_co_u32 v8, s5, 0x400, v8
	s_delay_alu instid0(VALU_DEP_1) | instskip(SKIP_4) | instid1(VALU_DEP_2)
	v_add_co_ci_u32_e64 v9, s5, 0, v9, s5
	s_waitcnt vmcnt(1)
	v_subrev_nc_u32_e32 v14, s6, v14
	s_waitcnt vmcnt(0)
	v_cvt_f64_f32_e32 v[16:17], v16
	v_ashrrev_i32_e32 v15, 31, v14
	s_delay_alu instid0(VALU_DEP_1) | instskip(NEXT) | instid1(VALU_DEP_1)
	v_lshlrev_b64 v[14:15], 3, v[14:15]
	v_add_co_u32 v14, vcc_lo, s14, v14
	s_delay_alu instid0(VALU_DEP_2)
	v_add_co_ci_u32_e32 v15, vcc_lo, s15, v15, vcc_lo
	v_add_co_u32 v0, vcc_lo, 0x100, v0
	v_add_co_ci_u32_e32 v1, vcc_lo, 0, v1, vcc_lo
	global_load_b64 v[14:15], v[14:15], off
	v_add_co_u32 v6, vcc_lo, 0x400, v6
	v_add_co_ci_u32_e32 v7, vcc_lo, 0, v7, vcc_lo
	v_cmp_le_i64_e32 vcc_lo, s[30:31], v[0:1]
	s_or_b32 s35, vcc_lo, s35
	s_waitcnt vmcnt(0)
	v_fma_f64 v[2:3], v[16:17], v[14:15], v[2:3]
	s_and_not1_b32 exec_lo, exec_lo, s35
	s_cbranch_execnz .LBB96_12
; %bb.13:                               ;   in Loop: Header=BB96_10 Depth=1
	s_set_inst_prefetch_distance 0x2
	s_or_b32 exec_lo, exec_lo, s35
.LBB96_14:                              ;   in Loop: Header=BB96_10 Depth=1
	s_delay_alu instid0(SALU_CYCLE_1)
	s_or_b32 exec_lo, exec_lo, s34
	ds_store_b64 v10, v[2:3]
	s_waitcnt lgkmcnt(0)
	s_barrier
	buffer_gl0_inv
	s_and_saveexec_b32 s5, s0
	s_cbranch_execz .LBB96_16
; %bb.15:                               ;   in Loop: Header=BB96_10 Depth=1
	ds_load_2addr_stride64_b64 v[0:3], v10 offset1:4
	ds_load_2addr_stride64_b64 v[6:9], v10 offset0:8 offset1:12
	s_waitcnt lgkmcnt(0)
	v_add_f64 v[2:3], v[2:3], v[6:7]
	s_delay_alu instid0(VALU_DEP_1) | instskip(NEXT) | instid1(VALU_DEP_1)
	v_add_f64 v[2:3], v[2:3], v[8:9]
	v_add_f64 v[0:1], v[0:1], v[2:3]
	ds_store_b64 v10, v[0:1]
.LBB96_16:                              ;   in Loop: Header=BB96_10 Depth=1
	s_or_b32 exec_lo, exec_lo, s5
	s_waitcnt lgkmcnt(0)
	s_barrier
	buffer_gl0_inv
	s_and_saveexec_b32 s5, s1
	s_cbranch_execz .LBB96_18
; %bb.17:                               ;   in Loop: Header=BB96_10 Depth=1
	ds_load_2addr_stride64_b64 v[0:3], v10 offset1:1
	ds_load_2addr_stride64_b64 v[6:9], v10 offset0:2 offset1:3
	s_waitcnt lgkmcnt(0)
	v_add_f64 v[2:3], v[2:3], v[6:7]
	s_delay_alu instid0(VALU_DEP_1) | instskip(NEXT) | instid1(VALU_DEP_1)
	v_add_f64 v[2:3], v[2:3], v[8:9]
	v_add_f64 v[0:1], v[0:1], v[2:3]
	ds_store_b64 v10, v[0:1]
.LBB96_18:                              ;   in Loop: Header=BB96_10 Depth=1
	s_or_b32 exec_lo, exec_lo, s5
	s_waitcnt lgkmcnt(0)
	s_barrier
	buffer_gl0_inv
	s_and_saveexec_b32 s5, s2
	s_cbranch_execz .LBB96_20
; %bb.19:                               ;   in Loop: Header=BB96_10 Depth=1
	ds_load_2addr_b64 v[0:3], v10 offset1:16
	ds_load_2addr_b64 v[6:9], v10 offset0:32 offset1:48
	s_waitcnt lgkmcnt(0)
	v_add_f64 v[2:3], v[2:3], v[6:7]
	s_delay_alu instid0(VALU_DEP_1) | instskip(NEXT) | instid1(VALU_DEP_1)
	v_add_f64 v[2:3], v[2:3], v[8:9]
	v_add_f64 v[0:1], v[0:1], v[2:3]
	ds_store_b64 v10, v[0:1]
.LBB96_20:                              ;   in Loop: Header=BB96_10 Depth=1
	s_or_b32 exec_lo, exec_lo, s5
	s_waitcnt lgkmcnt(0)
	s_barrier
	buffer_gl0_inv
	s_and_saveexec_b32 s5, s3
	s_cbranch_execz .LBB96_22
; %bb.21:                               ;   in Loop: Header=BB96_10 Depth=1
	ds_load_2addr_b64 v[0:3], v10 offset1:4
	ds_load_2addr_b64 v[6:9], v10 offset0:8 offset1:12
	s_waitcnt lgkmcnt(0)
	v_add_f64 v[2:3], v[2:3], v[6:7]
	s_delay_alu instid0(VALU_DEP_1) | instskip(NEXT) | instid1(VALU_DEP_1)
	v_add_f64 v[2:3], v[2:3], v[8:9]
	v_add_f64 v[0:1], v[0:1], v[2:3]
	ds_store_b64 v10, v[0:1]
.LBB96_22:                              ;   in Loop: Header=BB96_10 Depth=1
	s_or_b32 exec_lo, exec_lo, s5
	s_waitcnt lgkmcnt(0)
	s_barrier
	buffer_gl0_inv
	s_and_saveexec_b32 s5, s4
	s_cbranch_execz .LBB96_24
; %bb.23:                               ;   in Loop: Header=BB96_10 Depth=1
	ds_load_2addr_b64 v[0:3], v13 offset0:1 offset1:2
	ds_load_b64 v[6:7], v10
	s_waitcnt lgkmcnt(1)
	v_add_f64 v[0:1], v[0:1], v[2:3]
	ds_load_b64 v[2:3], v13 offset:24
	s_waitcnt lgkmcnt(0)
	v_add_f64 v[0:1], v[0:1], v[2:3]
	s_delay_alu instid0(VALU_DEP_1)
	v_add_f64 v[0:1], v[6:7], v[0:1]
	ds_store_b64 v10, v[0:1]
.LBB96_24:                              ;   in Loop: Header=BB96_10 Depth=1
	s_or_b32 exec_lo, exec_lo, s5
	s_waitcnt lgkmcnt(0)
	s_barrier
	buffer_gl0_inv
	s_and_saveexec_b32 s5, s4
	s_cbranch_execz .LBB96_9
; %bb.25:                               ;   in Loop: Header=BB96_10 Depth=1
	ds_load_b64 v[0:1], v13
	v_mov_b32_e32 v6, 0
	v_bfrev_b32_e32 v7, 1
	s_mov_b32 s30, exec_lo
	s_waitcnt lgkmcnt(0)
	v_mul_f64 v[0:1], v[4:5], v[0:1]
.LBB96_26:                              ;   Parent Loop BB96_10 Depth=1
                                        ; =>  This Inner Loop Header: Depth=2
	s_ctz_i32_b32 s31, s30
	s_delay_alu instid0(VALU_DEP_1) | instid1(SALU_CYCLE_1)
	v_readlane_b32 s35, v1, s31
	s_delay_alu instid0(VALU_DEP_2) | instskip(SKIP_1) | instid1(SALU_CYCLE_1)
	v_readlane_b32 s34, v0, s31
	s_lshl_b32 s31, 1, s31
	s_and_not1_b32 s30, s30, s31
	s_delay_alu instid0(VALU_DEP_1)
	v_add_f64 v[6:7], v[6:7], s[34:35]
	s_cmp_lg_u32 s30, 0
	s_cbranch_scc1 .LBB96_26
; %bb.27:                               ;   in Loop: Header=BB96_10 Depth=1
	v_mbcnt_lo_u32_b32 v0, exec_lo, 0
	s_mov_b32 s30, exec_lo
	s_delay_alu instid0(VALU_DEP_1)
	v_cmpx_eq_u32_e32 0, v0
	s_xor_b32 s30, exec_lo, s30
	s_cbranch_execz .LBB96_9
; %bb.28:                               ;   in Loop: Header=BB96_10 Depth=1
	s_add_u32 s28, s20, s28
	s_addc_u32 s29, s21, s29
	s_mov_b32 s30, 0
	global_load_b64 v[2:3], v13, s[28:29]
.LBB96_29:                              ;   Parent Loop BB96_10 Depth=1
                                        ; =>  This Inner Loop Header: Depth=2
	s_waitcnt vmcnt(0)
	v_add_f64 v[0:1], v[2:3], v[6:7]
	global_atomic_cmpswap_b64 v[0:1], v13, v[0:3], s[28:29] glc
	s_waitcnt vmcnt(0)
	v_cmp_eq_u64_e32 vcc_lo, v[0:1], v[2:3]
	v_dual_mov_b32 v3, v1 :: v_dual_mov_b32 v2, v0
	s_or_b32 s30, vcc_lo, s30
	s_delay_alu instid0(SALU_CYCLE_1)
	s_and_not1_b32 exec_lo, exec_lo, s30
	s_cbranch_execnz .LBB96_29
; %bb.30:                               ;   in Loop: Header=BB96_10 Depth=1
	s_or_b32 exec_lo, exec_lo, s30
	s_branch .LBB96_9
.LBB96_31:
	s_lshl_b64 s[0:1], s[18:19], 3
	s_waitcnt lgkmcnt(0)
	v_add_co_u32 v6, vcc_lo, s22, v11
	s_add_u32 s0, s8, s0
	s_addc_u32 s1, s9, s1
	v_add_co_ci_u32_e32 v7, vcc_lo, s23, v12, vcc_lo
	s_load_b64 s[0:1], s[0:1], 0x0
	s_waitcnt lgkmcnt(0)
	s_sub_u32 s2, s0, s6
	s_subb_u32 s3, s1, 0
	s_delay_alu instid0(SALU_CYCLE_1)
	v_cmp_gt_i64_e32 vcc_lo, s[2:3], v[6:7]
	s_and_b32 exec_lo, exec_lo, vcc_lo
	s_cbranch_execz .LBB96_41
; %bb.32:
	s_add_u32 s4, s18, -1
	s_addc_u32 s5, s19, -1
	s_add_u32 s0, s18, -2
	v_cmp_gt_i64_e64 s7, s[4:5], s[16:17]
	s_addc_u32 s1, s19, -1
	s_delay_alu instid0(SALU_CYCLE_1)
	s_cmp_lg_u64 s[0:1], s[16:17]
	s_cselect_b32 s0, -1, 0
	s_delay_alu instid0(VALU_DEP_1) | instid1(SALU_CYCLE_1)
	s_and_b32 s1, s7, s0
	s_mov_b32 s7, 0
	s_branch .LBB96_34
.LBB96_33:                              ;   in Loop: Header=BB96_34 Depth=1
	s_or_b32 exec_lo, exec_lo, s0
	v_add_co_u32 v6, vcc_lo, 0x100, v6
	v_add_co_ci_u32_e32 v7, vcc_lo, 0, v7, vcc_lo
	s_delay_alu instid0(VALU_DEP_1) | instskip(SKIP_1) | instid1(SALU_CYCLE_1)
	v_cmp_le_i64_e32 vcc_lo, s[2:3], v[6:7]
	s_or_b32 s7, vcc_lo, s7
	s_and_not1_b32 exec_lo, exec_lo, s7
	s_cbranch_execz .LBB96_41
.LBB96_34:                              ; =>This Loop Header: Depth=1
                                        ;     Child Loop BB96_36 Depth 2
                                        ;     Child Loop BB96_40 Depth 2
	v_dual_mov_b32 v0, s16 :: v_dual_mov_b32 v1, s17
	v_dual_mov_b32 v2, s4 :: v_dual_mov_b32 v3, s5
	s_and_not1_b32 vcc_lo, exec_lo, s1
	s_cbranch_vccnz .LBB96_38
; %bb.35:                               ;   in Loop: Header=BB96_34 Depth=1
	v_dual_mov_b32 v0, s16 :: v_dual_mov_b32 v1, s17
	v_dual_mov_b32 v2, s4 :: v_dual_mov_b32 v3, s5
	s_mov_b32 s18, 0
	s_set_inst_prefetch_distance 0x1
	.p2align	6
.LBB96_36:                              ;   Parent Loop BB96_34 Depth=1
                                        ; =>  This Inner Loop Header: Depth=2
	s_delay_alu instid0(VALU_DEP_1) | instskip(NEXT) | instid1(VALU_DEP_2)
	v_add_co_u32 v8, vcc_lo, v2, v0
	v_add_co_ci_u32_e32 v9, vcc_lo, v3, v1, vcc_lo
	s_delay_alu instid0(VALU_DEP_1) | instskip(NEXT) | instid1(VALU_DEP_1)
	v_lshrrev_b32_e32 v10, 31, v9
	v_add_co_u32 v8, vcc_lo, v8, v10
	v_add_co_ci_u32_e32 v9, vcc_lo, 0, v9, vcc_lo
	s_delay_alu instid0(VALU_DEP_1) | instskip(NEXT) | instid1(VALU_DEP_1)
	v_ashrrev_i64 v[8:9], 1, v[8:9]
	v_lshlrev_b64 v[10:11], 3, v[8:9]
	s_delay_alu instid0(VALU_DEP_1) | instskip(NEXT) | instid1(VALU_DEP_2)
	v_add_co_u32 v10, vcc_lo, s8, v10
	v_add_co_ci_u32_e32 v11, vcc_lo, s9, v11, vcc_lo
	global_load_b64 v[10:11], v[10:11], off
	s_waitcnt vmcnt(0)
	v_sub_co_u32 v10, vcc_lo, v10, s6
	v_subrev_co_ci_u32_e32 v11, vcc_lo, 0, v11, vcc_lo
	s_delay_alu instid0(VALU_DEP_1) | instskip(SKIP_2) | instid1(VALU_DEP_2)
	v_cmp_gt_i64_e32 vcc_lo, v[10:11], v[6:7]
	v_dual_cndmask_b32 v3, v3, v9 :: v_dual_cndmask_b32 v2, v2, v8
	v_dual_cndmask_b32 v1, v9, v1 :: v_dual_cndmask_b32 v0, v8, v0
	v_add_co_u32 v8, vcc_lo, v2, -1
	s_delay_alu instid0(VALU_DEP_3) | instskip(NEXT) | instid1(VALU_DEP_3)
	v_add_co_ci_u32_e32 v9, vcc_lo, -1, v3, vcc_lo
	v_cmp_ge_i64_e32 vcc_lo, v[0:1], v[2:3]
	s_delay_alu instid0(VALU_DEP_2) | instskip(NEXT) | instid1(VALU_DEP_1)
	v_cmp_eq_u64_e64 s0, v[0:1], v[8:9]
	s_or_b32 s0, vcc_lo, s0
	s_delay_alu instid0(SALU_CYCLE_1) | instskip(NEXT) | instid1(SALU_CYCLE_1)
	s_and_b32 s0, exec_lo, s0
	s_or_b32 s18, s0, s18
	s_delay_alu instid0(SALU_CYCLE_1)
	s_and_not1_b32 exec_lo, exec_lo, s18
	s_cbranch_execnz .LBB96_36
; %bb.37:                               ;   in Loop: Header=BB96_34 Depth=1
	s_set_inst_prefetch_distance 0x2
	s_or_b32 exec_lo, exec_lo, s18
.LBB96_38:                              ;   in Loop: Header=BB96_34 Depth=1
	s_delay_alu instid0(VALU_DEP_1) | instskip(SKIP_2) | instid1(VALU_DEP_2)
	v_lshlrev_b64 v[8:9], 3, v[2:3]
	v_lshlrev_b64 v[10:11], 2, v[6:7]
	s_mov_b32 s0, exec_lo
	v_add_co_u32 v8, vcc_lo, s8, v8
	s_delay_alu instid0(VALU_DEP_3) | instskip(NEXT) | instid1(VALU_DEP_3)
	v_add_co_ci_u32_e32 v9, vcc_lo, s9, v9, vcc_lo
	v_add_co_u32 v12, vcc_lo, s10, v10
	s_delay_alu instid0(VALU_DEP_4)
	v_add_co_ci_u32_e32 v13, vcc_lo, s11, v11, vcc_lo
	global_load_b64 v[8:9], v[8:9], off
	global_load_b32 v12, v[12:13], off
	s_waitcnt vmcnt(1)
	v_sub_co_u32 v8, vcc_lo, v8, s6
	v_subrev_co_ci_u32_e32 v9, vcc_lo, 0, v9, vcc_lo
	s_delay_alu instid0(VALU_DEP_1) | instskip(SKIP_2) | instid1(VALU_DEP_1)
	v_cmp_gt_i64_e32 vcc_lo, v[8:9], v[6:7]
	s_waitcnt vmcnt(0)
	v_subrev_nc_u32_e32 v8, s6, v12
	v_ashrrev_i32_e32 v9, 31, v8
	v_dual_cndmask_b32 v1, v3, v1 :: v_dual_cndmask_b32 v0, v2, v0
	s_delay_alu instid0(VALU_DEP_1)
	v_cmpx_ne_u64_e64 v[0:1], v[8:9]
	s_cbranch_execz .LBB96_33
; %bb.39:                               ;   in Loop: Header=BB96_34 Depth=1
	v_add_co_u32 v2, vcc_lo, s12, v10
	v_add_co_ci_u32_e32 v3, vcc_lo, s13, v11, vcc_lo
	v_lshlrev_b64 v[0:1], 3, v[0:1]
	s_mov_b32 s18, 0
	global_load_b32 v10, v[2:3], off
	v_lshlrev_b64 v[2:3], 3, v[8:9]
	v_add_co_u32 v0, vcc_lo, s14, v0
	v_add_co_ci_u32_e32 v1, vcc_lo, s15, v1, vcc_lo
	s_delay_alu instid0(VALU_DEP_3) | instskip(NEXT) | instid1(VALU_DEP_4)
	v_add_co_u32 v8, vcc_lo, s20, v2
	v_add_co_ci_u32_e32 v9, vcc_lo, s21, v3, vcc_lo
	global_load_b64 v[0:1], v[0:1], off
	global_load_b64 v[2:3], v[8:9], off
	s_waitcnt vmcnt(2)
	v_cvt_f64_f32_e32 v[10:11], v10
	s_delay_alu instid0(VALU_DEP_1) | instskip(SKIP_1) | instid1(VALU_DEP_1)
	v_mul_f64 v[10:11], v[4:5], v[10:11]
	s_waitcnt vmcnt(1)
	v_mul_f64 v[10:11], v[0:1], v[10:11]
.LBB96_40:                              ;   Parent Loop BB96_34 Depth=1
                                        ; =>  This Inner Loop Header: Depth=2
	s_waitcnt vmcnt(0)
	s_delay_alu instid0(VALU_DEP_1)
	v_add_f64 v[0:1], v[2:3], v[10:11]
	global_atomic_cmpswap_b64 v[0:1], v[8:9], v[0:3], off glc
	s_waitcnt vmcnt(0)
	v_cmp_eq_u64_e32 vcc_lo, v[0:1], v[2:3]
	v_dual_mov_b32 v3, v1 :: v_dual_mov_b32 v2, v0
	s_or_b32 s18, vcc_lo, s18
	s_delay_alu instid0(SALU_CYCLE_1)
	s_and_not1_b32 exec_lo, exec_lo, s18
	s_cbranch_execnz .LBB96_40
	s_branch .LBB96_33
.LBB96_41:
	s_endpgm
	.section	.rodata,"a",@progbits
	.p2align	6, 0x0
	.amdhsa_kernel _ZL33csrmvn_symm_large_adaptive_kernelIlifdddEvbT_PKS0_N9rocsparse24const_host_device_scalarIT4_EES2_PKT0_PKT1_PKT2_S6_PT3_21rocsparse_index_base_b
		.amdhsa_group_segment_fixed_size 8192
		.amdhsa_private_segment_fixed_size 0
		.amdhsa_kernarg_size 88
		.amdhsa_user_sgpr_count 15
		.amdhsa_user_sgpr_dispatch_ptr 0
		.amdhsa_user_sgpr_queue_ptr 0
		.amdhsa_user_sgpr_kernarg_segment_ptr 1
		.amdhsa_user_sgpr_dispatch_id 0
		.amdhsa_user_sgpr_private_segment_size 0
		.amdhsa_wavefront_size32 1
		.amdhsa_uses_dynamic_stack 0
		.amdhsa_enable_private_segment 0
		.amdhsa_system_sgpr_workgroup_id_x 1
		.amdhsa_system_sgpr_workgroup_id_y 0
		.amdhsa_system_sgpr_workgroup_id_z 0
		.amdhsa_system_sgpr_workgroup_info 0
		.amdhsa_system_vgpr_workitem_id 0
		.amdhsa_next_free_vgpr 18
		.amdhsa_next_free_sgpr 36
		.amdhsa_reserve_vcc 1
		.amdhsa_float_round_mode_32 0
		.amdhsa_float_round_mode_16_64 0
		.amdhsa_float_denorm_mode_32 3
		.amdhsa_float_denorm_mode_16_64 3
		.amdhsa_dx10_clamp 1
		.amdhsa_ieee_mode 1
		.amdhsa_fp16_overflow 0
		.amdhsa_workgroup_processor_mode 1
		.amdhsa_memory_ordered 1
		.amdhsa_forward_progress 0
		.amdhsa_shared_vgpr_count 0
		.amdhsa_exception_fp_ieee_invalid_op 0
		.amdhsa_exception_fp_denorm_src 0
		.amdhsa_exception_fp_ieee_div_zero 0
		.amdhsa_exception_fp_ieee_overflow 0
		.amdhsa_exception_fp_ieee_underflow 0
		.amdhsa_exception_fp_ieee_inexact 0
		.amdhsa_exception_int_div_zero 0
	.end_amdhsa_kernel
	.section	.text._ZL33csrmvn_symm_large_adaptive_kernelIlifdddEvbT_PKS0_N9rocsparse24const_host_device_scalarIT4_EES2_PKT0_PKT1_PKT2_S6_PT3_21rocsparse_index_base_b,"axG",@progbits,_ZL33csrmvn_symm_large_adaptive_kernelIlifdddEvbT_PKS0_N9rocsparse24const_host_device_scalarIT4_EES2_PKT0_PKT1_PKT2_S6_PT3_21rocsparse_index_base_b,comdat
.Lfunc_end96:
	.size	_ZL33csrmvn_symm_large_adaptive_kernelIlifdddEvbT_PKS0_N9rocsparse24const_host_device_scalarIT4_EES2_PKT0_PKT1_PKT2_S6_PT3_21rocsparse_index_base_b, .Lfunc_end96-_ZL33csrmvn_symm_large_adaptive_kernelIlifdddEvbT_PKS0_N9rocsparse24const_host_device_scalarIT4_EES2_PKT0_PKT1_PKT2_S6_PT3_21rocsparse_index_base_b
                                        ; -- End function
	.section	.AMDGPU.csdata,"",@progbits
; Kernel info:
; codeLenInByte = 2120
; NumSgprs: 38
; NumVgprs: 18
; ScratchSize: 0
; MemoryBound: 0
; FloatMode: 240
; IeeeMode: 1
; LDSByteSize: 8192 bytes/workgroup (compile time only)
; SGPRBlocks: 4
; VGPRBlocks: 2
; NumSGPRsForWavesPerEU: 38
; NumVGPRsForWavesPerEU: 18
; Occupancy: 16
; WaveLimiterHint : 1
; COMPUTE_PGM_RSRC2:SCRATCH_EN: 0
; COMPUTE_PGM_RSRC2:USER_SGPR: 15
; COMPUTE_PGM_RSRC2:TRAP_HANDLER: 0
; COMPUTE_PGM_RSRC2:TGID_X_EN: 1
; COMPUTE_PGM_RSRC2:TGID_Y_EN: 0
; COMPUTE_PGM_RSRC2:TGID_Z_EN: 0
; COMPUTE_PGM_RSRC2:TIDIG_COMP_CNT: 0
	.section	.text._ZN9rocsparseL22csrmvn_adaptive_kernelIllfdddEEvbT_PKS1_PjPKT0_NS_24const_host_device_scalarIT4_EES3_S7_PKT1_PKT2_SA_PT3_21rocsparse_index_base_b,"axG",@progbits,_ZN9rocsparseL22csrmvn_adaptive_kernelIllfdddEEvbT_PKS1_PjPKT0_NS_24const_host_device_scalarIT4_EES3_S7_PKT1_PKT2_SA_PT3_21rocsparse_index_base_b,comdat
	.globl	_ZN9rocsparseL22csrmvn_adaptive_kernelIllfdddEEvbT_PKS1_PjPKT0_NS_24const_host_device_scalarIT4_EES3_S7_PKT1_PKT2_SA_PT3_21rocsparse_index_base_b ; -- Begin function _ZN9rocsparseL22csrmvn_adaptive_kernelIllfdddEEvbT_PKS1_PjPKT0_NS_24const_host_device_scalarIT4_EES3_S7_PKT1_PKT2_SA_PT3_21rocsparse_index_base_b
	.p2align	8
	.type	_ZN9rocsparseL22csrmvn_adaptive_kernelIllfdddEEvbT_PKS1_PjPKT0_NS_24const_host_device_scalarIT4_EES3_S7_PKT1_PKT2_SA_PT3_21rocsparse_index_base_b,@function
_ZN9rocsparseL22csrmvn_adaptive_kernelIllfdddEEvbT_PKS1_PjPKT0_NS_24const_host_device_scalarIT4_EES3_S7_PKT1_PKT2_SA_PT3_21rocsparse_index_base_b: ; @_ZN9rocsparseL22csrmvn_adaptive_kernelIllfdddEEvbT_PKS1_PjPKT0_NS_24const_host_device_scalarIT4_EES3_S7_PKT1_PKT2_SA_PT3_21rocsparse_index_base_b
; %bb.0:
	s_clause 0x2
	s_load_b64 s[34:35], s[0:1], 0x60
	s_load_b64 s[4:5], s[0:1], 0x28
	;; [unrolled: 1-line block ×3, first 2 shown]
	s_mov_b32 s38, s15
	s_waitcnt lgkmcnt(0)
	s_bitcmp1_b32 s35, 0
	v_dual_mov_b32 v8, s5 :: v_dual_mov_b32 v7, s4
	s_cselect_b32 s6, -1, 0
	s_delay_alu instid0(SALU_CYCLE_1)
	s_and_b32 vcc_lo, exec_lo, s6
	s_xor_b32 s6, s6, -1
	s_cbranch_vccnz .LBB97_2
; %bb.1:
	v_dual_mov_b32 v1, s4 :: v_dual_mov_b32 v2, s5
	flat_load_b64 v[7:8], v[1:2]
.LBB97_2:
	v_dual_mov_b32 v6, s3 :: v_dual_mov_b32 v5, s2
	s_and_not1_b32 vcc_lo, exec_lo, s6
	s_cbranch_vccnz .LBB97_4
; %bb.3:
	v_dual_mov_b32 v1, s2 :: v_dual_mov_b32 v2, s3
	flat_load_b64 v[5:6], v[1:2]
.LBB97_4:
	s_waitcnt vmcnt(0) lgkmcnt(0)
	v_cmp_neq_f64_e32 vcc_lo, 0, v[7:8]
	v_cmp_neq_f64_e64 s2, 1.0, v[5:6]
	s_delay_alu instid0(VALU_DEP_1) | instskip(NEXT) | instid1(SALU_CYCLE_1)
	s_or_b32 s2, vcc_lo, s2
	s_and_saveexec_b32 s3, s2
	s_cbranch_execz .LBB97_116
; %bb.5:
	s_clause 0x2
	s_load_b64 s[2:3], s[0:1], 0x10
	s_load_b64 s[6:7], s[0:1], 0x20
	;; [unrolled: 1-line block ×3, first 2 shown]
	s_ashr_i32 s39, s38, 31
	s_delay_alu instid0(SALU_CYCLE_1)
	s_lshl_b64 s[4:5], s[38:39], 3
	s_waitcnt lgkmcnt(0)
	s_add_u32 s2, s2, s4
	s_addc_u32 s3, s3, s5
	s_load_b128 s[20:23], s[2:3], 0x0
	s_load_b256 s[12:19], s[0:1], 0x30
	s_waitcnt lgkmcnt(0)
	s_sub_u32 s2, s22, s20
	s_subb_u32 s3, s23, s21
	s_add_u32 s4, s6, s4
	s_addc_u32 s5, s7, s5
	s_lshl_b64 s[36:37], s[20:21], 3
	s_delay_alu instid0(SALU_CYCLE_1) | instskip(SKIP_4) | instid1(VALU_DEP_1)
	s_add_u32 s30, s12, s36
	s_addc_u32 s31, s13, s37
	s_load_b64 s[26:27], s[4:5], 0x0
	s_load_b64 s[28:29], s[30:31], 0x0
	v_cmp_lt_i64_e64 s4, s[2:3], 2
	s_and_b32 vcc_lo, exec_lo, s4
	s_mov_b32 s4, -1
	s_cbranch_vccz .LBB97_72
; %bb.6:
	s_cmp_lg_u64 s[2:3], 1
	s_cselect_b32 s2, -1, 0
	s_waitcnt lgkmcnt(0)
	s_cmp_lg_u64 s[26:27], 0
	s_cselect_b32 s3, -1, 0
	s_delay_alu instid0(SALU_CYCLE_1) | instskip(NEXT) | instid1(SALU_CYCLE_1)
	s_or_b32 s2, s2, s3
	s_and_b32 vcc_lo, exec_lo, s2
	s_mov_b32 s2, -1
	s_cbranch_vccnz .LBB97_35
; %bb.7:
	v_cmp_le_i64_e64 s2, s[22:23], s[20:21]
	s_delay_alu instid0(VALU_DEP_1)
	s_and_b32 vcc_lo, exec_lo, s2
	s_cbranch_vccnz .LBB97_34
; %bb.8:
	v_cmp_neq_f64_e64 s2, 0, v[5:6]
	v_sub_co_u32 v13, s3, v0, s34
	s_delay_alu instid0(VALU_DEP_1)
	v_sub_co_ci_u32_e64 v14, null, 0, 0, s3
	v_dual_mov_b32 v16, 0 :: v_dual_lshlrev_b32 v15, 3, v0
	v_cmp_gt_u32_e64 s3, 0x80, v0
	v_cmp_gt_u32_e64 s4, 64, v0
	;; [unrolled: 1-line block ×7, first 2 shown]
	v_cmp_eq_u32_e64 s10, 0, v0
	s_add_u32 s33, s12, 8
	s_addc_u32 s35, s13, 0
	s_mov_b64 s[42:43], s[28:29]
	s_mov_b64 s[40:41], s[20:21]
	s_branch .LBB97_11
.LBB97_9:                               ;   in Loop: Header=BB97_11 Depth=1
	s_or_b32 exec_lo, exec_lo, s46
	s_add_u32 s44, s24, s44
	s_addc_u32 s45, s25, s45
	s_waitcnt lgkmcnt(0)
	global_store_b64 v16, v[1:2], s[44:45]
.LBB97_10:                              ;   in Loop: Header=BB97_11 Depth=1
	s_or_b32 exec_lo, exec_lo, s11
	s_add_u32 s40, s40, 1
	s_addc_u32 s41, s41, 0
	s_delay_alu instid0(SALU_CYCLE_1) | instskip(NEXT) | instid1(VALU_DEP_1)
	v_cmp_ge_i64_e64 s11, s[40:41], s[22:23]
	s_and_b32 vcc_lo, exec_lo, s11
	s_cbranch_vccnz .LBB97_34
.LBB97_11:                              ; =>This Loop Header: Depth=1
                                        ;     Child Loop BB97_13 Depth 2
	s_lshl_b64 s[44:45], s[40:41], 3
	s_mov_b64 s[48:49], s[42:43]
	s_add_u32 s46, s33, s44
	s_addc_u32 s47, s35, s45
	v_add_co_u32 v1, vcc_lo, s48, v13
	s_load_b64 s[42:43], s[46:47], 0x0
	v_mov_b32_e32 v3, 0
	v_add_co_ci_u32_e32 v2, vcc_lo, s49, v14, vcc_lo
	v_mov_b32_e32 v4, 0
	s_mov_b32 s48, exec_lo
	s_waitcnt lgkmcnt(0)
	s_sub_u32 s46, s42, s34
	s_subb_u32 s47, s43, 0
	s_delay_alu instid0(SALU_CYCLE_1)
	v_cmpx_gt_i64_e64 s[46:47], v[1:2]
	s_cbranch_execz .LBB97_15
; %bb.12:                               ;   in Loop: Header=BB97_11 Depth=1
	v_lshlrev_b64 v[9:10], 2, v[1:2]
	v_lshlrev_b64 v[11:12], 3, v[1:2]
	v_mov_b32_e32 v3, 0
	v_mov_b32_e32 v4, 0
	s_mov_b32 s49, 0
	s_delay_alu instid0(VALU_DEP_4)
	v_add_co_u32 v9, vcc_lo, s16, v9
	v_add_co_ci_u32_e32 v10, vcc_lo, s17, v10, vcc_lo
	v_add_co_u32 v11, vcc_lo, s14, v11
	v_add_co_ci_u32_e32 v12, vcc_lo, s15, v12, vcc_lo
	s_set_inst_prefetch_distance 0x1
	.p2align	6
.LBB97_13:                              ;   Parent Loop BB97_11 Depth=1
                                        ; =>  This Inner Loop Header: Depth=2
	global_load_b64 v[17:18], v[11:12], off
	global_load_b32 v19, v[9:10], off
	v_add_co_u32 v11, s11, 0x800, v11
	s_delay_alu instid0(VALU_DEP_1)
	v_add_co_ci_u32_e64 v12, s11, 0, v12, s11
	s_waitcnt vmcnt(1)
	v_sub_co_u32 v17, vcc_lo, v17, s34
	v_subrev_co_ci_u32_e32 v18, vcc_lo, 0, v18, vcc_lo
	s_waitcnt vmcnt(0)
	v_cvt_f64_f32_e32 v[19:20], v19
	s_delay_alu instid0(VALU_DEP_2) | instskip(NEXT) | instid1(VALU_DEP_1)
	v_lshlrev_b64 v[17:18], 3, v[17:18]
	v_add_co_u32 v17, vcc_lo, s18, v17
	s_delay_alu instid0(VALU_DEP_2)
	v_add_co_ci_u32_e32 v18, vcc_lo, s19, v18, vcc_lo
	v_add_co_u32 v1, vcc_lo, 0x100, v1
	v_add_co_ci_u32_e32 v2, vcc_lo, 0, v2, vcc_lo
	global_load_b64 v[17:18], v[17:18], off
	v_add_co_u32 v9, vcc_lo, 0x400, v9
	v_add_co_ci_u32_e32 v10, vcc_lo, 0, v10, vcc_lo
	v_cmp_le_i64_e32 vcc_lo, s[46:47], v[1:2]
	s_or_b32 s49, vcc_lo, s49
	v_mul_f64 v[19:20], v[7:8], v[19:20]
	s_waitcnt vmcnt(0)
	s_delay_alu instid0(VALU_DEP_1)
	v_fma_f64 v[3:4], v[19:20], v[17:18], v[3:4]
	s_and_not1_b32 exec_lo, exec_lo, s49
	s_cbranch_execnz .LBB97_13
; %bb.14:                               ;   in Loop: Header=BB97_11 Depth=1
	s_set_inst_prefetch_distance 0x2
	s_or_b32 exec_lo, exec_lo, s49
.LBB97_15:                              ;   in Loop: Header=BB97_11 Depth=1
	s_delay_alu instid0(SALU_CYCLE_1)
	s_or_b32 exec_lo, exec_lo, s48
	ds_store_b64 v15, v[3:4]
	s_waitcnt lgkmcnt(0)
	s_waitcnt_vscnt null, 0x0
	s_barrier
	buffer_gl0_inv
	s_and_saveexec_b32 s11, s3
	s_cbranch_execz .LBB97_17
; %bb.16:                               ;   in Loop: Header=BB97_11 Depth=1
	ds_load_2addr_stride64_b64 v[1:4], v15 offset1:2
	s_waitcnt lgkmcnt(0)
	v_add_f64 v[1:2], v[1:2], v[3:4]
	ds_store_b64 v15, v[1:2]
.LBB97_17:                              ;   in Loop: Header=BB97_11 Depth=1
	s_or_b32 exec_lo, exec_lo, s11
	s_waitcnt lgkmcnt(0)
	s_barrier
	buffer_gl0_inv
	s_and_saveexec_b32 s11, s4
	s_cbranch_execz .LBB97_19
; %bb.18:                               ;   in Loop: Header=BB97_11 Depth=1
	ds_load_2addr_stride64_b64 v[1:4], v15 offset1:1
	s_waitcnt lgkmcnt(0)
	v_add_f64 v[1:2], v[1:2], v[3:4]
	ds_store_b64 v15, v[1:2]
.LBB97_19:                              ;   in Loop: Header=BB97_11 Depth=1
	s_or_b32 exec_lo, exec_lo, s11
	s_waitcnt lgkmcnt(0)
	s_barrier
	buffer_gl0_inv
	s_and_saveexec_b32 s11, s5
	s_cbranch_execz .LBB97_21
; %bb.20:                               ;   in Loop: Header=BB97_11 Depth=1
	ds_load_2addr_b64 v[1:4], v15 offset1:32
	s_waitcnt lgkmcnt(0)
	v_add_f64 v[1:2], v[1:2], v[3:4]
	ds_store_b64 v15, v[1:2]
.LBB97_21:                              ;   in Loop: Header=BB97_11 Depth=1
	s_or_b32 exec_lo, exec_lo, s11
	s_waitcnt lgkmcnt(0)
	s_barrier
	buffer_gl0_inv
	s_and_saveexec_b32 s11, s6
	s_cbranch_execz .LBB97_23
; %bb.22:                               ;   in Loop: Header=BB97_11 Depth=1
	ds_load_2addr_b64 v[1:4], v15 offset1:16
	s_waitcnt lgkmcnt(0)
	v_add_f64 v[1:2], v[1:2], v[3:4]
	ds_store_b64 v15, v[1:2]
.LBB97_23:                              ;   in Loop: Header=BB97_11 Depth=1
	;; [unrolled: 12-line block ×5, first 2 shown]
	s_or_b32 exec_lo, exec_lo, s11
	s_waitcnt lgkmcnt(0)
	s_barrier
	buffer_gl0_inv
	s_and_saveexec_b32 s11, s10
	s_cbranch_execz .LBB97_31
; %bb.30:                               ;   in Loop: Header=BB97_11 Depth=1
	ds_load_b128 v[1:4], v16
	s_waitcnt lgkmcnt(0)
	v_add_f64 v[1:2], v[1:2], v[3:4]
	ds_store_b64 v16, v[1:2]
.LBB97_31:                              ;   in Loop: Header=BB97_11 Depth=1
	s_or_b32 exec_lo, exec_lo, s11
	s_waitcnt lgkmcnt(0)
	s_barrier
	buffer_gl0_inv
	s_and_saveexec_b32 s11, s10
	s_cbranch_execz .LBB97_10
; %bb.32:                               ;   in Loop: Header=BB97_11 Depth=1
	ds_load_b64 v[1:2], v16
	s_and_saveexec_b32 s46, s2
	s_cbranch_execz .LBB97_9
; %bb.33:                               ;   in Loop: Header=BB97_11 Depth=1
	s_add_u32 s48, s24, s44
	s_addc_u32 s49, s25, s45
	global_load_b64 v[3:4], v16, s[48:49]
	s_waitcnt vmcnt(0) lgkmcnt(0)
	v_fma_f64 v[1:2], v[5:6], v[3:4], v[1:2]
	s_branch .LBB97_9
.LBB97_34:
	s_mov_b32 s2, 0
.LBB97_35:
	s_delay_alu instid0(SALU_CYCLE_1)
	s_and_not1_b32 vcc_lo, exec_lo, s2
	s_cbranch_vccnz .LBB97_71
; %bb.36:
	s_load_b64 s[6:7], s[0:1], 0x18
	s_sub_u32 s8, s38, s26
	s_subb_u32 s9, s39, s27
	s_lshl_b64 s[2:3], s[38:39], 2
	v_cmp_eq_u32_e32 vcc_lo, 0, v0
	v_mov_b32_e32 v1, 0
	v_mov_b32_e32 v2, 0
	s_waitcnt lgkmcnt(0)
	s_add_u32 s4, s6, s2
	s_addc_u32 s5, s7, s3
	s_cmp_eq_u64 s[26:27], 0
	s_load_b32 s33, s[4:5], 0x0
	s_cselect_b32 s2, -1, 0
	s_cmp_lg_u64 s[26:27], 0
	s_cselect_b32 s35, -1, 0
	s_and_b32 s2, vcc_lo, s2
	s_delay_alu instid0(SALU_CYCLE_1)
	s_and_saveexec_b32 s3, s2
	s_cbranch_execz .LBB97_40
; %bb.37:
	v_add_f64 v[1:2], v[5:6], -1.0
	s_add_u32 s10, s24, s36
	s_addc_u32 s11, s25, s37
	s_mov_b32 s38, exec_lo
	s_load_b64 s[10:11], s[10:11], 0x0
	v_mbcnt_lo_u32_b32 v3, s38, 0
	s_mov_b32 s39, exec_lo
	s_waitcnt vmcnt(0) expcnt(0) lgkmcnt(0)
	s_waitcnt_vscnt null, 0x0
	s_delay_alu instid0(VALU_DEP_1)
	v_cmpx_eq_u32_e32 0, v3
	s_cbranch_execz .LBB97_39
; %bb.38:
	s_lshl_b64 s[40:41], s[8:9], 2
	s_delay_alu instid0(SALU_CYCLE_1) | instskip(SKIP_2) | instid1(SALU_CYCLE_1)
	s_add_u32 s40, s6, s40
	s_addc_u32 s41, s7, s41
	s_bcnt1_i32_b32 s2, s38
	s_and_b32 s2, s2, 1
	s_delay_alu instid0(SALU_CYCLE_1)
	v_dual_mov_b32 v3, 0 :: v_dual_mov_b32 v4, s2
	global_atomic_xor_b32 v3, v4, s[40:41]
.LBB97_39:
	s_or_b32 exec_lo, exec_lo, s39
	s_delay_alu instid0(VALU_DEP_3)
	v_mul_f64 v[1:2], v[1:2], s[10:11]
.LBB97_40:
	s_or_b32 exec_lo, exec_lo, s3
	s_load_b64 s[10:11], s[30:31], 0x8
	s_mul_i32 s2, s27, 0xc00
	s_mul_hi_u32 s3, s26, 0xc00
	s_delay_alu instid0(SALU_CYCLE_1)
	s_add_i32 s3, s3, s2
	s_mul_i32 s2, s26, 0xc00
	s_sub_u32 s38, s28, s34
	s_subb_u32 s40, s29, 0
	s_add_u32 s39, s38, s2
	s_addc_u32 s3, s40, s3
	v_add_co_u32 v3, s2, s39, v0
	s_delay_alu instid0(VALU_DEP_1) | instskip(SKIP_4) | instid1(SALU_CYCLE_1)
	v_add_co_ci_u32_e64 v4, null, s3, 0, s2
	s_mov_b32 s38, exec_lo
	s_waitcnt lgkmcnt(0)
	s_sub_u32 s10, s10, s34
	s_subb_u32 s11, s11, 0
	v_cmpx_gt_i64_e64 s[10:11], v[3:4]
	s_cbranch_execz .LBB97_44
; %bb.41:
	s_add_u32 s40, s39, 0xc00
	v_lshlrev_b64 v[9:10], 2, v[3:4]
	s_addc_u32 s41, s3, 0
	v_lshlrev_b64 v[11:12], 3, v[3:4]
	v_cmp_lt_i64_e64 s3, s[40:41], s[10:11]
	s_mov_b32 s39, 0
	s_delay_alu instid0(VALU_DEP_3) | instskip(NEXT) | instid1(VALU_DEP_1)
	v_add_co_u32 v9, s2, s16, v9
	v_add_co_ci_u32_e64 v10, s2, s17, v10, s2
	s_delay_alu instid0(VALU_DEP_3) | instskip(SKIP_1) | instid1(VALU_DEP_1)
	s_and_b32 s2, s3, exec_lo
	v_add_co_u32 v11, s2, s14, v11
	v_add_co_ci_u32_e64 v12, s2, s15, v12, s2
	s_cselect_b32 s11, s41, s11
	s_cselect_b32 s10, s40, s10
	s_set_inst_prefetch_distance 0x1
	.p2align	6
.LBB97_42:                              ; =>This Inner Loop Header: Depth=1
	global_load_b64 v[13:14], v[11:12], off
	global_load_b32 v15, v[9:10], off
	v_add_co_u32 v11, s3, 0x800, v11
	s_delay_alu instid0(VALU_DEP_1) | instskip(SKIP_2) | instid1(VALU_DEP_1)
	v_add_co_ci_u32_e64 v12, s3, 0, v12, s3
	s_waitcnt vmcnt(1)
	v_sub_co_u32 v13, s2, v13, s34
	v_subrev_co_ci_u32_e64 v14, s2, 0, v14, s2
	s_waitcnt vmcnt(0)
	v_cvt_f64_f32_e32 v[15:16], v15
	s_delay_alu instid0(VALU_DEP_2) | instskip(NEXT) | instid1(VALU_DEP_1)
	v_lshlrev_b64 v[13:14], 3, v[13:14]
	v_add_co_u32 v13, s2, s18, v13
	s_delay_alu instid0(VALU_DEP_1) | instskip(SKIP_1) | instid1(VALU_DEP_1)
	v_add_co_ci_u32_e64 v14, s2, s19, v14, s2
	v_add_co_u32 v3, s2, 0x100, v3
	v_add_co_ci_u32_e64 v4, s2, 0, v4, s2
	global_load_b64 v[13:14], v[13:14], off
	v_add_co_u32 v9, s2, 0x400, v9
	s_delay_alu instid0(VALU_DEP_1) | instskip(SKIP_1) | instid1(VALU_DEP_1)
	v_add_co_ci_u32_e64 v10, s2, 0, v10, s2
	v_cmp_le_i64_e64 s2, s[10:11], v[3:4]
	s_or_b32 s39, s2, s39
	v_mul_f64 v[15:16], v[7:8], v[15:16]
	s_waitcnt vmcnt(0)
	s_delay_alu instid0(VALU_DEP_1)
	v_fma_f64 v[1:2], v[15:16], v[13:14], v[1:2]
	s_and_not1_b32 exec_lo, exec_lo, s39
	s_cbranch_execnz .LBB97_42
; %bb.43:
	s_set_inst_prefetch_distance 0x2
	s_or_b32 exec_lo, exec_lo, s39
.LBB97_44:
	s_delay_alu instid0(SALU_CYCLE_1)
	s_or_b32 exec_lo, exec_lo, s38
	v_lshlrev_b32_e32 v3, 3, v0
	s_mov_b32 s3, exec_lo
	ds_store_b64 v3, v[1:2]
	s_waitcnt lgkmcnt(0)
	s_waitcnt_vscnt null, 0x0
	s_barrier
	buffer_gl0_inv
	v_cmpx_gt_u32_e32 0x80, v0
	s_cbranch_execz .LBB97_46
; %bb.45:
	ds_load_2addr_stride64_b64 v[9:12], v3 offset1:2
	s_waitcnt lgkmcnt(0)
	v_add_f64 v[1:2], v[9:10], v[11:12]
	ds_store_b64 v3, v[1:2]
.LBB97_46:
	s_or_b32 exec_lo, exec_lo, s3
	s_delay_alu instid0(SALU_CYCLE_1)
	s_mov_b32 s3, exec_lo
	s_waitcnt lgkmcnt(0)
	s_barrier
	buffer_gl0_inv
	v_cmpx_gt_u32_e32 64, v0
	s_cbranch_execz .LBB97_48
; %bb.47:
	ds_load_2addr_stride64_b64 v[9:12], v3 offset1:1
	s_waitcnt lgkmcnt(0)
	v_add_f64 v[1:2], v[9:10], v[11:12]
	ds_store_b64 v3, v[1:2]
.LBB97_48:
	s_or_b32 exec_lo, exec_lo, s3
	s_delay_alu instid0(SALU_CYCLE_1)
	s_mov_b32 s3, exec_lo
	s_waitcnt lgkmcnt(0)
	s_barrier
	buffer_gl0_inv
	v_cmpx_gt_u32_e32 32, v0
	s_cbranch_execz .LBB97_50
; %bb.49:
	ds_load_2addr_b64 v[9:12], v3 offset1:32
	s_waitcnt lgkmcnt(0)
	v_add_f64 v[1:2], v[9:10], v[11:12]
	ds_store_b64 v3, v[1:2]
.LBB97_50:
	s_or_b32 exec_lo, exec_lo, s3
	s_delay_alu instid0(SALU_CYCLE_1)
	s_mov_b32 s3, exec_lo
	s_waitcnt lgkmcnt(0)
	s_barrier
	buffer_gl0_inv
	v_cmpx_gt_u32_e32 16, v0
	s_cbranch_execz .LBB97_52
; %bb.51:
	ds_load_2addr_b64 v[9:12], v3 offset1:16
	s_waitcnt lgkmcnt(0)
	v_add_f64 v[1:2], v[9:10], v[11:12]
	ds_store_b64 v3, v[1:2]
.LBB97_52:
	;; [unrolled: 14-line block ×5, first 2 shown]
	s_or_b32 exec_lo, exec_lo, s3
	s_waitcnt lgkmcnt(0)
	s_barrier
	buffer_gl0_inv
	s_and_saveexec_b32 s2, vcc_lo
	s_cbranch_execz .LBB97_60
; %bb.59:
	v_mov_b32_e32 v9, 0
	ds_load_b128 v[1:4], v9
	s_waitcnt lgkmcnt(0)
	v_add_f64 v[1:2], v[1:2], v[3:4]
	ds_store_b64 v9, v[1:2]
.LBB97_60:
	s_or_b32 exec_lo, exec_lo, s2
	s_waitcnt lgkmcnt(0)
	s_barrier
	buffer_gl0_inv
	s_and_saveexec_b32 s10, vcc_lo
	s_cbranch_execz .LBB97_70
; %bb.61:
	s_and_not1_b32 vcc_lo, exec_lo, s35
	s_cbranch_vccnz .LBB97_67
; %bb.62:
	s_lshl_b64 s[2:3], s[8:9], 2
	v_mov_b32_e32 v1, 0
	s_add_u32 s2, s6, s2
	s_addc_u32 s3, s7, s3
	s_branch .LBB97_64
.LBB97_63:                              ;   in Loop: Header=BB97_64 Depth=1
	s_or_b32 exec_lo, exec_lo, s6
	s_waitcnt vmcnt(0)
	v_readfirstlane_b32 s6, v2
	s_delay_alu instid0(VALU_DEP_1)
	s_cmp_eq_u32 s6, s33
	s_cbranch_scc0 .LBB97_66
.LBB97_64:                              ; =>This Inner Loop Header: Depth=1
	v_mbcnt_lo_u32_b32 v2, exec_lo, 0
	s_delay_alu instid0(VALU_DEP_1)
	v_cmp_eq_u32_e32 vcc_lo, 0, v2
                                        ; implicit-def: $vgpr2
	s_and_saveexec_b32 s6, vcc_lo
	s_cbranch_execz .LBB97_63
; %bb.65:                               ;   in Loop: Header=BB97_64 Depth=1
	global_load_b32 v2, v1, s[2:3] glc
	s_branch .LBB97_63
.LBB97_66:
	v_mov_b32_e32 v1, 0
	global_load_b32 v2, v1, s[4:5]
	s_waitcnt vmcnt(0)
	v_xor_b32_e32 v2, 1, v2
	global_store_b32 v1, v2, s[4:5]
.LBB97_67:
	s_mov_b32 s5, exec_lo
	s_mov_b32 s4, 0
	v_mbcnt_lo_u32_b32 v1, s5, 0
	s_delay_alu instid0(VALU_DEP_1) | instskip(SKIP_1) | instid1(SALU_CYCLE_1)
	v_cmp_eq_u32_e32 vcc_lo, 0, v1
	s_and_b32 s2, exec_lo, vcc_lo
	s_mov_b32 exec_lo, s2
	s_cbranch_execz .LBB97_70
; %bb.68:
	v_mov_b32_e32 v11, 0
	s_add_u32 s2, s24, s36
	s_addc_u32 s3, s25, s37
	s_bcnt1_i32_b32 s5, s5
	s_delay_alu instid0(SALU_CYCLE_1)
	v_cvt_f64_u32_e32 v[1:2], s5
	global_load_b64 v[3:4], v11, s[2:3]
	ds_load_b64 v[9:10], v11
	s_waitcnt lgkmcnt(0)
	v_mul_f64 v[9:10], v[9:10], v[1:2]
.LBB97_69:                              ; =>This Inner Loop Header: Depth=1
	s_waitcnt vmcnt(0)
	s_delay_alu instid0(VALU_DEP_1)
	v_add_f64 v[1:2], v[3:4], v[9:10]
	global_atomic_cmpswap_b64 v[1:2], v11, v[1:4], s[2:3] glc
	s_waitcnt vmcnt(0)
	v_cmp_eq_u64_e32 vcc_lo, v[1:2], v[3:4]
	v_dual_mov_b32 v4, v2 :: v_dual_mov_b32 v3, v1
	s_or_b32 s4, vcc_lo, s4
	s_delay_alu instid0(SALU_CYCLE_1)
	s_and_not1_b32 exec_lo, exec_lo, s4
	s_cbranch_execnz .LBB97_69
.LBB97_70:
	s_or_b32 exec_lo, exec_lo, s10
.LBB97_71:
	s_mov_b32 s4, 0
.LBB97_72:
	s_delay_alu instid0(SALU_CYCLE_1)
	s_and_not1_b32 vcc_lo, exec_lo, s4
	s_cbranch_vccnz .LBB97_116
; %bb.73:
	s_load_b64 s[0:1], s[0:1], 0x8
	v_sub_co_u32 v1, s2, v0, s34
	s_delay_alu instid0(VALU_DEP_1) | instskip(SKIP_1) | instid1(VALU_DEP_2)
	v_sub_co_ci_u32_e64 v2, null, 0, 0, s2
	s_waitcnt lgkmcnt(0)
	v_add_co_u32 v1, vcc_lo, s28, v1
	s_delay_alu instid0(VALU_DEP_2) | instskip(NEXT) | instid1(VALU_DEP_2)
	v_add_co_ci_u32_e32 v2, vcc_lo, s29, v2, vcc_lo
	v_add_co_u32 v3, vcc_lo, 0x300, v1
	s_delay_alu instid0(VALU_DEP_2) | instskip(NEXT) | instid1(VALU_DEP_1)
	v_add_co_ci_u32_e32 v4, vcc_lo, 0, v2, vcc_lo
	v_cmp_le_i64_e32 vcc_lo, s[0:1], v[3:4]
	s_and_saveexec_b32 s0, vcc_lo
	s_delay_alu instid0(SALU_CYCLE_1)
	s_xor_b32 s1, exec_lo, s0
	s_cbranch_execz .LBB97_78
; %bb.74:
	s_lshl_b64 s[2:3], s[22:23], 3
	s_mov_b32 s4, exec_lo
	s_add_u32 s2, s12, s2
	s_addc_u32 s3, s13, s3
	s_load_b64 s[2:3], s[2:3], 0x0
	s_waitcnt lgkmcnt(0)
	s_sub_u32 s2, s2, s34
	s_subb_u32 s3, s3, 0
	s_delay_alu instid0(SALU_CYCLE_1)
	v_cmpx_gt_i64_e64 s[2:3], v[1:2]
	s_cbranch_execz .LBB97_77
; %bb.75:
	v_lshlrev_b64 v[3:4], 2, v[1:2]
	v_lshlrev_b64 v[9:10], 3, v[1:2]
	v_lshlrev_b32_e32 v11, 3, v0
	s_mov_b32 s5, 0
	s_delay_alu instid0(VALU_DEP_3) | instskip(NEXT) | instid1(VALU_DEP_4)
	v_add_co_u32 v3, vcc_lo, s16, v3
	v_add_co_ci_u32_e32 v4, vcc_lo, s17, v4, vcc_lo
	s_delay_alu instid0(VALU_DEP_4)
	v_add_co_u32 v9, vcc_lo, s14, v9
	v_add_co_ci_u32_e32 v10, vcc_lo, s15, v10, vcc_lo
	s_set_inst_prefetch_distance 0x1
	.p2align	6
.LBB97_76:                              ; =>This Inner Loop Header: Depth=1
	global_load_b64 v[12:13], v[9:10], off
	global_load_b32 v14, v[3:4], off
	s_waitcnt vmcnt(1)
	v_sub_co_u32 v12, vcc_lo, v12, s34
	v_subrev_co_ci_u32_e32 v13, vcc_lo, 0, v13, vcc_lo
	s_waitcnt vmcnt(0)
	v_cvt_f64_f32_e32 v[14:15], v14
	s_delay_alu instid0(VALU_DEP_2) | instskip(NEXT) | instid1(VALU_DEP_1)
	v_lshlrev_b64 v[12:13], 3, v[12:13]
	v_add_co_u32 v12, vcc_lo, s18, v12
	s_delay_alu instid0(VALU_DEP_2)
	v_add_co_ci_u32_e32 v13, vcc_lo, s19, v13, vcc_lo
	v_add_co_u32 v1, vcc_lo, 0x100, v1
	v_add_co_ci_u32_e32 v2, vcc_lo, 0, v2, vcc_lo
	global_load_b64 v[12:13], v[12:13], off
	v_add_co_u32 v3, vcc_lo, 0x400, v3
	v_add_co_ci_u32_e32 v4, vcc_lo, 0, v4, vcc_lo
	v_cmp_le_i64_e64 s0, s[2:3], v[1:2]
	v_add_co_u32 v9, vcc_lo, 0x800, v9
	v_add_co_ci_u32_e32 v10, vcc_lo, 0, v10, vcc_lo
	s_delay_alu instid0(VALU_DEP_3) | instskip(SKIP_2) | instid1(VALU_DEP_1)
	s_or_b32 s5, s0, s5
	v_mul_f64 v[14:15], v[7:8], v[14:15]
	s_waitcnt vmcnt(0)
	v_mul_f64 v[12:13], v[14:15], v[12:13]
	ds_store_b64 v11, v[12:13]
	v_add_nc_u32_e32 v11, 0x800, v11
	s_and_not1_b32 exec_lo, exec_lo, s5
	s_cbranch_execnz .LBB97_76
.LBB97_77:
	s_set_inst_prefetch_distance 0x2
	s_or_b32 exec_lo, exec_lo, s4
                                        ; implicit-def: $vgpr1_vgpr2
                                        ; implicit-def: $vgpr7_vgpr8
.LBB97_78:
	s_or_saveexec_b32 s0, s1
	v_lshlrev_b32_e32 v15, 3, v0
	s_xor_b32 exec_lo, exec_lo, s0
	s_cbranch_execz .LBB97_80
; %bb.79:
	v_lshlrev_b64 v[3:4], 3, v[1:2]
	v_lshlrev_b64 v[1:2], 2, v[1:2]
	s_delay_alu instid0(VALU_DEP_2) | instskip(NEXT) | instid1(VALU_DEP_3)
	v_add_co_u32 v3, vcc_lo, s14, v3
	v_add_co_ci_u32_e32 v4, vcc_lo, s15, v4, vcc_lo
	s_delay_alu instid0(VALU_DEP_2)
	v_add_co_u32 v11, vcc_lo, 0x1000, v3
	global_load_b64 v[9:10], v[3:4], off
	v_add_co_ci_u32_e32 v12, vcc_lo, 0, v4, vcc_lo
	v_add_co_u32 v1, vcc_lo, s16, v1
	s_clause 0x2
	global_load_b64 v[3:4], v[3:4], off offset:2048
	global_load_b64 v[13:14], v[11:12], off
	global_load_b64 v[11:12], v[11:12], off offset:2048
	v_add_co_ci_u32_e32 v2, vcc_lo, s17, v2, vcc_lo
	s_clause 0x3
	global_load_b32 v16, v[1:2], off
	global_load_b32 v17, v[1:2], off offset:1024
	global_load_b32 v18, v[1:2], off offset:2048
	;; [unrolled: 1-line block ×3, first 2 shown]
	s_waitcnt vmcnt(7)
	v_sub_co_u32 v1, vcc_lo, v9, s34
	v_subrev_co_ci_u32_e32 v2, vcc_lo, 0, v10, vcc_lo
	s_waitcnt vmcnt(6)
	v_sub_co_u32 v3, vcc_lo, v3, s34
	v_subrev_co_ci_u32_e32 v4, vcc_lo, 0, v4, vcc_lo
	s_waitcnt vmcnt(5)
	v_sub_co_u32 v9, vcc_lo, v13, s34
	v_lshlrev_b64 v[1:2], 3, v[1:2]
	v_subrev_co_ci_u32_e32 v10, vcc_lo, 0, v14, vcc_lo
	s_waitcnt vmcnt(4)
	v_sub_co_u32 v11, vcc_lo, v11, s34
	v_lshlrev_b64 v[3:4], 3, v[3:4]
	v_subrev_co_ci_u32_e32 v12, vcc_lo, 0, v12, vcc_lo
	v_lshlrev_b64 v[9:10], 3, v[9:10]
	v_add_co_u32 v1, vcc_lo, s18, v1
	v_add_co_ci_u32_e32 v2, vcc_lo, s19, v2, vcc_lo
	s_delay_alu instid0(VALU_DEP_4)
	v_lshlrev_b64 v[11:12], 3, v[11:12]
	v_add_co_u32 v3, vcc_lo, s18, v3
	v_add_co_ci_u32_e32 v4, vcc_lo, s19, v4, vcc_lo
	v_add_co_u32 v9, vcc_lo, s18, v9
	v_add_co_ci_u32_e32 v10, vcc_lo, s19, v10, vcc_lo
	;; [unrolled: 2-line block ×3, first 2 shown]
	s_clause 0x3
	global_load_b64 v[1:2], v[1:2], off
	global_load_b64 v[3:4], v[3:4], off
	;; [unrolled: 1-line block ×4, first 2 shown]
	s_waitcnt vmcnt(7)
	v_cvt_f64_f32_e32 v[13:14], v16
	s_waitcnt vmcnt(6)
	v_cvt_f64_f32_e32 v[16:17], v17
	;; [unrolled: 2-line block ×4, first 2 shown]
	s_delay_alu instid0(VALU_DEP_4) | instskip(NEXT) | instid1(VALU_DEP_4)
	v_mul_f64 v[13:14], v[7:8], v[13:14]
	v_mul_f64 v[16:17], v[7:8], v[16:17]
	s_delay_alu instid0(VALU_DEP_4) | instskip(NEXT) | instid1(VALU_DEP_4)
	v_mul_f64 v[18:19], v[7:8], v[18:19]
	v_mul_f64 v[7:8], v[7:8], v[20:21]
	s_waitcnt vmcnt(3)
	s_delay_alu instid0(VALU_DEP_4) | instskip(SKIP_1) | instid1(VALU_DEP_4)
	v_mul_f64 v[1:2], v[13:14], v[1:2]
	s_waitcnt vmcnt(2)
	v_mul_f64 v[3:4], v[16:17], v[3:4]
	s_waitcnt vmcnt(1)
	s_delay_alu instid0(VALU_DEP_4) | instskip(SKIP_1) | instid1(VALU_DEP_4)
	v_mul_f64 v[9:10], v[18:19], v[9:10]
	s_waitcnt vmcnt(0)
	v_mul_f64 v[7:8], v[7:8], v[11:12]
	ds_store_2addr_stride64_b64 v15, v[1:2], v[3:4] offset1:4
	ds_store_2addr_stride64_b64 v15, v[9:10], v[7:8] offset0:8 offset1:12
.LBB97_80:
	s_or_b32 exec_lo, exec_lo, s0
	v_cmp_lt_i64_e64 s0, s[26:27], 2
	s_waitcnt lgkmcnt(0)
	s_waitcnt_vscnt null, 0x0
	s_barrier
	buffer_gl0_inv
	s_and_b32 vcc_lo, exec_lo, s0
	s_mov_b32 s0, -1
	s_cbranch_vccz .LBB97_91
; %bb.81:
	v_add_co_u32 v7, s0, s20, v0
	s_delay_alu instid0(VALU_DEP_1) | instskip(SKIP_1) | instid1(VALU_DEP_1)
	v_add_co_ci_u32_e64 v8, null, s21, 0, s0
	s_mov_b32 s2, exec_lo
	v_cmpx_gt_i64_e64 s[22:23], v[7:8]
	s_cbranch_execz .LBB97_90
; %bb.82:
	v_cmp_neq_f64_e32 vcc_lo, 0, v[5:6]
	s_lshl_b32 s0, s28, 3
	s_mov_b32 s3, 0
	s_sub_i32 s4, 0, s0
	s_branch .LBB97_84
.LBB97_83:                              ;   in Loop: Header=BB97_84 Depth=1
	s_or_b32 exec_lo, exec_lo, s1
	v_add_co_u32 v7, s0, 0x100, v7
	s_delay_alu instid0(VALU_DEP_1) | instskip(SKIP_1) | instid1(VALU_DEP_1)
	v_add_co_ci_u32_e64 v8, s0, 0, v8, s0
	v_add_co_u32 v1, s1, s24, v9
	v_add_co_ci_u32_e64 v2, s1, s25, v10, s1
	s_delay_alu instid0(VALU_DEP_3) | instskip(SKIP_2) | instid1(SALU_CYCLE_1)
	v_cmp_le_i64_e64 s0, s[22:23], v[7:8]
	global_store_b64 v[1:2], v[11:12], off
	s_or_b32 s3, s0, s3
	s_and_not1_b32 exec_lo, exec_lo, s3
	s_cbranch_execz .LBB97_90
.LBB97_84:                              ; =>This Loop Header: Depth=1
                                        ;     Child Loop BB97_86 Depth 2
	v_lshlrev_b64 v[9:10], 3, v[7:8]
	v_mov_b32_e32 v11, 0
	v_mov_b32_e32 v12, 0
	s_mov_b32 s1, exec_lo
	s_delay_alu instid0(VALU_DEP_3) | instskip(NEXT) | instid1(VALU_DEP_1)
	v_add_co_u32 v1, s0, s12, v9
	v_add_co_ci_u32_e64 v2, s0, s13, v10, s0
	global_load_b128 v[1:4], v[1:2], off
	s_waitcnt vmcnt(0)
	v_cmpx_lt_i64_e64 v[1:2], v[3:4]
	s_cbranch_execz .LBB97_88
; %bb.85:                               ;   in Loop: Header=BB97_84 Depth=1
	v_sub_co_u32 v3, s0, v3, s28
	s_delay_alu instid0(VALU_DEP_1)
	v_subrev_co_ci_u32_e64 v4, s0, s29, v4, s0
	v_sub_co_u32 v13, s0, v1, s28
	v_mov_b32_e32 v11, 0
	v_subrev_co_ci_u32_e64 v14, s0, s29, v2, s0
	v_mov_b32_e32 v12, 0
	v_lshl_add_u32 v1, v1, 3, s4
	s_mov_b32 s5, 0
.LBB97_86:                              ;   Parent Loop BB97_84 Depth=1
                                        ; =>  This Inner Loop Header: Depth=2
	ds_load_b64 v[16:17], v1
	v_add_co_u32 v13, s0, v13, 1
	s_delay_alu instid0(VALU_DEP_1) | instskip(SKIP_1) | instid1(VALU_DEP_2)
	v_add_co_ci_u32_e64 v14, s0, 0, v14, s0
	v_add_nc_u32_e32 v1, 8, v1
	v_cmp_ge_i64_e64 s0, v[13:14], v[3:4]
	s_delay_alu instid0(VALU_DEP_1)
	s_or_b32 s5, s0, s5
	s_waitcnt lgkmcnt(0)
	v_add_f64 v[11:12], v[11:12], v[16:17]
	s_and_not1_b32 exec_lo, exec_lo, s5
	s_cbranch_execnz .LBB97_86
; %bb.87:                               ;   in Loop: Header=BB97_84 Depth=1
	s_or_b32 exec_lo, exec_lo, s5
.LBB97_88:                              ;   in Loop: Header=BB97_84 Depth=1
	s_delay_alu instid0(SALU_CYCLE_1)
	s_or_b32 exec_lo, exec_lo, s1
	s_and_saveexec_b32 s1, vcc_lo
	s_cbranch_execz .LBB97_83
; %bb.89:                               ;   in Loop: Header=BB97_84 Depth=1
	v_add_co_u32 v1, s0, s24, v9
	s_delay_alu instid0(VALU_DEP_1)
	v_add_co_ci_u32_e64 v2, s0, s25, v10, s0
	global_load_b64 v[1:2], v[1:2], off
	s_waitcnt vmcnt(0)
	v_fma_f64 v[11:12], v[5:6], v[1:2], v[11:12]
	s_branch .LBB97_83
.LBB97_90:
	s_or_b32 exec_lo, exec_lo, s2
	s_mov_b32 s0, 0
.LBB97_91:
	s_delay_alu instid0(SALU_CYCLE_1)
	s_and_not1_b32 vcc_lo, exec_lo, s0
	s_cbranch_vccnz .LBB97_116
; %bb.92:
	s_clz_i32_u32 s0, s26
	s_add_i32 s1, s26, -1
	s_min_u32 s0, s0, 32
	v_mov_b32_e32 v7, 0
	s_sub_i32 s0, 31, s0
	v_dual_mov_b32 v8, 0 :: v_dual_and_b32 v3, s1, v0
	v_lshrrev_b32_e32 v9, s0, v0
	s_mov_b32 s1, exec_lo
	s_delay_alu instid0(VALU_DEP_1) | instskip(NEXT) | instid1(VALU_DEP_1)
	v_add_co_u32 v1, s0, s20, v9
	v_add_co_ci_u32_e64 v2, null, s21, 0, s0
	v_and_b32_e64 v4, s0, 0
	s_delay_alu instid0(VALU_DEP_2)
	v_cmp_le_i64_e64 s0, s[22:23], v[1:2]
	v_cmpx_gt_i64_e64 s[22:23], v[1:2]
	s_cbranch_execz .LBB97_98
; %bb.93:
	v_lshlrev_b32_e32 v0, 3, v9
	s_mov_b32 s2, exec_lo
	global_load_b128 v[7:10], v0, s[30:31]
	v_sub_co_u32 v0, vcc_lo, v3, s28
	v_subrev_co_ci_u32_e32 v12, vcc_lo, s29, v4, vcc_lo
	s_waitcnt vmcnt(0)
	v_sub_co_u32 v9, vcc_lo, v9, s28
	v_subrev_co_ci_u32_e32 v10, vcc_lo, s29, v10, vcc_lo
	v_add_co_u32 v11, vcc_lo, v7, v0
	v_add_co_ci_u32_e32 v12, vcc_lo, v8, v12, vcc_lo
	v_mov_b32_e32 v7, 0
	v_mov_b32_e32 v8, 0
	s_delay_alu instid0(VALU_DEP_3)
	v_cmpx_lt_i64_e64 v[11:12], v[9:10]
	s_cbranch_execz .LBB97_97
; %bb.94:
	v_dual_mov_b32 v7, 0 :: v_dual_lshlrev_b32 v0, 3, v11
	v_mov_b32_e32 v8, 0
	s_lshl_b32 s4, s26, 3
	s_mov_b32 s3, 0
.LBB97_95:                              ; =>This Inner Loop Header: Depth=1
	ds_load_b64 v[13:14], v0
	v_add_co_u32 v11, vcc_lo, v11, s26
	v_add_co_ci_u32_e32 v12, vcc_lo, s27, v12, vcc_lo
	v_add_nc_u32_e32 v0, s4, v0
	s_delay_alu instid0(VALU_DEP_2)
	v_cmp_ge_i64_e32 vcc_lo, v[11:12], v[9:10]
	s_or_b32 s3, vcc_lo, s3
	s_waitcnt lgkmcnt(0)
	v_add_f64 v[7:8], v[7:8], v[13:14]
	s_and_not1_b32 exec_lo, exec_lo, s3
	s_cbranch_execnz .LBB97_95
; %bb.96:
	s_or_b32 exec_lo, exec_lo, s3
.LBB97_97:
	s_delay_alu instid0(SALU_CYCLE_1)
	s_or_b32 exec_lo, exec_lo, s2
.LBB97_98:
	s_delay_alu instid0(SALU_CYCLE_1)
	s_or_b32 exec_lo, exec_lo, s1
	v_cmp_gt_i64_e64 s1, 0x81, s[26:27]
	s_waitcnt_vscnt null, 0x0
	s_barrier
	buffer_gl0_inv
	ds_store_b64 v15, v[7:8]
	s_waitcnt lgkmcnt(0)
	s_and_b32 vcc_lo, exec_lo, s1
	s_barrier
	buffer_gl0_inv
	s_cbranch_vccnz .LBB97_100
; %bb.99:
	ds_load_b64 v[9:10], v15 offset:1024
	s_waitcnt lgkmcnt(0)
	s_barrier
	buffer_gl0_inv
	v_add_f64 v[7:8], v[7:8], v[9:10]
	ds_store_b64 v15, v[7:8]
.LBB97_100:
	v_cmp_gt_i64_e64 s1, 0x41, s[26:27]
	s_waitcnt lgkmcnt(0)
	s_barrier
	buffer_gl0_inv
	s_and_b32 vcc_lo, exec_lo, s1
	s_cbranch_vccnz .LBB97_102
; %bb.101:
	ds_load_b64 v[9:10], v15 offset:512
	s_waitcnt lgkmcnt(0)
	s_barrier
	buffer_gl0_inv
	v_add_f64 v[7:8], v[7:8], v[9:10]
	ds_store_b64 v15, v[7:8]
.LBB97_102:
	v_cmp_lt_i64_e64 s1, s[26:27], 33
	s_waitcnt lgkmcnt(0)
	s_barrier
	buffer_gl0_inv
	s_and_b32 vcc_lo, exec_lo, s1
	s_cbranch_vccnz .LBB97_104
; %bb.103:
	ds_load_b64 v[9:10], v15 offset:256
	s_waitcnt lgkmcnt(0)
	s_barrier
	buffer_gl0_inv
	v_add_f64 v[7:8], v[7:8], v[9:10]
	ds_store_b64 v15, v[7:8]
.LBB97_104:
	v_cmp_lt_i64_e64 s1, s[26:27], 17
	s_waitcnt lgkmcnt(0)
	s_barrier
	buffer_gl0_inv
	s_and_b32 vcc_lo, exec_lo, s1
	s_cbranch_vccnz .LBB97_106
; %bb.105:
	ds_load_b64 v[9:10], v15 offset:128
	s_waitcnt lgkmcnt(0)
	s_barrier
	buffer_gl0_inv
	v_add_f64 v[7:8], v[7:8], v[9:10]
	ds_store_b64 v15, v[7:8]
.LBB97_106:
	v_cmp_lt_i64_e64 s1, s[26:27], 9
	s_waitcnt lgkmcnt(0)
	s_barrier
	buffer_gl0_inv
	s_and_b32 vcc_lo, exec_lo, s1
	s_cbranch_vccnz .LBB97_108
; %bb.107:
	ds_load_b64 v[9:10], v15 offset:64
	s_waitcnt lgkmcnt(0)
	s_barrier
	buffer_gl0_inv
	v_add_f64 v[7:8], v[7:8], v[9:10]
	ds_store_b64 v15, v[7:8]
.LBB97_108:
	v_cmp_lt_i64_e64 s1, s[26:27], 5
	s_waitcnt lgkmcnt(0)
	s_barrier
	buffer_gl0_inv
	s_and_b32 vcc_lo, exec_lo, s1
	s_cbranch_vccnz .LBB97_110
; %bb.109:
	ds_load_b64 v[9:10], v15 offset:32
	s_waitcnt lgkmcnt(0)
	s_barrier
	buffer_gl0_inv
	v_add_f64 v[7:8], v[7:8], v[9:10]
	ds_store_b64 v15, v[7:8]
.LBB97_110:
	s_cmp_eq_u64 s[26:27], 2
	s_waitcnt lgkmcnt(0)
	s_barrier
	buffer_gl0_inv
	s_cbranch_scc1 .LBB97_112
; %bb.111:
	ds_load_b64 v[9:10], v15 offset:16
	s_waitcnt lgkmcnt(0)
	s_barrier
	buffer_gl0_inv
	v_add_f64 v[7:8], v[7:8], v[9:10]
	ds_store_b64 v15, v[7:8]
.LBB97_112:
	s_waitcnt lgkmcnt(0)
	s_barrier
	buffer_gl0_inv
	ds_load_b64 v[9:10], v15 offset:8
	v_cmp_eq_u64_e32 vcc_lo, 0, v[3:4]
	s_xor_b32 s0, s0, -1
	s_waitcnt lgkmcnt(0)
	s_barrier
	buffer_gl0_inv
	s_and_b32 s0, vcc_lo, s0
	v_add_f64 v[7:8], v[7:8], v[9:10]
	ds_store_b64 v15, v[7:8]
	s_and_b32 exec_lo, exec_lo, s0
	s_cbranch_execz .LBB97_116
; %bb.113:
	v_lshlrev_b64 v[0:1], 3, v[1:2]
	s_mov_b32 s0, exec_lo
	v_cmpx_neq_f64_e32 0, v[5:6]
	s_cbranch_execz .LBB97_115
; %bb.114:
	s_delay_alu instid0(VALU_DEP_2) | instskip(NEXT) | instid1(VALU_DEP_3)
	v_add_co_u32 v2, vcc_lo, s24, v0
	v_add_co_ci_u32_e32 v3, vcc_lo, s25, v1, vcc_lo
	global_load_b64 v[2:3], v[2:3], off
	s_waitcnt vmcnt(0)
	v_fma_f64 v[7:8], v[5:6], v[2:3], v[7:8]
.LBB97_115:
	s_or_b32 exec_lo, exec_lo, s0
	s_delay_alu instid0(VALU_DEP_2)
	v_add_co_u32 v0, vcc_lo, s24, v0
	v_add_co_ci_u32_e32 v1, vcc_lo, s25, v1, vcc_lo
	global_store_b64 v[0:1], v[7:8], off
.LBB97_116:
	s_nop 0
	s_sendmsg sendmsg(MSG_DEALLOC_VGPRS)
	s_endpgm
	.section	.rodata,"a",@progbits
	.p2align	6, 0x0
	.amdhsa_kernel _ZN9rocsparseL22csrmvn_adaptive_kernelIllfdddEEvbT_PKS1_PjPKT0_NS_24const_host_device_scalarIT4_EES3_S7_PKT1_PKT2_SA_PT3_21rocsparse_index_base_b
		.amdhsa_group_segment_fixed_size 8192
		.amdhsa_private_segment_fixed_size 0
		.amdhsa_kernarg_size 104
		.amdhsa_user_sgpr_count 15
		.amdhsa_user_sgpr_dispatch_ptr 0
		.amdhsa_user_sgpr_queue_ptr 0
		.amdhsa_user_sgpr_kernarg_segment_ptr 1
		.amdhsa_user_sgpr_dispatch_id 0
		.amdhsa_user_sgpr_private_segment_size 0
		.amdhsa_wavefront_size32 1
		.amdhsa_uses_dynamic_stack 0
		.amdhsa_enable_private_segment 0
		.amdhsa_system_sgpr_workgroup_id_x 1
		.amdhsa_system_sgpr_workgroup_id_y 0
		.amdhsa_system_sgpr_workgroup_id_z 0
		.amdhsa_system_sgpr_workgroup_info 0
		.amdhsa_system_vgpr_workitem_id 0
		.amdhsa_next_free_vgpr 22
		.amdhsa_next_free_sgpr 50
		.amdhsa_reserve_vcc 1
		.amdhsa_float_round_mode_32 0
		.amdhsa_float_round_mode_16_64 0
		.amdhsa_float_denorm_mode_32 3
		.amdhsa_float_denorm_mode_16_64 3
		.amdhsa_dx10_clamp 1
		.amdhsa_ieee_mode 1
		.amdhsa_fp16_overflow 0
		.amdhsa_workgroup_processor_mode 1
		.amdhsa_memory_ordered 1
		.amdhsa_forward_progress 0
		.amdhsa_shared_vgpr_count 0
		.amdhsa_exception_fp_ieee_invalid_op 0
		.amdhsa_exception_fp_denorm_src 0
		.amdhsa_exception_fp_ieee_div_zero 0
		.amdhsa_exception_fp_ieee_overflow 0
		.amdhsa_exception_fp_ieee_underflow 0
		.amdhsa_exception_fp_ieee_inexact 0
		.amdhsa_exception_int_div_zero 0
	.end_amdhsa_kernel
	.section	.text._ZN9rocsparseL22csrmvn_adaptive_kernelIllfdddEEvbT_PKS1_PjPKT0_NS_24const_host_device_scalarIT4_EES3_S7_PKT1_PKT2_SA_PT3_21rocsparse_index_base_b,"axG",@progbits,_ZN9rocsparseL22csrmvn_adaptive_kernelIllfdddEEvbT_PKS1_PjPKT0_NS_24const_host_device_scalarIT4_EES3_S7_PKT1_PKT2_SA_PT3_21rocsparse_index_base_b,comdat
.Lfunc_end97:
	.size	_ZN9rocsparseL22csrmvn_adaptive_kernelIllfdddEEvbT_PKS1_PjPKT0_NS_24const_host_device_scalarIT4_EES3_S7_PKT1_PKT2_SA_PT3_21rocsparse_index_base_b, .Lfunc_end97-_ZN9rocsparseL22csrmvn_adaptive_kernelIllfdddEEvbT_PKS1_PjPKT0_NS_24const_host_device_scalarIT4_EES3_S7_PKT1_PKT2_SA_PT3_21rocsparse_index_base_b
                                        ; -- End function
	.section	.AMDGPU.csdata,"",@progbits
; Kernel info:
; codeLenInByte = 5132
; NumSgprs: 52
; NumVgprs: 22
; ScratchSize: 0
; MemoryBound: 0
; FloatMode: 240
; IeeeMode: 1
; LDSByteSize: 8192 bytes/workgroup (compile time only)
; SGPRBlocks: 6
; VGPRBlocks: 2
; NumSGPRsForWavesPerEU: 52
; NumVGPRsForWavesPerEU: 22
; Occupancy: 16
; WaveLimiterHint : 1
; COMPUTE_PGM_RSRC2:SCRATCH_EN: 0
; COMPUTE_PGM_RSRC2:USER_SGPR: 15
; COMPUTE_PGM_RSRC2:TRAP_HANDLER: 0
; COMPUTE_PGM_RSRC2:TGID_X_EN: 1
; COMPUTE_PGM_RSRC2:TGID_Y_EN: 0
; COMPUTE_PGM_RSRC2:TGID_Z_EN: 0
; COMPUTE_PGM_RSRC2:TIDIG_COMP_CNT: 0
	.section	.text._ZN9rocsparseL27csrmvn_symm_adaptive_kernelIllfdddEEvbT_S1_PKS1_NS_24const_host_device_scalarIT4_EES3_PKT0_PKT1_PKT2_S6_PT3_21rocsparse_index_base_b,"axG",@progbits,_ZN9rocsparseL27csrmvn_symm_adaptive_kernelIllfdddEEvbT_S1_PKS1_NS_24const_host_device_scalarIT4_EES3_PKT0_PKT1_PKT2_S6_PT3_21rocsparse_index_base_b,comdat
	.globl	_ZN9rocsparseL27csrmvn_symm_adaptive_kernelIllfdddEEvbT_S1_PKS1_NS_24const_host_device_scalarIT4_EES3_PKT0_PKT1_PKT2_S6_PT3_21rocsparse_index_base_b ; -- Begin function _ZN9rocsparseL27csrmvn_symm_adaptive_kernelIllfdddEEvbT_S1_PKS1_NS_24const_host_device_scalarIT4_EES3_PKT0_PKT1_PKT2_S6_PT3_21rocsparse_index_base_b
	.p2align	8
	.type	_ZN9rocsparseL27csrmvn_symm_adaptive_kernelIllfdddEEvbT_S1_PKS1_NS_24const_host_device_scalarIT4_EES3_PKT0_PKT1_PKT2_S6_PT3_21rocsparse_index_base_b,@function
_ZN9rocsparseL27csrmvn_symm_adaptive_kernelIllfdddEEvbT_S1_PKS1_NS_24const_host_device_scalarIT4_EES3_PKT0_PKT1_PKT2_S6_PT3_21rocsparse_index_base_b: ; @_ZN9rocsparseL27csrmvn_symm_adaptive_kernelIllfdddEEvbT_S1_PKS1_NS_24const_host_device_scalarIT4_EES3_PKT0_PKT1_PKT2_S6_PT3_21rocsparse_index_base_b
; %bb.0:
	s_clause 0x2
	s_load_b64 s[24:25], s[0:1], 0x58
	s_load_b64 s[6:7], s[0:1], 0x20
	;; [unrolled: 1-line block ×3, first 2 shown]
	s_mov_b32 s4, s15
	s_waitcnt lgkmcnt(0)
	s_bitcmp1_b32 s25, 0
	v_dual_mov_b32 v11, s7 :: v_dual_mov_b32 v10, s6
	s_cselect_b32 s5, -1, 0
	s_delay_alu instid0(SALU_CYCLE_1)
	s_and_b32 vcc_lo, exec_lo, s5
	s_xor_b32 s5, s5, -1
	s_cbranch_vccnz .LBB98_2
; %bb.1:
	v_dual_mov_b32 v1, s6 :: v_dual_mov_b32 v2, s7
	flat_load_b64 v[10:11], v[1:2]
.LBB98_2:
	v_dual_mov_b32 v1, s2 :: v_dual_mov_b32 v2, s3
	s_and_not1_b32 vcc_lo, exec_lo, s5
	s_cbranch_vccnz .LBB98_4
; %bb.3:
	v_dual_mov_b32 v1, s2 :: v_dual_mov_b32 v2, s3
	flat_load_b64 v[1:2], v[1:2]
.LBB98_4:
	s_waitcnt vmcnt(0) lgkmcnt(0)
	v_cmp_neq_f64_e32 vcc_lo, 0, v[10:11]
	v_cmp_neq_f64_e64 s2, 1.0, v[1:2]
	s_delay_alu instid0(VALU_DEP_1) | instskip(NEXT) | instid1(SALU_CYCLE_1)
	s_or_b32 s2, vcc_lo, s2
	s_and_saveexec_b32 s3, s2
	s_cbranch_execz .LBB98_180
; %bb.5:
	s_load_b64 s[2:3], s[0:1], 0x18
	s_mov_b32 s6, 0
	s_ashr_i32 s5, s4, 31
	s_mov_b32 s7, s6
	v_dual_mov_b32 v1, s6 :: v_dual_lshlrev_b32 v18, 3, v0
	v_mov_b32_e32 v2, s7
	s_lshl_b64 s[4:5], s[4:5], 3
	ds_store_2addr_stride64_b64 v18, v[1:2], v[1:2] offset1:4
	ds_store_2addr_stride64_b64 v18, v[1:2], v[1:2] offset0:8 offset1:12
	s_waitcnt lgkmcnt(0)
	s_barrier
	buffer_gl0_inv
	s_add_u32 s2, s2, s4
	s_addc_u32 s3, s3, s5
	s_load_b128 s[16:19], s[2:3], 0x0
	s_clause 0x1
	s_load_b256 s[8:15], s[0:1], 0x28
	s_load_b64 s[20:21], s[0:1], 0x50
	s_waitcnt lgkmcnt(0)
	s_sub_u32 s22, s18, s16
	s_subb_u32 s23, s19, s17
	s_delay_alu instid0(SALU_CYCLE_1) | instskip(NEXT) | instid1(VALU_DEP_1)
	v_cmp_gt_i64_e64 s2, s[22:23], 2
	s_and_b32 vcc_lo, exec_lo, s2
	s_mov_b32 s2, -1
	s_cbranch_vccnz .LBB98_43
; %bb.6:
	v_cmp_gt_i64_e64 s2, s[18:19], s[16:17]
	v_sub_co_u32 v9, s3, v0, s24
	s_delay_alu instid0(VALU_DEP_1) | instskip(NEXT) | instid1(VALU_DEP_3)
	v_sub_co_ci_u32_e64 v12, null, 0, 0, s3
	s_and_b32 vcc_lo, exec_lo, s2
	s_cbranch_vccnz .LBB98_8
; %bb.7:
	s_lshl_b64 s[2:3], s[16:17], 3
	s_delay_alu instid0(SALU_CYCLE_1)
	s_add_u32 s2, s8, s2
	s_addc_u32 s3, s9, s3
	s_load_b64 s[26:27], s[2:3], 0x0
	s_cbranch_execz .LBB98_9
	s_branch .LBB98_32
.LBB98_8:
                                        ; implicit-def: $sgpr26_sgpr27
.LBB98_9:
	s_lshl_b64 s[2:3], s[16:17], 3
	v_cmp_gt_u32_e64 s4, 16, v0
	s_add_u32 s2, s8, s2
	s_addc_u32 s3, s9, s3
	v_cmp_gt_u32_e64 s5, 4, v0
	s_waitcnt lgkmcnt(0)
	s_load_b64 s[26:27], s[2:3], 0x0
	v_cmp_gt_u32_e64 s2, 0x100, v0
	v_cmp_gt_u32_e64 s3, 64, v0
	v_cmp_eq_u32_e64 s6, 0, v0
	v_mov_b32_e32 v13, 0
	s_add_u32 s25, s8, 8
	s_addc_u32 s33, s9, 0
	s_mov_b64 s[28:29], s[16:17]
	s_waitcnt lgkmcnt(0)
	s_mov_b64 s[30:31], s[26:27]
	s_branch .LBB98_11
.LBB98_10:                              ;   in Loop: Header=BB98_11 Depth=1
	s_or_b32 exec_lo, exec_lo, s7
	s_add_u32 s28, s28, 1
	s_addc_u32 s29, s29, 0
	s_delay_alu instid0(SALU_CYCLE_1) | instskip(NEXT) | instid1(VALU_DEP_1)
	v_cmp_ge_i64_e64 s7, s[28:29], s[18:19]
	s_and_b32 vcc_lo, exec_lo, s7
	s_cbranch_vccnz .LBB98_32
.LBB98_11:                              ; =>This Loop Header: Depth=1
                                        ;     Child Loop BB98_13 Depth 2
                                        ;     Child Loop BB98_27 Depth 2
	;; [unrolled: 1-line block ×3, first 2 shown]
	s_lshl_b64 s[34:35], s[28:29], 3
	s_mov_b64 s[38:39], s[30:31]
	s_add_u32 s36, s25, s34
	s_addc_u32 s37, s33, s35
	v_add_co_u32 v1, vcc_lo, s38, v9
	s_load_b64 s[30:31], s[36:37], 0x0
	v_mov_b32_e32 v3, 0
	v_add_co_ci_u32_e32 v2, vcc_lo, s39, v12, vcc_lo
	v_mov_b32_e32 v4, 0
	s_mov_b32 s38, exec_lo
	s_waitcnt lgkmcnt(0)
	s_sub_u32 s36, s30, s24
	s_subb_u32 s37, s31, 0
	s_delay_alu instid0(SALU_CYCLE_1)
	v_cmpx_gt_i64_e64 s[36:37], v[1:2]
	s_cbranch_execz .LBB98_15
; %bb.12:                               ;   in Loop: Header=BB98_11 Depth=1
	v_lshlrev_b64 v[5:6], 3, v[1:2]
	v_lshlrev_b64 v[7:8], 2, v[1:2]
	v_mov_b32_e32 v3, 0
	v_mov_b32_e32 v4, 0
	s_mov_b32 s39, 0
	s_delay_alu instid0(VALU_DEP_4)
	v_add_co_u32 v5, vcc_lo, s10, v5
	v_add_co_ci_u32_e32 v6, vcc_lo, s11, v6, vcc_lo
	v_add_co_u32 v7, vcc_lo, s12, v7
	v_add_co_ci_u32_e32 v8, vcc_lo, s13, v8, vcc_lo
	s_set_inst_prefetch_distance 0x1
	.p2align	6
.LBB98_13:                              ;   Parent Loop BB98_11 Depth=1
                                        ; =>  This Inner Loop Header: Depth=2
	global_load_b64 v[14:15], v[5:6], off
	global_load_b32 v16, v[7:8], off
	v_add_co_u32 v7, s7, 0x400, v7
	s_delay_alu instid0(VALU_DEP_1)
	v_add_co_ci_u32_e64 v8, s7, 0, v8, s7
	s_waitcnt vmcnt(1)
	v_sub_co_u32 v14, vcc_lo, v14, s24
	v_subrev_co_ci_u32_e32 v15, vcc_lo, 0, v15, vcc_lo
	s_waitcnt vmcnt(0)
	v_cvt_f64_f32_e32 v[16:17], v16
	s_delay_alu instid0(VALU_DEP_2) | instskip(NEXT) | instid1(VALU_DEP_1)
	v_lshlrev_b64 v[14:15], 3, v[14:15]
	v_add_co_u32 v14, vcc_lo, s14, v14
	s_delay_alu instid0(VALU_DEP_2)
	v_add_co_ci_u32_e32 v15, vcc_lo, s15, v15, vcc_lo
	v_add_co_u32 v1, vcc_lo, 0x100, v1
	v_add_co_ci_u32_e32 v2, vcc_lo, 0, v2, vcc_lo
	global_load_b64 v[14:15], v[14:15], off
	v_add_co_u32 v5, vcc_lo, 0x800, v5
	v_add_co_ci_u32_e32 v6, vcc_lo, 0, v6, vcc_lo
	v_cmp_le_i64_e32 vcc_lo, s[36:37], v[1:2]
	s_or_b32 s39, vcc_lo, s39
	s_waitcnt vmcnt(0)
	v_fma_f64 v[3:4], v[16:17], v[14:15], v[3:4]
	s_and_not1_b32 exec_lo, exec_lo, s39
	s_cbranch_execnz .LBB98_13
; %bb.14:                               ;   in Loop: Header=BB98_11 Depth=1
	s_set_inst_prefetch_distance 0x2
	s_or_b32 exec_lo, exec_lo, s39
.LBB98_15:                              ;   in Loop: Header=BB98_11 Depth=1
	s_delay_alu instid0(SALU_CYCLE_1)
	s_or_b32 exec_lo, exec_lo, s38
	ds_store_b64 v18, v[3:4]
	s_waitcnt lgkmcnt(0)
	s_barrier
	buffer_gl0_inv
	s_and_saveexec_b32 s7, s2
	s_cbranch_execz .LBB98_17
; %bb.16:                               ;   in Loop: Header=BB98_11 Depth=1
	ds_load_2addr_stride64_b64 v[1:4], v18 offset1:4
	ds_load_2addr_stride64_b64 v[5:8], v18 offset0:8 offset1:12
	s_waitcnt lgkmcnt(0)
	v_add_f64 v[3:4], v[3:4], v[5:6]
	s_delay_alu instid0(VALU_DEP_1) | instskip(NEXT) | instid1(VALU_DEP_1)
	v_add_f64 v[3:4], v[3:4], v[7:8]
	v_add_f64 v[1:2], v[1:2], v[3:4]
	ds_store_b64 v18, v[1:2]
.LBB98_17:                              ;   in Loop: Header=BB98_11 Depth=1
	s_or_b32 exec_lo, exec_lo, s7
	s_waitcnt lgkmcnt(0)
	s_barrier
	buffer_gl0_inv
	s_and_saveexec_b32 s7, s3
	s_cbranch_execz .LBB98_19
; %bb.18:                               ;   in Loop: Header=BB98_11 Depth=1
	ds_load_2addr_stride64_b64 v[1:4], v18 offset1:1
	ds_load_2addr_stride64_b64 v[5:8], v18 offset0:2 offset1:3
	s_waitcnt lgkmcnt(0)
	v_add_f64 v[3:4], v[3:4], v[5:6]
	s_delay_alu instid0(VALU_DEP_1) | instskip(NEXT) | instid1(VALU_DEP_1)
	v_add_f64 v[3:4], v[3:4], v[7:8]
	v_add_f64 v[1:2], v[1:2], v[3:4]
	ds_store_b64 v18, v[1:2]
.LBB98_19:                              ;   in Loop: Header=BB98_11 Depth=1
	s_or_b32 exec_lo, exec_lo, s7
	s_waitcnt lgkmcnt(0)
	s_barrier
	buffer_gl0_inv
	s_and_saveexec_b32 s7, s4
	s_cbranch_execz .LBB98_21
; %bb.20:                               ;   in Loop: Header=BB98_11 Depth=1
	ds_load_2addr_b64 v[1:4], v18 offset1:16
	ds_load_2addr_b64 v[5:8], v18 offset0:32 offset1:48
	s_waitcnt lgkmcnt(0)
	v_add_f64 v[3:4], v[3:4], v[5:6]
	s_delay_alu instid0(VALU_DEP_1) | instskip(NEXT) | instid1(VALU_DEP_1)
	v_add_f64 v[3:4], v[3:4], v[7:8]
	v_add_f64 v[1:2], v[1:2], v[3:4]
	ds_store_b64 v18, v[1:2]
.LBB98_21:                              ;   in Loop: Header=BB98_11 Depth=1
	s_or_b32 exec_lo, exec_lo, s7
	s_waitcnt lgkmcnt(0)
	s_barrier
	buffer_gl0_inv
	s_and_saveexec_b32 s7, s5
	s_cbranch_execz .LBB98_23
; %bb.22:                               ;   in Loop: Header=BB98_11 Depth=1
	ds_load_2addr_b64 v[1:4], v18 offset1:4
	ds_load_2addr_b64 v[5:8], v18 offset0:8 offset1:12
	s_waitcnt lgkmcnt(0)
	v_add_f64 v[3:4], v[3:4], v[5:6]
	s_delay_alu instid0(VALU_DEP_1) | instskip(NEXT) | instid1(VALU_DEP_1)
	v_add_f64 v[3:4], v[3:4], v[7:8]
	v_add_f64 v[1:2], v[1:2], v[3:4]
	ds_store_b64 v18, v[1:2]
.LBB98_23:                              ;   in Loop: Header=BB98_11 Depth=1
	s_or_b32 exec_lo, exec_lo, s7
	s_waitcnt lgkmcnt(0)
	s_barrier
	buffer_gl0_inv
	s_and_saveexec_b32 s7, s6
	s_cbranch_execz .LBB98_25
; %bb.24:                               ;   in Loop: Header=BB98_11 Depth=1
	ds_load_2addr_b64 v[1:4], v13 offset0:1 offset1:2
	ds_load_b64 v[5:6], v18
	s_waitcnt lgkmcnt(1)
	v_add_f64 v[1:2], v[1:2], v[3:4]
	ds_load_b64 v[3:4], v13 offset:24
	s_waitcnt lgkmcnt(0)
	v_add_f64 v[1:2], v[1:2], v[3:4]
	s_delay_alu instid0(VALU_DEP_1)
	v_add_f64 v[1:2], v[5:6], v[1:2]
	ds_store_b64 v18, v[1:2]
.LBB98_25:                              ;   in Loop: Header=BB98_11 Depth=1
	s_or_b32 exec_lo, exec_lo, s7
	s_waitcnt lgkmcnt(0)
	s_barrier
	buffer_gl0_inv
	s_and_saveexec_b32 s7, s6
	s_cbranch_execz .LBB98_10
; %bb.26:                               ;   in Loop: Header=BB98_11 Depth=1
	ds_load_b64 v[1:2], v13
	v_mov_b32_e32 v5, 0
	v_bfrev_b32_e32 v6, 1
	s_mov_b32 s36, exec_lo
	s_waitcnt lgkmcnt(0)
	v_mul_f64 v[1:2], v[10:11], v[1:2]
.LBB98_27:                              ;   Parent Loop BB98_11 Depth=1
                                        ; =>  This Inner Loop Header: Depth=2
	s_ctz_i32_b32 s37, s36
	s_delay_alu instid0(VALU_DEP_1) | instid1(SALU_CYCLE_1)
	v_readlane_b32 s39, v2, s37
	s_delay_alu instid0(VALU_DEP_2) | instskip(SKIP_1) | instid1(SALU_CYCLE_1)
	v_readlane_b32 s38, v1, s37
	s_lshl_b32 s37, 1, s37
	s_and_not1_b32 s36, s36, s37
	s_delay_alu instid0(VALU_DEP_1)
	v_add_f64 v[5:6], v[5:6], s[38:39]
	s_cmp_lg_u32 s36, 0
	s_cbranch_scc1 .LBB98_27
; %bb.28:                               ;   in Loop: Header=BB98_11 Depth=1
	v_mbcnt_lo_u32_b32 v1, exec_lo, 0
	s_mov_b32 s36, exec_lo
	s_delay_alu instid0(VALU_DEP_1)
	v_cmpx_eq_u32_e32 0, v1
	s_xor_b32 s36, exec_lo, s36
	s_cbranch_execz .LBB98_10
; %bb.29:                               ;   in Loop: Header=BB98_11 Depth=1
	s_add_u32 s34, s20, s34
	s_addc_u32 s35, s21, s35
	s_mov_b32 s36, 0
	global_load_b64 v[3:4], v13, s[34:35]
.LBB98_30:                              ;   Parent Loop BB98_11 Depth=1
                                        ; =>  This Inner Loop Header: Depth=2
	s_waitcnt vmcnt(0)
	v_add_f64 v[1:2], v[3:4], v[5:6]
	global_atomic_cmpswap_b64 v[1:2], v13, v[1:4], s[34:35] glc
	s_waitcnt vmcnt(0)
	v_cmp_eq_u64_e32 vcc_lo, v[1:2], v[3:4]
	v_dual_mov_b32 v4, v2 :: v_dual_mov_b32 v3, v1
	s_or_b32 s36, vcc_lo, s36
	s_delay_alu instid0(SALU_CYCLE_1)
	s_and_not1_b32 exec_lo, exec_lo, s36
	s_cbranch_execnz .LBB98_30
; %bb.31:                               ;   in Loop: Header=BB98_11 Depth=1
	s_or_b32 exec_lo, exec_lo, s36
	s_branch .LBB98_10
.LBB98_32:
	s_lshl_b64 s[2:3], s[18:19], 3
	s_waitcnt lgkmcnt(0)
	v_add_co_u32 v5, vcc_lo, s26, v9
	s_add_u32 s2, s8, s2
	s_addc_u32 s3, s9, s3
	v_add_co_ci_u32_e32 v6, vcc_lo, s27, v12, vcc_lo
	s_load_b64 s[2:3], s[2:3], 0x0
	s_waitcnt lgkmcnt(0)
	s_sub_u32 s4, s2, s24
	s_subb_u32 s5, s3, 0
	s_mov_b32 s3, exec_lo
	v_cmpx_gt_i64_e64 s[4:5], v[5:6]
	s_cbranch_execz .LBB98_42
; %bb.33:
	s_add_u32 s6, s18, -1
	s_addc_u32 s7, s19, -1
	s_add_u32 s26, s18, -2
	v_cmp_gt_i64_e64 s2, s[6:7], s[16:17]
	s_addc_u32 s27, s19, -1
	s_delay_alu instid0(SALU_CYCLE_1)
	s_cmp_lg_u64 s[26:27], s[16:17]
	s_mov_b32 s26, 0
	s_cselect_b32 s25, -1, 0
	s_delay_alu instid0(VALU_DEP_1) | instid1(SALU_CYCLE_1)
	s_and_b32 s25, s2, s25
	s_branch .LBB98_35
.LBB98_34:                              ;   in Loop: Header=BB98_35 Depth=1
	s_or_b32 exec_lo, exec_lo, s2
	v_add_co_u32 v5, vcc_lo, 0x100, v5
	v_add_co_ci_u32_e32 v6, vcc_lo, 0, v6, vcc_lo
	s_delay_alu instid0(VALU_DEP_1) | instskip(SKIP_1) | instid1(SALU_CYCLE_1)
	v_cmp_le_i64_e32 vcc_lo, s[4:5], v[5:6]
	s_or_b32 s26, vcc_lo, s26
	s_and_not1_b32 exec_lo, exec_lo, s26
	s_cbranch_execz .LBB98_42
.LBB98_35:                              ; =>This Loop Header: Depth=1
                                        ;     Child Loop BB98_37 Depth 2
                                        ;     Child Loop BB98_41 Depth 2
	v_dual_mov_b32 v1, s16 :: v_dual_mov_b32 v2, s17
	v_dual_mov_b32 v3, s6 :: v_dual_mov_b32 v4, s7
	s_and_not1_b32 vcc_lo, exec_lo, s25
	s_cbranch_vccnz .LBB98_39
; %bb.36:                               ;   in Loop: Header=BB98_35 Depth=1
	v_dual_mov_b32 v1, s16 :: v_dual_mov_b32 v2, s17
	v_dual_mov_b32 v3, s6 :: v_dual_mov_b32 v4, s7
	s_mov_b32 s27, 0
	s_set_inst_prefetch_distance 0x1
	.p2align	6
.LBB98_37:                              ;   Parent Loop BB98_35 Depth=1
                                        ; =>  This Inner Loop Header: Depth=2
	s_delay_alu instid0(VALU_DEP_1) | instskip(NEXT) | instid1(VALU_DEP_2)
	v_add_co_u32 v7, vcc_lo, v3, v1
	v_add_co_ci_u32_e32 v8, vcc_lo, v4, v2, vcc_lo
	s_delay_alu instid0(VALU_DEP_1) | instskip(NEXT) | instid1(VALU_DEP_1)
	v_lshrrev_b32_e32 v9, 31, v8
	v_add_co_u32 v7, vcc_lo, v7, v9
	v_add_co_ci_u32_e32 v8, vcc_lo, 0, v8, vcc_lo
	s_delay_alu instid0(VALU_DEP_1) | instskip(NEXT) | instid1(VALU_DEP_1)
	v_ashrrev_i64 v[7:8], 1, v[7:8]
	v_lshlrev_b64 v[12:13], 3, v[7:8]
	s_delay_alu instid0(VALU_DEP_1) | instskip(NEXT) | instid1(VALU_DEP_2)
	v_add_co_u32 v12, vcc_lo, s8, v12
	v_add_co_ci_u32_e32 v13, vcc_lo, s9, v13, vcc_lo
	global_load_b64 v[12:13], v[12:13], off
	s_waitcnt vmcnt(0)
	v_sub_co_u32 v12, vcc_lo, v12, s24
	v_subrev_co_ci_u32_e32 v13, vcc_lo, 0, v13, vcc_lo
	s_delay_alu instid0(VALU_DEP_1) | instskip(SKIP_2) | instid1(VALU_DEP_2)
	v_cmp_gt_i64_e32 vcc_lo, v[12:13], v[5:6]
	v_dual_cndmask_b32 v4, v4, v8 :: v_dual_cndmask_b32 v3, v3, v7
	v_dual_cndmask_b32 v2, v8, v2 :: v_dual_cndmask_b32 v1, v7, v1
	v_add_co_u32 v7, vcc_lo, v3, -1
	s_delay_alu instid0(VALU_DEP_3) | instskip(NEXT) | instid1(VALU_DEP_3)
	v_add_co_ci_u32_e32 v8, vcc_lo, -1, v4, vcc_lo
	v_cmp_ge_i64_e32 vcc_lo, v[1:2], v[3:4]
	s_delay_alu instid0(VALU_DEP_2) | instskip(NEXT) | instid1(VALU_DEP_1)
	v_cmp_eq_u64_e64 s2, v[1:2], v[7:8]
	s_or_b32 s2, vcc_lo, s2
	s_delay_alu instid0(SALU_CYCLE_1) | instskip(NEXT) | instid1(SALU_CYCLE_1)
	s_and_b32 s2, exec_lo, s2
	s_or_b32 s27, s2, s27
	s_delay_alu instid0(SALU_CYCLE_1)
	s_and_not1_b32 exec_lo, exec_lo, s27
	s_cbranch_execnz .LBB98_37
; %bb.38:                               ;   in Loop: Header=BB98_35 Depth=1
	s_set_inst_prefetch_distance 0x2
	s_or_b32 exec_lo, exec_lo, s27
.LBB98_39:                              ;   in Loop: Header=BB98_35 Depth=1
	s_delay_alu instid0(VALU_DEP_1) | instskip(SKIP_2) | instid1(VALU_DEP_2)
	v_lshlrev_b64 v[7:8], 3, v[3:4]
	v_lshlrev_b64 v[12:13], 3, v[5:6]
	s_mov_b32 s2, exec_lo
	v_add_co_u32 v7, vcc_lo, s8, v7
	s_delay_alu instid0(VALU_DEP_3) | instskip(NEXT) | instid1(VALU_DEP_3)
	v_add_co_ci_u32_e32 v8, vcc_lo, s9, v8, vcc_lo
	v_add_co_u32 v12, vcc_lo, s10, v12
	s_delay_alu instid0(VALU_DEP_4)
	v_add_co_ci_u32_e32 v13, vcc_lo, s11, v13, vcc_lo
	global_load_b64 v[7:8], v[7:8], off
	global_load_b64 v[12:13], v[12:13], off
	s_waitcnt vmcnt(1)
	v_sub_co_u32 v7, vcc_lo, v7, s24
	v_subrev_co_ci_u32_e32 v8, vcc_lo, 0, v8, vcc_lo
	s_delay_alu instid0(VALU_DEP_1) | instskip(SKIP_4) | instid1(VALU_DEP_1)
	v_cmp_gt_i64_e32 vcc_lo, v[7:8], v[5:6]
	v_dual_cndmask_b32 v4, v4, v2 :: v_dual_cndmask_b32 v3, v3, v1
	s_waitcnt vmcnt(0)
	v_sub_co_u32 v1, vcc_lo, v12, s24
	v_subrev_co_ci_u32_e32 v2, vcc_lo, 0, v13, vcc_lo
	v_cmpx_ne_u64_e64 v[1:2], v[3:4]
	s_cbranch_execz .LBB98_34
; %bb.40:                               ;   in Loop: Header=BB98_35 Depth=1
	v_lshlrev_b64 v[7:8], 2, v[5:6]
	v_lshlrev_b64 v[3:4], 3, v[3:4]
	;; [unrolled: 1-line block ×3, first 2 shown]
	s_mov_b32 s27, 0
	s_delay_alu instid0(VALU_DEP_3) | instskip(NEXT) | instid1(VALU_DEP_4)
	v_add_co_u32 v7, vcc_lo, s12, v7
	v_add_co_ci_u32_e32 v8, vcc_lo, s13, v8, vcc_lo
	s_delay_alu instid0(VALU_DEP_4)
	v_add_co_u32 v3, vcc_lo, s14, v3
	v_add_co_ci_u32_e32 v4, vcc_lo, s15, v4, vcc_lo
	global_load_b32 v9, v[7:8], off
	v_add_co_u32 v7, vcc_lo, s20, v1
	global_load_b64 v[12:13], v[3:4], off
	v_add_co_ci_u32_e32 v8, vcc_lo, s21, v2, vcc_lo
	global_load_b64 v[3:4], v[7:8], off
	s_waitcnt vmcnt(2)
	v_cvt_f64_f32_e32 v[1:2], v9
	s_delay_alu instid0(VALU_DEP_1) | instskip(SKIP_1) | instid1(VALU_DEP_1)
	v_mul_f64 v[1:2], v[10:11], v[1:2]
	s_waitcnt vmcnt(1)
	v_mul_f64 v[12:13], v[12:13], v[1:2]
.LBB98_41:                              ;   Parent Loop BB98_35 Depth=1
                                        ; =>  This Inner Loop Header: Depth=2
	s_waitcnt vmcnt(0)
	s_delay_alu instid0(VALU_DEP_1)
	v_add_f64 v[1:2], v[3:4], v[12:13]
	global_atomic_cmpswap_b64 v[1:2], v[7:8], v[1:4], off glc
	s_waitcnt vmcnt(0)
	v_cmp_eq_u64_e32 vcc_lo, v[1:2], v[3:4]
	v_dual_mov_b32 v4, v2 :: v_dual_mov_b32 v3, v1
	s_or_b32 s27, vcc_lo, s27
	s_delay_alu instid0(SALU_CYCLE_1)
	s_and_not1_b32 exec_lo, exec_lo, s27
	s_cbranch_execnz .LBB98_41
	s_branch .LBB98_34
.LBB98_42:
	s_or_b32 exec_lo, exec_lo, s3
	s_mov_b32 s2, 0
.LBB98_43:
	s_delay_alu instid0(SALU_CYCLE_1)
	s_and_b32 vcc_lo, exec_lo, s2
	s_cbranch_vccz .LBB98_180
; %bb.44:
	s_load_b32 s2, s[0:1], 0x6c
	s_mov_b32 s7, 0
	s_mov_b64 s[28:29], 0
	s_waitcnt lgkmcnt(0)
	s_and_b32 s6, s2, 0xffff
	s_delay_alu instid0(SALU_CYCLE_1) | instskip(NEXT) | instid1(VALU_DEP_1)
	v_cmp_lt_u64_e64 s2, s[6:7], s[22:23]
	s_and_b32 vcc_lo, exec_lo, s2
	s_cbranch_vccnz .LBB98_46
; %bb.45:
	v_cvt_f32_u32_e32 v1, s22
	s_sub_i32 s3, 0, s22
	s_delay_alu instid0(VALU_DEP_1) | instskip(SKIP_2) | instid1(VALU_DEP_1)
	v_rcp_iflag_f32_e32 v1, v1
	s_waitcnt_depctr 0xfff
	v_mul_f32_e32 v1, 0x4f7ffffe, v1
	v_cvt_u32_f32_e32 v1, v1
	s_delay_alu instid0(VALU_DEP_1) | instskip(NEXT) | instid1(VALU_DEP_1)
	v_readfirstlane_b32 s2, v1
	s_mul_i32 s3, s3, s2
	s_delay_alu instid0(SALU_CYCLE_1) | instskip(NEXT) | instid1(SALU_CYCLE_1)
	s_mul_hi_u32 s3, s2, s3
	s_add_i32 s2, s2, s3
	s_delay_alu instid0(SALU_CYCLE_1) | instskip(NEXT) | instid1(SALU_CYCLE_1)
	s_mul_hi_u32 s2, s6, s2
	s_mul_i32 s3, s2, s22
	s_add_i32 s4, s2, 1
	s_sub_i32 s3, s6, s3
	s_delay_alu instid0(SALU_CYCLE_1)
	s_sub_i32 s5, s3, s22
	s_cmp_ge_u32 s3, s22
	s_cselect_b32 s2, s4, s2
	s_cselect_b32 s3, s5, s3
	s_add_i32 s4, s2, 1
	s_cmp_ge_u32 s3, s22
	s_cselect_b32 s28, s4, s2
.LBB98_46:
	s_lshl_b64 s[2:3], s[16:17], 3
	v_sub_co_u32 v1, s7, v0, s24
	s_add_u32 s26, s8, s2
	s_addc_u32 s27, s9, s3
	s_load_b64 s[4:5], s[26:27], 0x0
	s_load_b128 s[0:3], s[0:1], 0x8
	v_sub_co_ci_u32_e64 v2, null, 0, 0, s7
	s_waitcnt lgkmcnt(0)
	v_add_co_u32 v6, vcc_lo, s4, v1
	s_delay_alu instid0(VALU_DEP_2) | instskip(SKIP_1) | instid1(VALU_DEP_3)
	v_add_co_ci_u32_e32 v7, vcc_lo, s5, v2, vcc_lo
	v_mov_b32_e32 v1, 0
	v_add_co_u32 v8, vcc_lo, 0x300, v6
	s_delay_alu instid0(VALU_DEP_3) | instskip(NEXT) | instid1(VALU_DEP_1)
	v_add_co_ci_u32_e32 v9, vcc_lo, 0, v7, vcc_lo
	v_cmp_le_i64_e32 vcc_lo, s[0:1], v[8:9]
	s_and_saveexec_b32 s0, vcc_lo
	s_delay_alu instid0(SALU_CYCLE_1)
	s_xor_b32 s7, exec_lo, s0
	s_cbranch_execnz .LBB98_49
; %bb.47:
	s_and_not1_saveexec_b32 s1, s7
	s_cbranch_execnz .LBB98_53
.LBB98_48:
	s_or_b32 exec_lo, exec_lo, s1
	s_delay_alu instid0(SALU_CYCLE_1)
	s_mov_b32 s1, exec_lo
	v_cmpx_gt_i64_e64 s[2:3], v[0:1]
	s_cbranch_execnz .LBB98_54
	s_branch .LBB98_56
.LBB98_49:
	s_lshl_b64 s[0:1], s[18:19], 3
	s_mov_b32 s25, exec_lo
	s_add_u32 s0, s8, s0
	s_addc_u32 s1, s9, s1
	s_load_b64 s[0:1], s[0:1], 0x0
	s_waitcnt lgkmcnt(0)
	s_sub_u32 s30, s0, s4
	s_subb_u32 s31, s1, s5
	s_delay_alu instid0(SALU_CYCLE_1)
	v_cmpx_gt_i64_e64 s[30:31], v[0:1]
	s_cbranch_execz .LBB98_52
; %bb.50:
	v_lshlrev_b64 v[2:3], 2, v[6:7]
	v_dual_mov_b32 v12, v18 :: v_dual_mov_b32 v5, v1
	v_mov_b32_e32 v4, v0
	s_mov_b32 s29, 0
	s_delay_alu instid0(VALU_DEP_3) | instskip(NEXT) | instid1(VALU_DEP_1)
	v_add_co_u32 v2, s0, s12, v2
	v_add_co_ci_u32_e64 v3, s0, s13, v3, s0
	.p2align	6
.LBB98_51:                              ; =>This Inner Loop Header: Depth=1
	global_load_b32 v13, v[2:3], off
	v_add_co_u32 v4, s0, 0x100, v4
	s_delay_alu instid0(VALU_DEP_1) | instskip(SKIP_1) | instid1(VALU_DEP_1)
	v_add_co_ci_u32_e64 v5, s0, 0, v5, s0
	v_add_co_u32 v2, s0, 0x400, v2
	v_add_co_ci_u32_e64 v3, s0, 0, v3, s0
	s_delay_alu instid0(VALU_DEP_3) | instskip(NEXT) | instid1(VALU_DEP_1)
	v_cmp_le_i64_e64 s1, s[30:31], v[4:5]
	s_or_b32 s29, s1, s29
	s_waitcnt vmcnt(0)
	v_cvt_f64_f32_e32 v[13:14], v13
	s_delay_alu instid0(VALU_DEP_1)
	v_mul_f64 v[13:14], v[10:11], v[13:14]
	ds_store_b64 v12, v[13:14]
	v_add_nc_u32_e32 v12, 0x800, v12
	s_and_not1_b32 exec_lo, exec_lo, s29
	s_cbranch_execnz .LBB98_51
.LBB98_52:
	s_or_b32 exec_lo, exec_lo, s25
                                        ; implicit-def: $vgpr10_vgpr11
	s_and_not1_saveexec_b32 s1, s7
	s_cbranch_execz .LBB98_48
.LBB98_53:
	v_lshlrev_b64 v[2:3], 2, v[6:7]
	s_delay_alu instid0(VALU_DEP_1) | instskip(NEXT) | instid1(VALU_DEP_1)
	v_add_co_u32 v2, s0, s12, v2
	v_add_co_ci_u32_e64 v3, s0, s13, v3, s0
	s_clause 0x3
	global_load_b32 v4, v[2:3], off
	global_load_b32 v5, v[2:3], off offset:1024
	global_load_b32 v12, v[2:3], off offset:2048
	;; [unrolled: 1-line block ×3, first 2 shown]
	s_waitcnt vmcnt(3)
	v_cvt_f64_f32_e32 v[2:3], v4
	s_waitcnt vmcnt(2)
	v_cvt_f64_f32_e32 v[4:5], v5
	;; [unrolled: 2-line block ×4, first 2 shown]
	s_delay_alu instid0(VALU_DEP_4) | instskip(NEXT) | instid1(VALU_DEP_4)
	v_mul_f64 v[2:3], v[10:11], v[2:3]
	v_mul_f64 v[4:5], v[10:11], v[4:5]
	s_delay_alu instid0(VALU_DEP_4) | instskip(NEXT) | instid1(VALU_DEP_4)
	v_mul_f64 v[12:13], v[10:11], v[12:13]
	v_mul_f64 v[10:11], v[10:11], v[14:15]
	ds_store_2addr_stride64_b64 v18, v[2:3], v[4:5] offset1:4
	ds_store_2addr_stride64_b64 v18, v[12:13], v[10:11] offset0:8 offset1:12
	s_or_b32 exec_lo, exec_lo, s1
	s_delay_alu instid0(SALU_CYCLE_1)
	s_mov_b32 s1, exec_lo
	v_cmpx_gt_i64_e64 s[2:3], v[0:1]
	s_cbranch_execz .LBB98_56
.LBB98_54:
	v_dual_mov_b32 v2, 0 :: v_dual_mov_b32 v5, v1
	v_lshl_add_u32 v10, v0, 3, 0x2000
	s_mov_b32 s7, 0
	s_delay_alu instid0(VALU_DEP_2)
	v_dual_mov_b32 v4, v0 :: v_dual_mov_b32 v3, v2
.LBB98_55:                              ; =>This Inner Loop Header: Depth=1
	s_delay_alu instid0(VALU_DEP_1) | instskip(NEXT) | instid1(VALU_DEP_1)
	v_add_co_u32 v4, s0, 0x100, v4
	v_add_co_ci_u32_e64 v5, s0, 0, v5, s0
	ds_store_b64 v10, v[2:3]
	v_add_nc_u32_e32 v10, 0x800, v10
	v_cmp_le_i64_e64 s0, s[2:3], v[4:5]
	s_delay_alu instid0(VALU_DEP_1) | instskip(NEXT) | instid1(SALU_CYCLE_1)
	s_or_b32 s7, s0, s7
	s_and_not1_b32 exec_lo, exec_lo, s7
	s_cbranch_execnz .LBB98_55
.LBB98_56:
	s_or_b32 exec_lo, exec_lo, s1
	v_cmp_ge_i64_e64 s0, s[18:19], s[2:3]
	s_sub_u32 s1, s18, s2
	s_subb_u32 s7, s19, s3
	s_waitcnt lgkmcnt(0)
	s_barrier
	buffer_gl0_inv
	s_and_b32 s0, s0, exec_lo
	s_cselect_b32 s13, s7, 0
	s_cselect_b32 s12, s1, 0
	s_and_saveexec_b32 s0, vcc_lo
	s_delay_alu instid0(SALU_CYCLE_1)
	s_xor_b32 s7, exec_lo, s0
	s_cbranch_execz .LBB98_77
; %bb.57:
	s_lshl_b64 s[0:1], s[18:19], 3
	s_mov_b32 s25, exec_lo
	s_add_u32 s0, s8, s0
	s_addc_u32 s1, s9, s1
	s_load_b64 s[0:1], s[0:1], 0x0
	s_waitcnt lgkmcnt(0)
	s_sub_u32 s30, s0, s4
	s_subb_u32 s31, s1, s5
	s_delay_alu instid0(SALU_CYCLE_1)
	v_cmpx_gt_i64_e64 s[30:31], v[0:1]
	s_cbranch_execz .LBB98_76
; %bb.58:
	s_add_u32 s34, s18, -1
	s_addc_u32 s35, s19, -1
	s_add_u32 s36, s18, -2
	v_cmp_gt_i64_e64 s29, s[34:35], s[16:17]
	s_addc_u32 s37, s19, -1
	s_mov_b64 s[38:39], 0
	s_cmp_lg_u64 s[36:37], s[16:17]
	s_cselect_b32 s33, -1, 0
	s_delay_alu instid0(VALU_DEP_1) | instid1(SALU_CYCLE_1)
	s_and_b32 s29, s29, s33
	s_sub_u32 s36, s0, s24
	s_subb_u32 s37, s1, 0
	s_mov_b32 s1, 0
	s_branch .LBB98_61
.LBB98_59:                              ;   in Loop: Header=BB98_61 Depth=1
	s_or_b32 exec_lo, exec_lo, s0
.LBB98_60:                              ;   in Loop: Header=BB98_61 Depth=1
	s_delay_alu instid0(SALU_CYCLE_1) | instskip(SKIP_4) | instid1(VALU_DEP_1)
	s_or_b32 exec_lo, exec_lo, s33
	v_lshlrev_b64 v[2:3], 3, v[8:9]
	s_add_u32 s38, s38, 0x100
	s_addc_u32 s39, s39, 0
	v_add_co_u32 v4, s0, s38, v0
	v_add_co_ci_u32_e64 v5, null, s39, 0, s0
	s_delay_alu instid0(VALU_DEP_3) | instskip(SKIP_1) | instid1(VALU_DEP_3)
	v_add_co_u32 v2, vcc_lo, s14, v2
	v_add_co_ci_u32_e32 v3, vcc_lo, s15, v3, vcc_lo
	v_cmp_le_i64_e32 vcc_lo, s[30:31], v[4:5]
	v_lshlrev_b32_e32 v4, 3, v16
	global_load_b64 v[2:3], v[2:3], off
	s_or_b32 s1, vcc_lo, s1
	s_waitcnt vmcnt(0) lgkmcnt(0)
	v_mul_f64 v[2:3], v[2:3], v[10:11]
	ds_store_b64 v4, v[2:3]
	s_and_not1_b32 exec_lo, exec_lo, s1
	s_cbranch_execz .LBB98_76
.LBB98_61:                              ; =>This Loop Header: Depth=1
                                        ;     Child Loop BB98_63 Depth 2
                                        ;     Child Loop BB98_70 Depth 2
	;; [unrolled: 1-line block ×3, first 2 shown]
	v_add_co_u32 v2, vcc_lo, s38, v6
	v_add_co_ci_u32_e32 v3, vcc_lo, s39, v7, vcc_lo
	v_dual_mov_b32 v4, s16 :: v_dual_mov_b32 v5, s17
	v_dual_mov_b32 v10, s34 :: v_dual_mov_b32 v11, s35
	s_and_not1_b32 vcc_lo, exec_lo, s29
	s_cbranch_vccnz .LBB98_65
; %bb.62:                               ;   in Loop: Header=BB98_61 Depth=1
	v_dual_mov_b32 v4, s16 :: v_dual_mov_b32 v5, s17
	v_dual_mov_b32 v10, s34 :: v_dual_mov_b32 v11, s35
	s_mov_b32 s33, 0
	s_set_inst_prefetch_distance 0x1
	.p2align	6
.LBB98_63:                              ;   Parent Loop BB98_61 Depth=1
                                        ; =>  This Inner Loop Header: Depth=2
	s_delay_alu instid0(VALU_DEP_1) | instskip(NEXT) | instid1(VALU_DEP_2)
	v_add_co_u32 v8, vcc_lo, v10, v4
	v_add_co_ci_u32_e32 v9, vcc_lo, v11, v5, vcc_lo
	s_delay_alu instid0(VALU_DEP_1) | instskip(NEXT) | instid1(VALU_DEP_1)
	v_lshrrev_b32_e32 v12, 31, v9
	v_add_co_u32 v8, vcc_lo, v8, v12
	v_add_co_ci_u32_e32 v9, vcc_lo, 0, v9, vcc_lo
	s_delay_alu instid0(VALU_DEP_1) | instskip(NEXT) | instid1(VALU_DEP_1)
	v_ashrrev_i64 v[8:9], 1, v[8:9]
	v_lshlrev_b64 v[12:13], 3, v[8:9]
	s_delay_alu instid0(VALU_DEP_1) | instskip(NEXT) | instid1(VALU_DEP_2)
	v_add_co_u32 v12, vcc_lo, s8, v12
	v_add_co_ci_u32_e32 v13, vcc_lo, s9, v13, vcc_lo
	global_load_b64 v[12:13], v[12:13], off
	s_waitcnt vmcnt(0)
	v_sub_co_u32 v12, vcc_lo, v12, s24
	v_subrev_co_ci_u32_e32 v13, vcc_lo, 0, v13, vcc_lo
	s_delay_alu instid0(VALU_DEP_1) | instskip(SKIP_2) | instid1(VALU_DEP_2)
	v_cmp_gt_i64_e32 vcc_lo, v[12:13], v[2:3]
	v_dual_cndmask_b32 v11, v11, v9 :: v_dual_cndmask_b32 v10, v10, v8
	v_dual_cndmask_b32 v5, v9, v5 :: v_dual_cndmask_b32 v4, v8, v4
	v_add_co_u32 v8, vcc_lo, v10, -1
	s_delay_alu instid0(VALU_DEP_3) | instskip(NEXT) | instid1(VALU_DEP_3)
	v_add_co_ci_u32_e32 v9, vcc_lo, -1, v11, vcc_lo
	v_cmp_ge_i64_e32 vcc_lo, v[4:5], v[10:11]
	s_delay_alu instid0(VALU_DEP_2) | instskip(NEXT) | instid1(VALU_DEP_1)
	v_cmp_eq_u64_e64 s0, v[4:5], v[8:9]
	s_or_b32 s0, vcc_lo, s0
	s_delay_alu instid0(SALU_CYCLE_1) | instskip(NEXT) | instid1(SALU_CYCLE_1)
	s_and_b32 s0, exec_lo, s0
	s_or_b32 s33, s0, s33
	s_delay_alu instid0(SALU_CYCLE_1)
	s_and_not1_b32 exec_lo, exec_lo, s33
	s_cbranch_execnz .LBB98_63
; %bb.64:                               ;   in Loop: Header=BB98_61 Depth=1
	s_set_inst_prefetch_distance 0x2
	s_or_b32 exec_lo, exec_lo, s33
.LBB98_65:                              ;   in Loop: Header=BB98_61 Depth=1
	s_delay_alu instid0(VALU_DEP_1) | instskip(SKIP_2) | instid1(VALU_DEP_3)
	v_lshlrev_b64 v[8:9], 3, v[10:11]
	v_lshlrev_b64 v[12:13], 3, v[2:3]
	v_add_co_u32 v16, null, s38, v0
	v_add_co_u32 v8, vcc_lo, s8, v8
	s_delay_alu instid0(VALU_DEP_4) | instskip(NEXT) | instid1(VALU_DEP_4)
	v_add_co_ci_u32_e32 v9, vcc_lo, s9, v9, vcc_lo
	v_add_co_u32 v12, vcc_lo, s10, v12
	v_add_co_ci_u32_e32 v13, vcc_lo, s11, v13, vcc_lo
	global_load_b64 v[8:9], v[8:9], off
	v_lshlrev_b32_e32 v14, 3, v16
	global_load_b64 v[12:13], v[12:13], off
	s_waitcnt vmcnt(1)
	v_sub_co_u32 v8, vcc_lo, v8, s24
	v_subrev_co_ci_u32_e32 v9, vcc_lo, 0, v9, vcc_lo
	s_delay_alu instid0(VALU_DEP_1) | instskip(SKIP_2) | instid1(VALU_DEP_1)
	v_cmp_gt_i64_e32 vcc_lo, v[8:9], v[2:3]
	s_waitcnt vmcnt(0)
	v_sub_co_u32 v8, s0, v12, s24
	v_subrev_co_ci_u32_e64 v9, s0, 0, v13, s0
	v_cmp_le_i64_e64 s0, s[36:37], v[2:3]
	v_dual_cndmask_b32 v5, v11, v5 :: v_dual_cndmask_b32 v4, v10, v4
                                        ; implicit-def: $vgpr10_vgpr11
	s_delay_alu instid0(VALU_DEP_1) | instskip(NEXT) | instid1(VALU_DEP_3)
	v_cmp_eq_u64_e32 vcc_lo, v[8:9], v[4:5]
	s_or_b32 s0, vcc_lo, s0
	s_delay_alu instid0(SALU_CYCLE_1) | instskip(NEXT) | instid1(SALU_CYCLE_1)
	s_and_saveexec_b32 s33, s0
	s_xor_b32 s0, exec_lo, s33
	s_cbranch_execz .LBB98_67
; %bb.66:                               ;   in Loop: Header=BB98_61 Depth=1
	ds_load_b64 v[10:11], v14
                                        ; implicit-def: $vgpr4_vgpr5
                                        ; implicit-def: $vgpr14
.LBB98_67:                              ;   in Loop: Header=BB98_61 Depth=1
	s_and_not1_saveexec_b32 s33, s0
	s_cbranch_execz .LBB98_60
; %bb.68:                               ;   in Loop: Header=BB98_61 Depth=1
	v_cmp_gt_i64_e32 vcc_lo, s[12:13], v[8:9]
	v_cmp_le_i64_e64 s0, s[18:19], v[8:9]
	v_lshlrev_b64 v[2:3], 3, v[4:5]
                                        ; implicit-def: $vgpr10_vgpr11
	s_delay_alu instid0(VALU_DEP_2) | instskip(NEXT) | instid1(SALU_CYCLE_1)
	s_or_b32 s0, vcc_lo, s0
	s_and_saveexec_b32 s40, s0
	s_delay_alu instid0(SALU_CYCLE_1)
	s_xor_b32 s0, exec_lo, s40
	s_cbranch_execz .LBB98_72
; %bb.69:                               ;   in Loop: Header=BB98_61 Depth=1
	s_delay_alu instid0(VALU_DEP_1)
	v_add_co_u32 v2, vcc_lo, s14, v2
	v_add_co_ci_u32_e32 v3, vcc_lo, s15, v3, vcc_lo
	v_lshlrev_b64 v[4:5], 3, v[8:9]
	s_waitcnt lgkmcnt(0)
	ds_load_b64 v[10:11], v14
	s_mov_b32 s40, 0
	global_load_b64 v[2:3], v[2:3], off
	v_add_co_u32 v12, vcc_lo, s20, v4
	v_add_co_ci_u32_e32 v13, vcc_lo, s21, v5, vcc_lo
	global_load_b64 v[4:5], v[12:13], off
	s_waitcnt vmcnt(1) lgkmcnt(0)
	v_mul_f64 v[14:15], v[10:11], v[2:3]
.LBB98_70:                              ;   Parent Loop BB98_61 Depth=1
                                        ; =>  This Inner Loop Header: Depth=2
	s_waitcnt vmcnt(0)
	s_delay_alu instid0(VALU_DEP_1)
	v_add_f64 v[2:3], v[4:5], v[14:15]
	global_atomic_cmpswap_b64 v[2:3], v[12:13], v[2:5], off glc
	s_waitcnt vmcnt(0)
	v_cmp_eq_u64_e32 vcc_lo, v[2:3], v[4:5]
	v_dual_mov_b32 v5, v3 :: v_dual_mov_b32 v4, v2
	s_or_b32 s40, vcc_lo, s40
	s_delay_alu instid0(SALU_CYCLE_1)
	s_and_not1_b32 exec_lo, exec_lo, s40
	s_cbranch_execnz .LBB98_70
; %bb.71:                               ;   in Loop: Header=BB98_61 Depth=1
	s_or_b32 exec_lo, exec_lo, s40
                                        ; implicit-def: $vgpr14
                                        ; implicit-def: $vgpr2_vgpr3
.LBB98_72:                              ;   in Loop: Header=BB98_61 Depth=1
	s_and_not1_saveexec_b32 s0, s0
	s_cbranch_execz .LBB98_59
; %bb.73:                               ;   in Loop: Header=BB98_61 Depth=1
	v_add_co_u32 v2, vcc_lo, s14, v2
	v_add_co_ci_u32_e32 v3, vcc_lo, s15, v3, vcc_lo
	s_waitcnt lgkmcnt(0)
	ds_load_b64 v[10:11], v14
	v_subrev_nc_u32_e32 v4, s12, v8
	s_mov_b32 s40, 0
	global_load_b64 v[2:3], v[2:3], off
	v_lshl_add_u32 v12, v4, 3, 0x2000
	ds_load_b64 v[4:5], v12
	s_waitcnt vmcnt(0) lgkmcnt(1)
	v_mul_f64 v[2:3], v[10:11], v[2:3]
.LBB98_74:                              ;   Parent Loop BB98_61 Depth=1
                                        ; =>  This Inner Loop Header: Depth=2
	s_waitcnt lgkmcnt(0)
	s_delay_alu instid0(VALU_DEP_1)
	v_add_f64 v[13:14], v[4:5], v[2:3]
	ds_cmpstore_rtn_b64 v[13:14], v12, v[13:14], v[4:5]
	s_waitcnt lgkmcnt(0)
	v_cmp_eq_u64_e32 vcc_lo, v[13:14], v[4:5]
	v_dual_mov_b32 v4, v13 :: v_dual_mov_b32 v5, v14
	s_or_b32 s40, vcc_lo, s40
	s_delay_alu instid0(SALU_CYCLE_1)
	s_and_not1_b32 exec_lo, exec_lo, s40
	s_cbranch_execnz .LBB98_74
; %bb.75:                               ;   in Loop: Header=BB98_61 Depth=1
	s_or_b32 exec_lo, exec_lo, s40
	s_branch .LBB98_59
.LBB98_76:
	s_or_b32 exec_lo, exec_lo, s25
                                        ; implicit-def: $vgpr8_vgpr9
                                        ; implicit-def: $vgpr6
.LBB98_77:
	s_and_not1_saveexec_b32 s1, s7
	s_cbranch_execz .LBB98_135
; %bb.78:
	s_add_u32 s30, s18, -1
	s_addc_u32 s31, s19, -1
	s_add_u32 s34, s18, -2
	v_cmp_le_i64_e64 s0, s[30:31], s[16:17]
	s_addc_u32 s35, s19, -1
	v_dual_mov_b32 v2, s16 :: v_dual_mov_b32 v3, s17
	s_cmp_eq_u64 s[34:35], s[16:17]
	v_dual_mov_b32 v4, s30 :: v_dual_mov_b32 v5, s31
	s_cselect_b32 s7, -1, 0
	s_delay_alu instid0(SALU_CYCLE_1) | instskip(NEXT) | instid1(SALU_CYCLE_1)
	s_or_b32 s7, s0, s7
	s_and_b32 vcc_lo, exec_lo, s7
	s_cbranch_vccnz .LBB98_82
; %bb.79:
	v_dual_mov_b32 v2, s16 :: v_dual_mov_b32 v3, s17
	v_dual_mov_b32 v4, s30 :: v_dual_mov_b32 v5, s31
	s_mov_b32 s25, 0
	s_set_inst_prefetch_distance 0x1
	.p2align	6
.LBB98_80:                              ; =>This Inner Loop Header: Depth=1
	s_delay_alu instid0(VALU_DEP_1) | instskip(NEXT) | instid1(VALU_DEP_2)
	v_add_co_u32 v10, vcc_lo, v4, v2
	v_add_co_ci_u32_e32 v11, vcc_lo, v5, v3, vcc_lo
	s_delay_alu instid0(VALU_DEP_1) | instskip(NEXT) | instid1(VALU_DEP_1)
	v_lshrrev_b32_e32 v12, 31, v11
	v_add_co_u32 v10, vcc_lo, v10, v12
	v_add_co_ci_u32_e32 v11, vcc_lo, 0, v11, vcc_lo
	s_delay_alu instid0(VALU_DEP_1) | instskip(NEXT) | instid1(VALU_DEP_1)
	v_ashrrev_i64 v[10:11], 1, v[10:11]
	v_lshlrev_b64 v[12:13], 3, v[10:11]
	s_delay_alu instid0(VALU_DEP_1) | instskip(NEXT) | instid1(VALU_DEP_2)
	v_add_co_u32 v12, vcc_lo, s8, v12
	v_add_co_ci_u32_e32 v13, vcc_lo, s9, v13, vcc_lo
	global_load_b64 v[12:13], v[12:13], off
	s_waitcnt vmcnt(0)
	v_sub_co_u32 v12, vcc_lo, v12, s24
	v_subrev_co_ci_u32_e32 v13, vcc_lo, 0, v13, vcc_lo
	s_delay_alu instid0(VALU_DEP_1) | instskip(SKIP_2) | instid1(VALU_DEP_2)
	v_cmp_gt_i64_e32 vcc_lo, v[12:13], v[6:7]
	v_dual_cndmask_b32 v5, v5, v11 :: v_dual_cndmask_b32 v4, v4, v10
	v_dual_cndmask_b32 v3, v11, v3 :: v_dual_cndmask_b32 v2, v10, v2
	v_add_co_u32 v10, vcc_lo, v4, -1
	s_delay_alu instid0(VALU_DEP_3) | instskip(NEXT) | instid1(VALU_DEP_3)
	v_add_co_ci_u32_e32 v11, vcc_lo, -1, v5, vcc_lo
	v_cmp_ge_i64_e32 vcc_lo, v[2:3], v[4:5]
	s_delay_alu instid0(VALU_DEP_2) | instskip(NEXT) | instid1(VALU_DEP_1)
	v_cmp_eq_u64_e64 s0, v[2:3], v[10:11]
	s_or_b32 s0, vcc_lo, s0
	s_delay_alu instid0(SALU_CYCLE_1) | instskip(NEXT) | instid1(SALU_CYCLE_1)
	s_and_b32 s0, exec_lo, s0
	s_or_b32 s25, s0, s25
	s_delay_alu instid0(SALU_CYCLE_1)
	s_and_not1_b32 exec_lo, exec_lo, s25
	s_cbranch_execnz .LBB98_80
; %bb.81:
	s_set_inst_prefetch_distance 0x2
	s_or_b32 exec_lo, exec_lo, s25
.LBB98_82:
	v_lshlrev_b64 v[10:11], 3, v[4:5]
	s_xor_b32 s7, s7, -1
	s_mov_b32 s25, exec_lo
	s_delay_alu instid0(VALU_DEP_1) | instskip(NEXT) | instid1(VALU_DEP_2)
	v_add_co_u32 v10, vcc_lo, s8, v10
	v_add_co_ci_u32_e32 v11, vcc_lo, s9, v11, vcc_lo
	global_load_b64 v[12:13], v[10:11], off
	v_lshlrev_b64 v[10:11], 3, v[6:7]
	s_delay_alu instid0(VALU_DEP_1) | instskip(NEXT) | instid1(VALU_DEP_2)
	v_add_co_u32 v10, vcc_lo, s10, v10
	v_add_co_ci_u32_e32 v11, vcc_lo, s11, v11, vcc_lo
	s_lshl_b64 s[10:11], s[18:19], 3
	s_delay_alu instid0(SALU_CYCLE_1)
	s_add_u32 s10, s8, s10
	global_load_b64 v[14:15], v[10:11], off
	s_addc_u32 s11, s9, s11
	s_waitcnt vmcnt(1)
	v_sub_co_u32 v12, vcc_lo, v12, s24
	v_subrev_co_ci_u32_e32 v13, vcc_lo, 0, v13, vcc_lo
	s_delay_alu instid0(VALU_DEP_1) | instskip(SKIP_4) | instid1(VALU_DEP_1)
	v_cmp_gt_i64_e32 vcc_lo, v[12:13], v[6:7]
	v_dual_cndmask_b32 v3, v5, v3 :: v_dual_cndmask_b32 v2, v4, v2
	s_waitcnt vmcnt(0)
	v_sub_co_u32 v12, vcc_lo, v14, s24
	v_subrev_co_ci_u32_e32 v13, vcc_lo, 0, v15, vcc_lo
	v_cmpx_ne_u64_e64 v[12:13], v[2:3]
	s_cbranch_execz .LBB98_92
; %bb.83:
	s_load_b64 s[34:35], s[10:11], 0x0
	s_waitcnt lgkmcnt(0)
	s_sub_u32 s34, s34, s24
	s_subb_u32 s35, s35, 0
	s_delay_alu instid0(SALU_CYCLE_1)
	v_cmp_gt_i64_e32 vcc_lo, s[34:35], v[6:7]
	s_and_b32 exec_lo, exec_lo, vcc_lo
	s_cbranch_execz .LBB98_92
; %bb.84:
	v_cmp_gt_i64_e32 vcc_lo, s[12:13], v[12:13]
	v_cmp_le_i64_e64 s0, s[18:19], v[12:13]
	v_lshlrev_b64 v[2:3], 3, v[2:3]
	s_delay_alu instid0(VALU_DEP_2) | instskip(NEXT) | instid1(SALU_CYCLE_1)
	s_or_b32 s0, vcc_lo, s0
	s_and_saveexec_b32 s29, s0
	s_delay_alu instid0(SALU_CYCLE_1)
	s_xor_b32 s0, exec_lo, s29
	s_cbranch_execz .LBB98_88
; %bb.85:
	s_delay_alu instid0(VALU_DEP_1)
	v_add_co_u32 v2, vcc_lo, s14, v2
	v_add_co_ci_u32_e32 v3, vcc_lo, s15, v3, vcc_lo
	v_lshlrev_b64 v[4:5], 3, v[12:13]
	ds_load_b64 v[16:17], v18
	s_mov_b32 s29, 0
	global_load_b64 v[2:3], v[2:3], off
	v_add_co_u32 v14, vcc_lo, s20, v4
	v_add_co_ci_u32_e32 v15, vcc_lo, s21, v5, vcc_lo
	global_load_b64 v[4:5], v[14:15], off
	s_waitcnt vmcnt(1) lgkmcnt(0)
	v_mul_f64 v[16:17], v[16:17], v[2:3]
.LBB98_86:                              ; =>This Inner Loop Header: Depth=1
	s_waitcnt vmcnt(0)
	s_delay_alu instid0(VALU_DEP_1)
	v_add_f64 v[2:3], v[4:5], v[16:17]
	global_atomic_cmpswap_b64 v[2:3], v[14:15], v[2:5], off glc
	s_waitcnt vmcnt(0)
	v_cmp_eq_u64_e32 vcc_lo, v[2:3], v[4:5]
	v_dual_mov_b32 v5, v3 :: v_dual_mov_b32 v4, v2
	s_or_b32 s29, vcc_lo, s29
	s_delay_alu instid0(SALU_CYCLE_1)
	s_and_not1_b32 exec_lo, exec_lo, s29
	s_cbranch_execnz .LBB98_86
; %bb.87:
	s_or_b32 exec_lo, exec_lo, s29
                                        ; implicit-def: $vgpr2_vgpr3
.LBB98_88:
	s_and_not1_saveexec_b32 s0, s0
	s_cbranch_execz .LBB98_92
; %bb.89:
	v_add_co_u32 v2, vcc_lo, s14, v2
	v_add_co_ci_u32_e32 v3, vcc_lo, s15, v3, vcc_lo
	ds_load_b64 v[4:5], v18
	s_mov_b32 s0, 0
	global_load_b64 v[2:3], v[2:3], off
	s_waitcnt vmcnt(0) lgkmcnt(0)
	v_mul_f64 v[2:3], v[4:5], v[2:3]
	v_subrev_nc_u32_e32 v4, s12, v12
	s_delay_alu instid0(VALU_DEP_1)
	v_lshl_add_u32 v14, v4, 3, 0x2000
	ds_load_b64 v[4:5], v14
.LBB98_90:                              ; =>This Inner Loop Header: Depth=1
	s_waitcnt lgkmcnt(0)
	v_add_f64 v[15:16], v[4:5], v[2:3]
	ds_cmpstore_rtn_b64 v[15:16], v14, v[15:16], v[4:5]
	s_waitcnt lgkmcnt(0)
	v_cmp_eq_u64_e32 vcc_lo, v[15:16], v[4:5]
	v_dual_mov_b32 v4, v15 :: v_dual_mov_b32 v5, v16
	s_or_b32 s0, vcc_lo, s0
	s_delay_alu instid0(SALU_CYCLE_1)
	s_and_not1_b32 exec_lo, exec_lo, s0
	s_cbranch_execnz .LBB98_90
; %bb.91:
	s_or_b32 exec_lo, exec_lo, s0
.LBB98_92:
	s_delay_alu instid0(SALU_CYCLE_1)
	s_or_b32 exec_lo, exec_lo, s25
	v_lshlrev_b64 v[2:3], 3, v[12:13]
	ds_load_b64 v[4:5], v18
	v_cndmask_b32_e64 v19, 0, 1, s7
	v_dual_mov_b32 v12, s30 :: v_dual_mov_b32 v13, s31
	v_add_co_u32 v2, vcc_lo, s14, v2
	v_add_co_ci_u32_e32 v3, vcc_lo, s15, v3, vcc_lo
	global_load_b64 v[2:3], v[2:3], off
	s_waitcnt vmcnt(0) lgkmcnt(0)
	v_mul_f64 v[14:15], v[2:3], v[4:5]
	v_add_co_u32 v2, vcc_lo, 0x100, v6
	v_add_co_ci_u32_e32 v3, vcc_lo, 0, v7, vcc_lo
	v_dual_mov_b32 v4, s16 :: v_dual_mov_b32 v5, s17
	s_and_not1_b32 vcc_lo, exec_lo, s7
	ds_store_b64 v18, v[14:15]
	s_cbranch_vccnz .LBB98_96
; %bb.93:
	v_dual_mov_b32 v4, s16 :: v_dual_mov_b32 v5, s17
	v_dual_mov_b32 v12, s30 :: v_dual_mov_b32 v13, s31
	s_mov_b32 s7, 0
	s_set_inst_prefetch_distance 0x1
	.p2align	6
.LBB98_94:                              ; =>This Inner Loop Header: Depth=1
	s_delay_alu instid0(VALU_DEP_1) | instskip(NEXT) | instid1(VALU_DEP_2)
	v_add_co_u32 v14, vcc_lo, v12, v4
	v_add_co_ci_u32_e32 v15, vcc_lo, v13, v5, vcc_lo
	s_delay_alu instid0(VALU_DEP_1) | instskip(NEXT) | instid1(VALU_DEP_1)
	v_lshrrev_b32_e32 v16, 31, v15
	v_add_co_u32 v14, vcc_lo, v14, v16
	v_add_co_ci_u32_e32 v15, vcc_lo, 0, v15, vcc_lo
	s_delay_alu instid0(VALU_DEP_1) | instskip(NEXT) | instid1(VALU_DEP_1)
	v_ashrrev_i64 v[14:15], 1, v[14:15]
	v_lshlrev_b64 v[16:17], 3, v[14:15]
	s_delay_alu instid0(VALU_DEP_1) | instskip(NEXT) | instid1(VALU_DEP_2)
	v_add_co_u32 v16, vcc_lo, s8, v16
	v_add_co_ci_u32_e32 v17, vcc_lo, s9, v17, vcc_lo
	global_load_b64 v[16:17], v[16:17], off
	s_waitcnt vmcnt(0)
	v_sub_co_u32 v16, vcc_lo, v16, s24
	v_subrev_co_ci_u32_e32 v17, vcc_lo, 0, v17, vcc_lo
	s_delay_alu instid0(VALU_DEP_1) | instskip(SKIP_2) | instid1(VALU_DEP_2)
	v_cmp_gt_i64_e32 vcc_lo, v[16:17], v[2:3]
	v_dual_cndmask_b32 v13, v13, v15 :: v_dual_cndmask_b32 v12, v12, v14
	v_dual_cndmask_b32 v5, v15, v5 :: v_dual_cndmask_b32 v4, v14, v4
	v_add_co_u32 v14, vcc_lo, v12, -1
	s_delay_alu instid0(VALU_DEP_3) | instskip(NEXT) | instid1(VALU_DEP_3)
	v_add_co_ci_u32_e32 v15, vcc_lo, -1, v13, vcc_lo
	v_cmp_ge_i64_e32 vcc_lo, v[4:5], v[12:13]
	s_delay_alu instid0(VALU_DEP_2) | instskip(NEXT) | instid1(VALU_DEP_1)
	v_cmp_eq_u64_e64 s0, v[4:5], v[14:15]
	s_or_b32 s0, vcc_lo, s0
	s_delay_alu instid0(SALU_CYCLE_1) | instskip(NEXT) | instid1(SALU_CYCLE_1)
	s_and_b32 s0, exec_lo, s0
	s_or_b32 s7, s0, s7
	s_delay_alu instid0(SALU_CYCLE_1)
	s_and_not1_b32 exec_lo, exec_lo, s7
	s_cbranch_execnz .LBB98_94
; %bb.95:
	s_set_inst_prefetch_distance 0x2
	s_or_b32 exec_lo, exec_lo, s7
.LBB98_96:
	v_lshlrev_b64 v[14:15], 3, v[12:13]
	s_mov_b32 s7, exec_lo
	s_delay_alu instid0(VALU_DEP_1) | instskip(NEXT) | instid1(VALU_DEP_2)
	v_add_co_u32 v14, vcc_lo, s8, v14
	v_add_co_ci_u32_e32 v15, vcc_lo, s9, v15, vcc_lo
	global_load_b64 v[14:15], v[14:15], off
	global_load_b64 v[16:17], v[10:11], off offset:2048
	s_waitcnt vmcnt(1)
	v_sub_co_u32 v14, vcc_lo, v14, s24
	v_subrev_co_ci_u32_e32 v15, vcc_lo, 0, v15, vcc_lo
	s_delay_alu instid0(VALU_DEP_1) | instskip(SKIP_4) | instid1(VALU_DEP_1)
	v_cmp_gt_i64_e32 vcc_lo, v[14:15], v[2:3]
	v_dual_cndmask_b32 v5, v13, v5 :: v_dual_cndmask_b32 v4, v12, v4
	s_waitcnt vmcnt(0)
	v_sub_co_u32 v12, vcc_lo, v16, s24
	v_subrev_co_ci_u32_e32 v13, vcc_lo, 0, v17, vcc_lo
	v_cmpx_ne_u64_e64 v[12:13], v[4:5]
	s_cbranch_execz .LBB98_106
; %bb.97:
	s_load_b64 s[34:35], s[10:11], 0x0
	s_waitcnt lgkmcnt(0)
	s_sub_u32 s34, s34, s24
	s_subb_u32 s35, s35, 0
	s_delay_alu instid0(SALU_CYCLE_1)
	v_cmp_gt_i64_e32 vcc_lo, s[34:35], v[2:3]
	s_and_b32 exec_lo, exec_lo, vcc_lo
	s_cbranch_execz .LBB98_106
; %bb.98:
	v_cmp_gt_i64_e32 vcc_lo, s[12:13], v[12:13]
	v_cmp_le_i64_e64 s0, s[18:19], v[12:13]
	v_lshlrev_b64 v[2:3], 3, v[4:5]
	s_delay_alu instid0(VALU_DEP_2) | instskip(NEXT) | instid1(SALU_CYCLE_1)
	s_or_b32 s0, vcc_lo, s0
	s_and_saveexec_b32 s25, s0
	s_delay_alu instid0(SALU_CYCLE_1)
	s_xor_b32 s0, exec_lo, s25
	s_cbranch_execz .LBB98_102
; %bb.99:
	s_delay_alu instid0(VALU_DEP_1)
	v_add_co_u32 v2, vcc_lo, s14, v2
	v_add_co_ci_u32_e32 v3, vcc_lo, s15, v3, vcc_lo
	v_lshlrev_b64 v[4:5], 3, v[12:13]
	ds_load_b64 v[16:17], v18 offset:2048
	s_mov_b32 s25, 0
	global_load_b64 v[2:3], v[2:3], off
	v_add_co_u32 v14, vcc_lo, s20, v4
	v_add_co_ci_u32_e32 v15, vcc_lo, s21, v5, vcc_lo
	global_load_b64 v[4:5], v[14:15], off
	s_waitcnt vmcnt(1) lgkmcnt(0)
	v_mul_f64 v[16:17], v[16:17], v[2:3]
.LBB98_100:                             ; =>This Inner Loop Header: Depth=1
	s_waitcnt vmcnt(0)
	s_delay_alu instid0(VALU_DEP_1)
	v_add_f64 v[2:3], v[4:5], v[16:17]
	global_atomic_cmpswap_b64 v[2:3], v[14:15], v[2:5], off glc
	s_waitcnt vmcnt(0)
	v_cmp_eq_u64_e32 vcc_lo, v[2:3], v[4:5]
	v_dual_mov_b32 v5, v3 :: v_dual_mov_b32 v4, v2
	s_or_b32 s25, vcc_lo, s25
	s_delay_alu instid0(SALU_CYCLE_1)
	s_and_not1_b32 exec_lo, exec_lo, s25
	s_cbranch_execnz .LBB98_100
; %bb.101:
	s_or_b32 exec_lo, exec_lo, s25
                                        ; implicit-def: $vgpr2_vgpr3
.LBB98_102:
	s_and_not1_saveexec_b32 s0, s0
	s_cbranch_execz .LBB98_106
; %bb.103:
	v_add_co_u32 v2, vcc_lo, s14, v2
	v_add_co_ci_u32_e32 v3, vcc_lo, s15, v3, vcc_lo
	ds_load_b64 v[4:5], v18 offset:2048
	s_mov_b32 s0, 0
	global_load_b64 v[2:3], v[2:3], off
	s_waitcnt vmcnt(0) lgkmcnt(0)
	v_mul_f64 v[2:3], v[4:5], v[2:3]
	v_subrev_nc_u32_e32 v4, s12, v12
	s_delay_alu instid0(VALU_DEP_1)
	v_lshl_add_u32 v14, v4, 3, 0x2000
	ds_load_b64 v[4:5], v14
.LBB98_104:                             ; =>This Inner Loop Header: Depth=1
	s_waitcnt lgkmcnt(0)
	v_add_f64 v[15:16], v[4:5], v[2:3]
	ds_cmpstore_rtn_b64 v[15:16], v14, v[15:16], v[4:5]
	s_waitcnt lgkmcnt(0)
	v_cmp_eq_u64_e32 vcc_lo, v[15:16], v[4:5]
	v_dual_mov_b32 v4, v15 :: v_dual_mov_b32 v5, v16
	s_or_b32 s0, vcc_lo, s0
	s_delay_alu instid0(SALU_CYCLE_1)
	s_and_not1_b32 exec_lo, exec_lo, s0
	s_cbranch_execnz .LBB98_104
; %bb.105:
	s_or_b32 exec_lo, exec_lo, s0
.LBB98_106:
	s_delay_alu instid0(SALU_CYCLE_1)
	s_or_b32 exec_lo, exec_lo, s7
	v_lshlrev_b64 v[2:3], 3, v[12:13]
	ds_load_b64 v[4:5], v18 offset:2048
	v_dual_mov_b32 v12, s30 :: v_dual_mov_b32 v13, s31
	v_add_co_u32 v2, vcc_lo, s14, v2
	v_add_co_ci_u32_e32 v3, vcc_lo, s15, v3, vcc_lo
	v_cmp_ne_u32_e32 vcc_lo, 1, v19
	global_load_b64 v[2:3], v[2:3], off
	s_and_b32 vcc_lo, exec_lo, vcc_lo
	s_waitcnt vmcnt(0) lgkmcnt(0)
	v_mul_f64 v[14:15], v[2:3], v[4:5]
	v_add_co_u32 v2, s0, 0x200, v6
	s_delay_alu instid0(VALU_DEP_1)
	v_add_co_ci_u32_e64 v3, s0, 0, v7, s0
	v_dual_mov_b32 v4, s16 :: v_dual_mov_b32 v5, s17
	ds_store_b64 v18, v[14:15] offset:2048
	s_cbranch_vccnz .LBB98_110
; %bb.107:
	v_dual_mov_b32 v4, s16 :: v_dual_mov_b32 v5, s17
	v_dual_mov_b32 v12, s30 :: v_dual_mov_b32 v13, s31
	s_mov_b32 s7, 0
	s_set_inst_prefetch_distance 0x1
	.p2align	6
.LBB98_108:                             ; =>This Inner Loop Header: Depth=1
	s_delay_alu instid0(VALU_DEP_1) | instskip(NEXT) | instid1(VALU_DEP_2)
	v_add_co_u32 v6, vcc_lo, v12, v4
	v_add_co_ci_u32_e32 v7, vcc_lo, v13, v5, vcc_lo
	s_delay_alu instid0(VALU_DEP_1) | instskip(NEXT) | instid1(VALU_DEP_1)
	v_lshrrev_b32_e32 v14, 31, v7
	v_add_co_u32 v6, vcc_lo, v6, v14
	v_add_co_ci_u32_e32 v7, vcc_lo, 0, v7, vcc_lo
	s_delay_alu instid0(VALU_DEP_1) | instskip(NEXT) | instid1(VALU_DEP_1)
	v_ashrrev_i64 v[6:7], 1, v[6:7]
	v_lshlrev_b64 v[14:15], 3, v[6:7]
	s_delay_alu instid0(VALU_DEP_1) | instskip(NEXT) | instid1(VALU_DEP_2)
	v_add_co_u32 v14, vcc_lo, s8, v14
	v_add_co_ci_u32_e32 v15, vcc_lo, s9, v15, vcc_lo
	global_load_b64 v[14:15], v[14:15], off
	s_waitcnt vmcnt(0)
	v_sub_co_u32 v14, vcc_lo, v14, s24
	v_subrev_co_ci_u32_e32 v15, vcc_lo, 0, v15, vcc_lo
	s_delay_alu instid0(VALU_DEP_1) | instskip(SKIP_2) | instid1(VALU_DEP_2)
	v_cmp_gt_i64_e32 vcc_lo, v[14:15], v[2:3]
	v_dual_cndmask_b32 v13, v13, v7 :: v_dual_cndmask_b32 v12, v12, v6
	v_dual_cndmask_b32 v5, v7, v5 :: v_dual_cndmask_b32 v4, v6, v4
	v_add_co_u32 v6, vcc_lo, v12, -1
	s_delay_alu instid0(VALU_DEP_3) | instskip(NEXT) | instid1(VALU_DEP_3)
	v_add_co_ci_u32_e32 v7, vcc_lo, -1, v13, vcc_lo
	v_cmp_ge_i64_e32 vcc_lo, v[4:5], v[12:13]
	s_delay_alu instid0(VALU_DEP_2) | instskip(NEXT) | instid1(VALU_DEP_1)
	v_cmp_eq_u64_e64 s0, v[4:5], v[6:7]
	s_or_b32 s0, vcc_lo, s0
	s_delay_alu instid0(SALU_CYCLE_1) | instskip(NEXT) | instid1(SALU_CYCLE_1)
	s_and_b32 s0, exec_lo, s0
	s_or_b32 s7, s0, s7
	s_delay_alu instid0(SALU_CYCLE_1)
	s_and_not1_b32 exec_lo, exec_lo, s7
	s_cbranch_execnz .LBB98_108
; %bb.109:
	s_set_inst_prefetch_distance 0x2
	s_or_b32 exec_lo, exec_lo, s7
.LBB98_110:
	v_lshlrev_b64 v[6:7], 3, v[12:13]
	s_mov_b32 s7, exec_lo
	s_delay_alu instid0(VALU_DEP_1) | instskip(NEXT) | instid1(VALU_DEP_2)
	v_add_co_u32 v6, vcc_lo, s8, v6
	v_add_co_ci_u32_e32 v7, vcc_lo, s9, v7, vcc_lo
	global_load_b64 v[14:15], v[6:7], off
	v_add_co_u32 v6, vcc_lo, 0x1000, v10
	v_add_co_ci_u32_e32 v7, vcc_lo, 0, v11, vcc_lo
	global_load_b64 v[10:11], v[6:7], off
	s_waitcnt vmcnt(1)
	v_sub_co_u32 v14, vcc_lo, v14, s24
	v_subrev_co_ci_u32_e32 v15, vcc_lo, 0, v15, vcc_lo
	s_delay_alu instid0(VALU_DEP_1) | instskip(SKIP_4) | instid1(VALU_DEP_1)
	v_cmp_gt_i64_e32 vcc_lo, v[14:15], v[2:3]
	v_dual_cndmask_b32 v5, v13, v5 :: v_dual_cndmask_b32 v4, v12, v4
	s_waitcnt vmcnt(0)
	v_sub_co_u32 v10, vcc_lo, v10, s24
	v_subrev_co_ci_u32_e32 v11, vcc_lo, 0, v11, vcc_lo
	v_cmpx_ne_u64_e64 v[10:11], v[4:5]
	s_cbranch_execz .LBB98_120
; %bb.111:
	s_load_b64 s[34:35], s[10:11], 0x0
	s_waitcnt lgkmcnt(0)
	s_sub_u32 s34, s34, s24
	s_subb_u32 s35, s35, 0
	s_delay_alu instid0(SALU_CYCLE_1)
	v_cmp_gt_i64_e32 vcc_lo, s[34:35], v[2:3]
	s_and_b32 exec_lo, exec_lo, vcc_lo
	s_cbranch_execz .LBB98_120
; %bb.112:
	v_cmp_gt_i64_e32 vcc_lo, s[12:13], v[10:11]
	v_cmp_le_i64_e64 s0, s[18:19], v[10:11]
	v_lshlrev_b64 v[2:3], 3, v[4:5]
	s_delay_alu instid0(VALU_DEP_2) | instskip(NEXT) | instid1(SALU_CYCLE_1)
	s_or_b32 s0, vcc_lo, s0
	s_and_saveexec_b32 s25, s0
	s_delay_alu instid0(SALU_CYCLE_1)
	s_xor_b32 s0, exec_lo, s25
	s_cbranch_execz .LBB98_116
; %bb.113:
	s_delay_alu instid0(VALU_DEP_1)
	v_add_co_u32 v2, vcc_lo, s14, v2
	v_add_co_ci_u32_e32 v3, vcc_lo, s15, v3, vcc_lo
	v_lshlrev_b64 v[4:5], 3, v[10:11]
	ds_load_b64 v[14:15], v18 offset:4096
	s_mov_b32 s25, 0
	global_load_b64 v[2:3], v[2:3], off
	v_add_co_u32 v12, vcc_lo, s20, v4
	v_add_co_ci_u32_e32 v13, vcc_lo, s21, v5, vcc_lo
	global_load_b64 v[4:5], v[12:13], off
	s_waitcnt vmcnt(1) lgkmcnt(0)
	v_mul_f64 v[14:15], v[14:15], v[2:3]
.LBB98_114:                             ; =>This Inner Loop Header: Depth=1
	s_waitcnt vmcnt(0)
	s_delay_alu instid0(VALU_DEP_1)
	v_add_f64 v[2:3], v[4:5], v[14:15]
	global_atomic_cmpswap_b64 v[2:3], v[12:13], v[2:5], off glc
	s_waitcnt vmcnt(0)
	v_cmp_eq_u64_e32 vcc_lo, v[2:3], v[4:5]
	v_dual_mov_b32 v5, v3 :: v_dual_mov_b32 v4, v2
	s_or_b32 s25, vcc_lo, s25
	s_delay_alu instid0(SALU_CYCLE_1)
	s_and_not1_b32 exec_lo, exec_lo, s25
	s_cbranch_execnz .LBB98_114
; %bb.115:
	s_or_b32 exec_lo, exec_lo, s25
                                        ; implicit-def: $vgpr2_vgpr3
.LBB98_116:
	s_and_not1_saveexec_b32 s0, s0
	s_cbranch_execz .LBB98_120
; %bb.117:
	v_add_co_u32 v2, vcc_lo, s14, v2
	v_add_co_ci_u32_e32 v3, vcc_lo, s15, v3, vcc_lo
	ds_load_b64 v[4:5], v18 offset:4096
	s_mov_b32 s0, 0
	global_load_b64 v[2:3], v[2:3], off
	s_waitcnt vmcnt(0) lgkmcnt(0)
	v_mul_f64 v[2:3], v[4:5], v[2:3]
	v_subrev_nc_u32_e32 v4, s12, v10
	s_delay_alu instid0(VALU_DEP_1)
	v_lshl_add_u32 v12, v4, 3, 0x2000
	ds_load_b64 v[4:5], v12
.LBB98_118:                             ; =>This Inner Loop Header: Depth=1
	s_waitcnt lgkmcnt(0)
	v_add_f64 v[13:14], v[4:5], v[2:3]
	ds_cmpstore_rtn_b64 v[13:14], v12, v[13:14], v[4:5]
	s_waitcnt lgkmcnt(0)
	v_cmp_eq_u64_e32 vcc_lo, v[13:14], v[4:5]
	v_dual_mov_b32 v4, v13 :: v_dual_mov_b32 v5, v14
	s_or_b32 s0, vcc_lo, s0
	s_delay_alu instid0(SALU_CYCLE_1)
	s_and_not1_b32 exec_lo, exec_lo, s0
	s_cbranch_execnz .LBB98_118
; %bb.119:
	s_or_b32 exec_lo, exec_lo, s0
.LBB98_120:
	s_delay_alu instid0(SALU_CYCLE_1)
	s_or_b32 exec_lo, exec_lo, s7
	v_lshlrev_b64 v[2:3], 3, v[10:11]
	ds_load_b64 v[4:5], v18 offset:4096
	v_add_co_u32 v2, vcc_lo, s14, v2
	v_add_co_ci_u32_e32 v3, vcc_lo, s15, v3, vcc_lo
	v_cmp_ne_u32_e32 vcc_lo, 1, v19
	global_load_b64 v[2:3], v[2:3], off
	s_and_b32 vcc_lo, exec_lo, vcc_lo
	s_waitcnt vmcnt(0) lgkmcnt(0)
	v_mul_f64 v[10:11], v[2:3], v[4:5]
	v_dual_mov_b32 v2, s16 :: v_dual_mov_b32 v3, s17
	v_dual_mov_b32 v4, s30 :: v_dual_mov_b32 v5, s31
	ds_store_b64 v18, v[10:11] offset:4096
	s_cbranch_vccnz .LBB98_124
; %bb.121:
	v_dual_mov_b32 v2, s16 :: v_dual_mov_b32 v3, s17
	v_dual_mov_b32 v4, s30 :: v_dual_mov_b32 v5, s31
	s_mov_b32 s7, 0
	s_set_inst_prefetch_distance 0x1
	.p2align	6
.LBB98_122:                             ; =>This Inner Loop Header: Depth=1
	s_delay_alu instid0(VALU_DEP_1) | instskip(NEXT) | instid1(VALU_DEP_2)
	v_add_co_u32 v10, vcc_lo, v4, v2
	v_add_co_ci_u32_e32 v11, vcc_lo, v5, v3, vcc_lo
	s_delay_alu instid0(VALU_DEP_1) | instskip(NEXT) | instid1(VALU_DEP_1)
	v_lshrrev_b32_e32 v12, 31, v11
	v_add_co_u32 v10, vcc_lo, v10, v12
	v_add_co_ci_u32_e32 v11, vcc_lo, 0, v11, vcc_lo
	s_delay_alu instid0(VALU_DEP_1) | instskip(NEXT) | instid1(VALU_DEP_1)
	v_ashrrev_i64 v[10:11], 1, v[10:11]
	v_lshlrev_b64 v[12:13], 3, v[10:11]
	s_delay_alu instid0(VALU_DEP_1) | instskip(NEXT) | instid1(VALU_DEP_2)
	v_add_co_u32 v12, vcc_lo, s8, v12
	v_add_co_ci_u32_e32 v13, vcc_lo, s9, v13, vcc_lo
	global_load_b64 v[12:13], v[12:13], off
	s_waitcnt vmcnt(0)
	v_sub_co_u32 v12, vcc_lo, v12, s24
	v_subrev_co_ci_u32_e32 v13, vcc_lo, 0, v13, vcc_lo
	s_delay_alu instid0(VALU_DEP_1) | instskip(SKIP_2) | instid1(VALU_DEP_2)
	v_cmp_gt_i64_e32 vcc_lo, v[12:13], v[8:9]
	v_dual_cndmask_b32 v5, v5, v11 :: v_dual_cndmask_b32 v4, v4, v10
	v_dual_cndmask_b32 v3, v11, v3 :: v_dual_cndmask_b32 v2, v10, v2
	v_add_co_u32 v10, vcc_lo, v4, -1
	s_delay_alu instid0(VALU_DEP_3) | instskip(NEXT) | instid1(VALU_DEP_3)
	v_add_co_ci_u32_e32 v11, vcc_lo, -1, v5, vcc_lo
	v_cmp_ge_i64_e32 vcc_lo, v[2:3], v[4:5]
	s_delay_alu instid0(VALU_DEP_2) | instskip(NEXT) | instid1(VALU_DEP_1)
	v_cmp_eq_u64_e64 s0, v[2:3], v[10:11]
	s_or_b32 s0, vcc_lo, s0
	s_delay_alu instid0(SALU_CYCLE_1) | instskip(NEXT) | instid1(SALU_CYCLE_1)
	s_and_b32 s0, exec_lo, s0
	s_or_b32 s7, s0, s7
	s_delay_alu instid0(SALU_CYCLE_1)
	s_and_not1_b32 exec_lo, exec_lo, s7
	s_cbranch_execnz .LBB98_122
; %bb.123:
	s_set_inst_prefetch_distance 0x2
	s_or_b32 exec_lo, exec_lo, s7
.LBB98_124:
	v_lshlrev_b64 v[10:11], 3, v[4:5]
	s_mov_b32 s7, exec_lo
	s_delay_alu instid0(VALU_DEP_1) | instskip(NEXT) | instid1(VALU_DEP_2)
	v_add_co_u32 v10, vcc_lo, s8, v10
	v_add_co_ci_u32_e32 v11, vcc_lo, s9, v11, vcc_lo
	global_load_b64 v[10:11], v[10:11], off
	global_load_b64 v[6:7], v[6:7], off offset:2048
	s_waitcnt vmcnt(1)
	v_sub_co_u32 v10, vcc_lo, v10, s24
	v_subrev_co_ci_u32_e32 v11, vcc_lo, 0, v11, vcc_lo
	s_delay_alu instid0(VALU_DEP_1) | instskip(SKIP_4) | instid1(VALU_DEP_1)
	v_cmp_gt_i64_e32 vcc_lo, v[10:11], v[8:9]
	v_dual_cndmask_b32 v3, v5, v3 :: v_dual_cndmask_b32 v2, v4, v2
	s_waitcnt vmcnt(0)
	v_sub_co_u32 v6, vcc_lo, v6, s24
	v_subrev_co_ci_u32_e32 v7, vcc_lo, 0, v7, vcc_lo
	v_cmpx_ne_u64_e64 v[6:7], v[2:3]
	s_cbranch_execz .LBB98_134
; %bb.125:
	s_load_b64 s[10:11], s[10:11], 0x0
	s_waitcnt lgkmcnt(0)
	s_sub_u32 s10, s10, s24
	s_subb_u32 s11, s11, 0
	s_delay_alu instid0(SALU_CYCLE_1)
	v_cmp_gt_i64_e32 vcc_lo, s[10:11], v[8:9]
	s_and_b32 exec_lo, exec_lo, vcc_lo
	s_cbranch_execz .LBB98_134
; %bb.126:
	v_cmp_gt_i64_e32 vcc_lo, s[12:13], v[6:7]
	v_cmp_le_i64_e64 s0, s[18:19], v[6:7]
	v_lshlrev_b64 v[2:3], 3, v[2:3]
	s_delay_alu instid0(VALU_DEP_2) | instskip(NEXT) | instid1(SALU_CYCLE_1)
	s_or_b32 s0, vcc_lo, s0
	s_and_saveexec_b32 s10, s0
	s_delay_alu instid0(SALU_CYCLE_1)
	s_xor_b32 s0, exec_lo, s10
	s_cbranch_execz .LBB98_130
; %bb.127:
	s_delay_alu instid0(VALU_DEP_1)
	v_add_co_u32 v2, vcc_lo, s14, v2
	v_add_co_ci_u32_e32 v3, vcc_lo, s15, v3, vcc_lo
	v_lshlrev_b64 v[4:5], 3, v[6:7]
	ds_load_b64 v[10:11], v18 offset:6144
	s_mov_b32 s10, 0
	global_load_b64 v[2:3], v[2:3], off
	v_add_co_u32 v8, vcc_lo, s20, v4
	v_add_co_ci_u32_e32 v9, vcc_lo, s21, v5, vcc_lo
	global_load_b64 v[4:5], v[8:9], off
	s_waitcnt vmcnt(1) lgkmcnt(0)
	v_mul_f64 v[10:11], v[10:11], v[2:3]
.LBB98_128:                             ; =>This Inner Loop Header: Depth=1
	s_waitcnt vmcnt(0)
	s_delay_alu instid0(VALU_DEP_1)
	v_add_f64 v[2:3], v[4:5], v[10:11]
	global_atomic_cmpswap_b64 v[2:3], v[8:9], v[2:5], off glc
	s_waitcnt vmcnt(0)
	v_cmp_eq_u64_e32 vcc_lo, v[2:3], v[4:5]
	v_dual_mov_b32 v5, v3 :: v_dual_mov_b32 v4, v2
	s_or_b32 s10, vcc_lo, s10
	s_delay_alu instid0(SALU_CYCLE_1)
	s_and_not1_b32 exec_lo, exec_lo, s10
	s_cbranch_execnz .LBB98_128
; %bb.129:
	s_or_b32 exec_lo, exec_lo, s10
                                        ; implicit-def: $vgpr2_vgpr3
.LBB98_130:
	s_and_not1_saveexec_b32 s0, s0
	s_cbranch_execz .LBB98_134
; %bb.131:
	v_add_co_u32 v2, vcc_lo, s14, v2
	v_add_co_ci_u32_e32 v3, vcc_lo, s15, v3, vcc_lo
	ds_load_b64 v[4:5], v18 offset:6144
	s_mov_b32 s0, 0
	global_load_b64 v[2:3], v[2:3], off
	s_waitcnt vmcnt(0) lgkmcnt(0)
	v_mul_f64 v[2:3], v[4:5], v[2:3]
	v_subrev_nc_u32_e32 v4, s12, v6
	s_delay_alu instid0(VALU_DEP_1)
	v_lshl_add_u32 v8, v4, 3, 0x2000
	ds_load_b64 v[4:5], v8
.LBB98_132:                             ; =>This Inner Loop Header: Depth=1
	s_waitcnt lgkmcnt(0)
	v_add_f64 v[9:10], v[4:5], v[2:3]
	ds_cmpstore_rtn_b64 v[9:10], v8, v[9:10], v[4:5]
	s_waitcnt lgkmcnt(0)
	v_cmp_eq_u64_e32 vcc_lo, v[9:10], v[4:5]
	v_dual_mov_b32 v4, v9 :: v_dual_mov_b32 v5, v10
	s_or_b32 s0, vcc_lo, s0
	s_delay_alu instid0(SALU_CYCLE_1)
	s_and_not1_b32 exec_lo, exec_lo, s0
	s_cbranch_execnz .LBB98_132
; %bb.133:
	s_or_b32 exec_lo, exec_lo, s0
.LBB98_134:
	s_delay_alu instid0(SALU_CYCLE_1)
	s_or_b32 exec_lo, exec_lo, s7
	v_lshlrev_b64 v[2:3], 3, v[6:7]
	ds_load_b64 v[4:5], v18 offset:6144
	v_add_co_u32 v2, vcc_lo, s14, v2
	v_add_co_ci_u32_e32 v3, vcc_lo, s15, v3, vcc_lo
	global_load_b64 v[2:3], v[2:3], off
	s_waitcnt vmcnt(0) lgkmcnt(0)
	v_mul_f64 v[2:3], v[2:3], v[4:5]
	ds_store_b64 v18, v[2:3] offset:6144
.LBB98_135:
	s_or_b32 exec_lo, exec_lo, s1
	v_cmp_lt_i64_e64 s0, s[18:19], s[2:3]
	s_waitcnt lgkmcnt(0)
	s_barrier
	buffer_gl0_inv
	s_and_b32 s0, s0, exec_lo
	s_cselect_b32 s1, s18, s2
	s_cselect_b32 s0, s19, s3
	s_sub_u32 s2, s1, s22
	s_subb_u32 s3, s0, s23
	s_mov_b32 s0, exec_lo
	v_cmpx_gt_i64_e64 s[2:3], v[0:1]
	s_cbranch_execz .LBB98_140
; %bb.136:
	s_lshl_b64 s[10:11], s[12:13], 3
	v_dual_mov_b32 v7, v1 :: v_dual_mov_b32 v6, v0
	s_add_u32 s7, s20, s10
	s_addc_u32 s10, s21, s11
	s_mov_b32 s11, 0
	.p2align	6
.LBB98_137:                             ; =>This Loop Header: Depth=1
                                        ;     Child Loop BB98_138 Depth 2
	s_delay_alu instid0(VALU_DEP_1) | instskip(SKIP_1) | instid1(VALU_DEP_1)
	v_lshlrev_b64 v[2:3], 3, v[6:7]
	s_mov_b32 s12, 0
	v_add_co_u32 v8, vcc_lo, s7, v2
	s_delay_alu instid0(VALU_DEP_2)
	v_add_co_ci_u32_e32 v9, vcc_lo, s10, v3, vcc_lo
	v_lshl_add_u32 v2, v6, 3, 0x2000
	global_load_b64 v[4:5], v[8:9], off
	ds_load_b64 v[10:11], v2
.LBB98_138:                             ;   Parent Loop BB98_137 Depth=1
                                        ; =>  This Inner Loop Header: Depth=2
	s_waitcnt vmcnt(0) lgkmcnt(0)
	v_add_f64 v[2:3], v[4:5], v[10:11]
	global_atomic_cmpswap_b64 v[2:3], v[8:9], v[2:5], off glc
	s_waitcnt vmcnt(0)
	v_cmp_eq_u64_e32 vcc_lo, v[2:3], v[4:5]
	v_dual_mov_b32 v5, v3 :: v_dual_mov_b32 v4, v2
	s_or_b32 s12, vcc_lo, s12
	s_delay_alu instid0(SALU_CYCLE_1)
	s_and_not1_b32 exec_lo, exec_lo, s12
	s_cbranch_execnz .LBB98_138
; %bb.139:                              ;   in Loop: Header=BB98_137 Depth=1
	s_or_b32 exec_lo, exec_lo, s12
	v_add_co_u32 v6, vcc_lo, 0x100, v6
	v_add_co_ci_u32_e32 v7, vcc_lo, 0, v7, vcc_lo
	s_delay_alu instid0(VALU_DEP_1) | instskip(SKIP_1) | instid1(SALU_CYCLE_1)
	v_cmp_le_i64_e32 vcc_lo, s[2:3], v[6:7]
	s_or_b32 s11, vcc_lo, s11
	s_and_not1_b32 exec_lo, exec_lo, s11
	s_cbranch_execnz .LBB98_137
.LBB98_140:
	s_or_b32 exec_lo, exec_lo, s0
	s_add_i32 s0, s28, -1
	v_add_co_u32 v6, s10, s16, v0
	s_ashr_i32 s3, s0, 1
	v_add_co_ci_u32_e64 v7, null, s17, 0, s10
	s_or_b32 s0, s3, s0
	s_delay_alu instid0(SALU_CYCLE_1) | instskip(SKIP_4) | instid1(SALU_CYCLE_1)
	s_ashr_i32 s3, s0, 2
	s_barrier
	s_or_b32 s0, s3, s0
	buffer_gl0_inv
	s_ashr_i32 s3, s0, 4
	s_or_b32 s0, s3, s0
	s_delay_alu instid0(SALU_CYCLE_1) | instskip(NEXT) | instid1(SALU_CYCLE_1)
	s_ashr_i32 s3, s0, 8
	s_or_b32 s0, s3, s0
	s_delay_alu instid0(SALU_CYCLE_1) | instskip(NEXT) | instid1(SALU_CYCLE_1)
	s_ashr_i32 s3, s0, 16
	s_or_b32 s3, s3, s0
	s_mov_b32 s0, -1
	s_add_i32 s3, s3, 1
	s_delay_alu instid0(SALU_CYCLE_1) | instskip(NEXT) | instid1(SALU_CYCLE_1)
	s_ashr_i32 s7, s3, 1
	s_cmp_gt_i32 s7, 1
	s_cbranch_scc1 .LBB98_151
; %bb.141:
	s_mov_b32 s0, exec_lo
	v_cmpx_gt_i64_e64 s[18:19], v[6:7]
	s_cbranch_execz .LBB98_150
; %bb.142:
	s_sub_i32 s1, s1, s18
	v_dual_mov_b32 v9, v7 :: v_dual_mov_b32 v8, v6
	s_lshl_b32 s11, s4, 3
	s_lshl_b32 s1, s1, 3
	s_mov_b32 s10, 0
	s_addk_i32 s1, 0x2000
	s_sub_i32 s11, 0, s11
.LBB98_143:                             ; =>This Loop Header: Depth=1
                                        ;     Child Loop BB98_145 Depth 2
                                        ;     Child Loop BB98_148 Depth 2
	v_lshlrev_b64 v[10:11], 3, v[8:9]
	v_mov_b32_e32 v12, 0
	v_mov_b32_e32 v13, 0
	s_mov_b32 s12, exec_lo
	s_delay_alu instid0(VALU_DEP_3) | instskip(NEXT) | instid1(VALU_DEP_4)
	v_add_co_u32 v2, vcc_lo, s8, v10
	v_add_co_ci_u32_e32 v3, vcc_lo, s9, v11, vcc_lo
	global_load_b128 v[2:5], v[2:3], off
	s_waitcnt vmcnt(0)
	v_cmpx_lt_i64_e64 v[2:3], v[4:5]
	s_cbranch_execz .LBB98_147
; %bb.144:                              ;   in Loop: Header=BB98_143 Depth=1
	v_sub_co_u32 v4, vcc_lo, v4, s4
	v_subrev_co_ci_u32_e32 v5, vcc_lo, s5, v5, vcc_lo
	v_sub_co_u32 v14, vcc_lo, v2, s4
	v_mov_b32_e32 v12, 0
	v_subrev_co_ci_u32_e32 v15, vcc_lo, s5, v3, vcc_lo
	v_mov_b32_e32 v13, 0
	v_lshl_add_u32 v2, v2, 3, s11
	s_mov_b32 s13, 0
.LBB98_145:                             ;   Parent Loop BB98_143 Depth=1
                                        ; =>  This Inner Loop Header: Depth=2
	ds_load_b64 v[16:17], v2
	v_add_co_u32 v14, vcc_lo, v14, 1
	v_add_co_ci_u32_e32 v15, vcc_lo, 0, v15, vcc_lo
	v_add_nc_u32_e32 v2, 8, v2
	s_delay_alu instid0(VALU_DEP_2)
	v_cmp_ge_i64_e32 vcc_lo, v[14:15], v[4:5]
	s_or_b32 s13, vcc_lo, s13
	s_waitcnt lgkmcnt(0)
	v_add_f64 v[12:13], v[12:13], v[16:17]
	s_and_not1_b32 exec_lo, exec_lo, s13
	s_cbranch_execnz .LBB98_145
; %bb.146:                              ;   in Loop: Header=BB98_143 Depth=1
	s_or_b32 exec_lo, exec_lo, s13
.LBB98_147:                             ;   in Loop: Header=BB98_143 Depth=1
	s_delay_alu instid0(SALU_CYCLE_1)
	s_or_b32 exec_lo, exec_lo, s12
	v_add_co_u32 v10, vcc_lo, s20, v10
	v_add_co_ci_u32_e32 v11, vcc_lo, s21, v11, vcc_lo
	v_lshl_add_u32 v2, v8, 3, s1
	s_mov_b32 s12, 0
	global_load_b64 v[4:5], v[10:11], off
	ds_load_b64 v[2:3], v2
	s_waitcnt lgkmcnt(0)
	v_add_f64 v[12:13], v[12:13], v[2:3]
.LBB98_148:                             ;   Parent Loop BB98_143 Depth=1
                                        ; =>  This Inner Loop Header: Depth=2
	s_waitcnt vmcnt(0)
	s_delay_alu instid0(VALU_DEP_1)
	v_add_f64 v[2:3], v[4:5], v[12:13]
	global_atomic_cmpswap_b64 v[2:3], v[10:11], v[2:5], off glc
	s_waitcnt vmcnt(0)
	v_cmp_eq_u64_e32 vcc_lo, v[2:3], v[4:5]
	v_dual_mov_b32 v5, v3 :: v_dual_mov_b32 v4, v2
	s_or_b32 s12, vcc_lo, s12
	s_delay_alu instid0(SALU_CYCLE_1)
	s_and_not1_b32 exec_lo, exec_lo, s12
	s_cbranch_execnz .LBB98_148
; %bb.149:                              ;   in Loop: Header=BB98_143 Depth=1
	s_or_b32 exec_lo, exec_lo, s12
	v_add_co_u32 v8, vcc_lo, v8, s6
	v_add_co_ci_u32_e32 v9, vcc_lo, 0, v9, vcc_lo
	s_delay_alu instid0(VALU_DEP_1) | instskip(SKIP_1) | instid1(SALU_CYCLE_1)
	v_cmp_le_i64_e32 vcc_lo, s[18:19], v[8:9]
	s_or_b32 s10, vcc_lo, s10
	s_and_not1_b32 exec_lo, exec_lo, s10
	s_cbranch_execnz .LBB98_143
.LBB98_150:
	s_or_b32 exec_lo, exec_lo, s0
	s_mov_b32 s0, 0
.LBB98_151:
	s_delay_alu instid0(SALU_CYCLE_1)
	s_and_not1_b32 vcc_lo, exec_lo, s0
	s_cbranch_vccnz .LBB98_180
; %bb.152:
	v_cvt_f32_u32_e32 v13, s7
	s_sub_i32 s1, 0, s7
	v_mov_b32_e32 v11, 0
	s_delay_alu instid0(VALU_DEP_2) | instskip(SKIP_2) | instid1(VALU_DEP_1)
	v_rcp_iflag_f32_e32 v2, v13
	s_waitcnt_depctr 0xfff
	v_mul_f32_e32 v2, 0x4f7ffffe, v2
	v_cvt_u32_f32_e32 v2, v2
	s_delay_alu instid0(VALU_DEP_1) | instskip(NEXT) | instid1(VALU_DEP_1)
	v_mul_lo_u32 v3, s1, v2
	v_mul_hi_u32 v3, v2, v3
	s_delay_alu instid0(VALU_DEP_1) | instskip(NEXT) | instid1(VALU_DEP_1)
	v_add_nc_u32_e32 v2, v2, v3
	v_mul_hi_u32 v2, v0, v2
	s_delay_alu instid0(VALU_DEP_1) | instskip(SKIP_1) | instid1(VALU_DEP_2)
	v_mul_lo_u32 v3, v2, s7
	v_add_nc_u32_e32 v4, 1, v2
	v_sub_nc_u32_e32 v3, v0, v3
	s_delay_alu instid0(VALU_DEP_1) | instskip(SKIP_1) | instid1(VALU_DEP_2)
	v_subrev_nc_u32_e32 v5, s7, v3
	v_cmp_le_u32_e32 vcc_lo, s7, v3
	v_dual_cndmask_b32 v2, v2, v4 :: v_dual_cndmask_b32 v3, v3, v5
	s_delay_alu instid0(VALU_DEP_1) | instskip(NEXT) | instid1(VALU_DEP_2)
	v_add_nc_u32_e32 v4, 1, v2
	v_cmp_le_u32_e32 vcc_lo, s7, v3
	s_delay_alu instid0(VALU_DEP_2) | instskip(NEXT) | instid1(VALU_DEP_1)
	v_cndmask_b32_e32 v10, v2, v4, vcc_lo
	v_lshlrev_b64 v[2:3], 3, v[10:11]
	s_delay_alu instid0(VALU_DEP_1) | instskip(NEXT) | instid1(VALU_DEP_2)
	v_add_co_u32 v2, vcc_lo, s26, v2
	v_add_co_ci_u32_e32 v3, vcc_lo, s27, v3, vcc_lo
	global_load_b128 v[2:5], v[2:3], off
	s_waitcnt vmcnt(0)
	v_sub_co_u32 v8, vcc_lo, v2, s4
	v_subrev_co_ci_u32_e32 v9, vcc_lo, s5, v3, vcc_lo
	v_sub_co_u32 v16, vcc_lo, v4, s4
	v_subrev_co_ci_u32_e32 v17, vcc_lo, s5, v5, vcc_lo
	v_mov_b32_e32 v4, v11
	s_delay_alu instid0(VALU_DEP_3) | instskip(NEXT) | instid1(VALU_DEP_3)
	v_sub_co_u32 v12, vcc_lo, v16, v8
	v_sub_co_ci_u32_e32 v5, vcc_lo, v17, v9, vcc_lo
	s_delay_alu instid0(VALU_DEP_1) | instskip(SKIP_1) | instid1(SALU_CYCLE_1)
	v_cmp_ne_u64_e32 vcc_lo, 0, v[4:5]
                                        ; implicit-def: $vgpr3_vgpr4
	s_and_saveexec_b32 s0, vcc_lo
	s_xor_b32 s5, exec_lo, s0
	s_cbranch_execz .LBB98_154
; %bb.153:
	v_cvt_f32_ubyte0_e32 v3, 0
	s_sub_u32 s0, 0, s7
	s_subb_u32 s6, 0, 0
	s_delay_alu instid0(VALU_DEP_1) | instskip(NEXT) | instid1(VALU_DEP_1)
	v_fmamk_f32 v3, v3, 0x4f800000, v13
	v_rcp_f32_e32 v3, v3
	s_waitcnt_depctr 0xfff
	v_mul_f32_e32 v3, 0x5f7ffffc, v3
	s_delay_alu instid0(VALU_DEP_1) | instskip(NEXT) | instid1(VALU_DEP_1)
	v_mul_f32_e32 v4, 0x2f800000, v3
	v_trunc_f32_e32 v4, v4
	s_delay_alu instid0(VALU_DEP_1) | instskip(SKIP_1) | instid1(VALU_DEP_2)
	v_fmamk_f32 v3, v4, 0xcf800000, v3
	v_cvt_u32_f32_e32 v4, v4
	v_cvt_u32_f32_e32 v3, v3
	s_delay_alu instid0(VALU_DEP_2) | instskip(NEXT) | instid1(VALU_DEP_2)
	v_mul_lo_u32 v13, s0, v4
	v_mul_hi_u32 v14, s0, v3
	v_mul_lo_u32 v15, s6, v3
	s_delay_alu instid0(VALU_DEP_2) | instskip(SKIP_1) | instid1(VALU_DEP_2)
	v_add_nc_u32_e32 v13, v14, v13
	v_mul_lo_u32 v14, s0, v3
	v_add_nc_u32_e32 v13, v13, v15
	s_delay_alu instid0(VALU_DEP_2) | instskip(NEXT) | instid1(VALU_DEP_2)
	v_mul_hi_u32 v15, v3, v14
	v_mul_lo_u32 v19, v3, v13
	v_mul_hi_u32 v20, v3, v13
	v_mul_hi_u32 v21, v4, v14
	v_mul_lo_u32 v14, v4, v14
	v_mul_hi_u32 v22, v4, v13
	v_mul_lo_u32 v13, v4, v13
	v_add_co_u32 v15, vcc_lo, v15, v19
	v_add_co_ci_u32_e32 v19, vcc_lo, 0, v20, vcc_lo
	s_delay_alu instid0(VALU_DEP_2) | instskip(NEXT) | instid1(VALU_DEP_2)
	v_add_co_u32 v14, vcc_lo, v15, v14
	v_add_co_ci_u32_e32 v14, vcc_lo, v19, v21, vcc_lo
	v_add_co_ci_u32_e32 v15, vcc_lo, 0, v22, vcc_lo
	v_ashrrev_i32_e32 v21, 31, v5
	s_delay_alu instid0(VALU_DEP_3) | instskip(NEXT) | instid1(VALU_DEP_3)
	v_add_co_u32 v13, vcc_lo, v14, v13
	v_add_co_ci_u32_e32 v14, vcc_lo, 0, v15, vcc_lo
	s_delay_alu instid0(VALU_DEP_2) | instskip(NEXT) | instid1(VALU_DEP_2)
	v_add_co_u32 v3, vcc_lo, v3, v13
	v_add_co_ci_u32_e32 v4, vcc_lo, v4, v14, vcc_lo
	s_delay_alu instid0(VALU_DEP_2) | instskip(SKIP_1) | instid1(VALU_DEP_3)
	v_mul_hi_u32 v13, s0, v3
	v_mul_lo_u32 v15, s6, v3
	v_mul_lo_u32 v14, s0, v4
	s_delay_alu instid0(VALU_DEP_1) | instskip(SKIP_1) | instid1(VALU_DEP_2)
	v_add_nc_u32_e32 v13, v13, v14
	v_mul_lo_u32 v14, s0, v3
	v_add_nc_u32_e32 v13, v13, v15
	s_delay_alu instid0(VALU_DEP_2) | instskip(NEXT) | instid1(VALU_DEP_2)
	v_mul_hi_u32 v15, v3, v14
	v_mul_lo_u32 v19, v3, v13
	v_mul_hi_u32 v20, v3, v13
	v_mul_hi_u32 v22, v4, v14
	v_mul_lo_u32 v14, v4, v14
	v_mul_hi_u32 v23, v4, v13
	v_mul_lo_u32 v13, v4, v13
	v_add_co_u32 v15, vcc_lo, v15, v19
	v_add_co_ci_u32_e32 v19, vcc_lo, 0, v20, vcc_lo
	s_delay_alu instid0(VALU_DEP_2) | instskip(NEXT) | instid1(VALU_DEP_2)
	v_add_co_u32 v14, vcc_lo, v15, v14
	v_add_co_ci_u32_e32 v14, vcc_lo, v19, v22, vcc_lo
	v_add_co_ci_u32_e32 v15, vcc_lo, 0, v23, vcc_lo
	v_add_co_u32 v12, vcc_lo, v12, v21
	v_add_co_ci_u32_e32 v5, vcc_lo, v5, v21, vcc_lo
	s_delay_alu instid0(VALU_DEP_4) | instskip(NEXT) | instid1(VALU_DEP_4)
	v_add_co_u32 v13, vcc_lo, v14, v13
	v_add_co_ci_u32_e32 v14, vcc_lo, 0, v15, vcc_lo
	s_delay_alu instid0(VALU_DEP_4) | instskip(NEXT) | instid1(VALU_DEP_3)
	v_xor_b32_e32 v19, v12, v21
	v_add_co_u32 v15, vcc_lo, v3, v13
	s_delay_alu instid0(VALU_DEP_3) | instskip(SKIP_1) | instid1(VALU_DEP_3)
	v_add_co_ci_u32_e32 v20, vcc_lo, v4, v14, vcc_lo
	v_xor_b32_e32 v5, v5, v21
	v_mul_hi_u32 v22, v19, v15
	s_delay_alu instid0(VALU_DEP_3) | instskip(NEXT) | instid1(VALU_DEP_3)
	v_mad_u64_u32 v[3:4], null, v19, v20, 0
	v_mad_u64_u32 v[12:13], null, v5, v15, 0
	;; [unrolled: 1-line block ×3, first 2 shown]
	s_delay_alu instid0(VALU_DEP_3) | instskip(NEXT) | instid1(VALU_DEP_4)
	v_add_co_u32 v3, vcc_lo, v22, v3
	v_add_co_ci_u32_e32 v4, vcc_lo, 0, v4, vcc_lo
	s_delay_alu instid0(VALU_DEP_2) | instskip(NEXT) | instid1(VALU_DEP_2)
	v_add_co_u32 v3, vcc_lo, v3, v12
	v_add_co_ci_u32_e32 v3, vcc_lo, v4, v13, vcc_lo
	v_add_co_ci_u32_e32 v4, vcc_lo, 0, v15, vcc_lo
	s_delay_alu instid0(VALU_DEP_2) | instskip(NEXT) | instid1(VALU_DEP_2)
	v_add_co_u32 v14, vcc_lo, v3, v14
	v_add_co_ci_u32_e32 v15, vcc_lo, 0, v4, vcc_lo
	s_delay_alu instid0(VALU_DEP_2) | instskip(NEXT) | instid1(VALU_DEP_1)
	v_mad_u64_u32 v[3:4], null, s7, v14, 0
	v_mad_u64_u32 v[12:13], null, s7, v15, v[4:5]
	s_delay_alu instid0(VALU_DEP_2) | instskip(NEXT) | instid1(VALU_DEP_2)
	v_sub_co_u32 v3, vcc_lo, v19, v3
	v_sub_co_ci_u32_e32 v4, vcc_lo, v5, v12, vcc_lo
	s_delay_alu instid0(VALU_DEP_2) | instskip(NEXT) | instid1(VALU_DEP_2)
	v_sub_co_u32 v5, vcc_lo, v3, s7
	v_subrev_co_ci_u32_e32 v12, vcc_lo, 0, v4, vcc_lo
	s_delay_alu instid0(VALU_DEP_2)
	v_cmp_le_u32_e32 vcc_lo, s7, v5
	v_cmp_eq_u32_e64 s0, 0, v4
	v_cndmask_b32_e64 v5, 0, -1, vcc_lo
	v_add_co_u32 v13, vcc_lo, v14, 2
	v_add_co_ci_u32_e32 v19, vcc_lo, 0, v15, vcc_lo
	v_cmp_le_u32_e32 vcc_lo, s7, v3
	v_cndmask_b32_e64 v3, 0, -1, vcc_lo
	v_cmp_eq_u32_e32 vcc_lo, 0, v12
	s_delay_alu instid0(VALU_DEP_2) | instskip(SKIP_3) | instid1(VALU_DEP_3)
	v_cndmask_b32_e64 v3, -1, v3, s0
	v_cndmask_b32_e32 v5, -1, v5, vcc_lo
	v_add_co_u32 v12, vcc_lo, v14, 1
	v_add_co_ci_u32_e32 v20, vcc_lo, 0, v15, vcc_lo
	v_cmp_ne_u32_e32 vcc_lo, 0, v5
	s_delay_alu instid0(VALU_DEP_2) | instskip(NEXT) | instid1(VALU_DEP_4)
	v_cndmask_b32_e32 v4, v20, v19, vcc_lo
	v_cndmask_b32_e32 v5, v12, v13, vcc_lo
	v_cmp_ne_u32_e32 vcc_lo, 0, v3
                                        ; implicit-def: $vgpr12
	s_delay_alu instid0(VALU_DEP_2) | instskip(NEXT) | instid1(VALU_DEP_1)
	v_dual_cndmask_b32 v3, v15, v4 :: v_dual_cndmask_b32 v4, v14, v5
	v_xor_b32_e32 v5, v3, v21
	s_delay_alu instid0(VALU_DEP_2) | instskip(NEXT) | instid1(VALU_DEP_1)
	v_xor_b32_e32 v4, v4, v21
	v_sub_co_u32 v3, vcc_lo, v4, v21
	s_delay_alu instid0(VALU_DEP_3)
	v_sub_co_ci_u32_e32 v4, vcc_lo, v5, v21, vcc_lo
.LBB98_154:
	s_and_not1_saveexec_b32 s0, s5
	s_cbranch_execz .LBB98_156
; %bb.155:
	v_cvt_f32_u32_e32 v3, s7
	s_delay_alu instid0(VALU_DEP_1) | instskip(SKIP_2) | instid1(VALU_DEP_1)
	v_rcp_iflag_f32_e32 v3, v3
	s_waitcnt_depctr 0xfff
	v_mul_f32_e32 v3, 0x4f7ffffe, v3
	v_cvt_u32_f32_e32 v3, v3
	s_delay_alu instid0(VALU_DEP_1) | instskip(NEXT) | instid1(VALU_DEP_1)
	v_mul_lo_u32 v4, s1, v3
	v_mul_hi_u32 v4, v3, v4
	s_delay_alu instid0(VALU_DEP_1) | instskip(NEXT) | instid1(VALU_DEP_1)
	v_add_nc_u32_e32 v3, v3, v4
	v_mul_hi_u32 v3, v12, v3
	s_delay_alu instid0(VALU_DEP_1) | instskip(SKIP_1) | instid1(VALU_DEP_2)
	v_mul_lo_u32 v4, v3, s7
	v_add_nc_u32_e32 v5, 1, v3
	v_sub_nc_u32_e32 v4, v12, v4
	s_delay_alu instid0(VALU_DEP_1) | instskip(SKIP_1) | instid1(VALU_DEP_2)
	v_subrev_nc_u32_e32 v12, s7, v4
	v_cmp_le_u32_e32 vcc_lo, s7, v4
	v_dual_cndmask_b32 v4, v4, v12 :: v_dual_cndmask_b32 v3, v3, v5
	s_delay_alu instid0(VALU_DEP_1) | instskip(NEXT) | instid1(VALU_DEP_2)
	v_cmp_le_u32_e32 vcc_lo, s7, v4
	v_dual_mov_b32 v4, 0 :: v_dual_add_nc_u32 v5, 1, v3
	s_delay_alu instid0(VALU_DEP_1)
	v_cndmask_b32_e32 v3, v3, v5, vcc_lo
.LBB98_156:
	s_or_b32 exec_lo, exec_lo, s0
	v_cmp_gt_i64_e32 vcc_lo, s[22:23], v[10:11]
	v_mov_b32_e32 v10, 0
	v_mov_b32_e32 v11, 0
	s_and_saveexec_b32 s5, vcc_lo
	s_cbranch_execz .LBB98_170
; %bb.157:
	s_add_i32 s0, s7, -1
	v_mov_b32_e32 v10, 0
	v_dual_mov_b32 v11, 0 :: v_dual_and_b32 v12, s0, v0
	s_mov_b32 s6, exec_lo
	v_cmpx_lt_i64_e32 0, v[3:4]
	s_cbranch_execz .LBB98_167
; %bb.158:
	v_dual_mov_b32 v13, 0 :: v_dual_mov_b32 v10, 0
	v_dual_mov_b32 v14, 0 :: v_dual_mov_b32 v11, 0
	s_mov_b32 s8, exec_lo
	v_cmpx_lt_u64_e32 3, v[3:4]
	s_cbranch_execz .LBB98_162
; %bb.159:
	v_dual_mov_b32 v10, 0 :: v_dual_lshlrev_b32 v5, 3, v2
	s_lshl_b32 s0, s7, 3
	s_lshl_b32 s1, s4, 3
	v_dual_mov_b32 v11, 0 :: v_dual_and_b32 v14, 0x7fffffff, v4
	s_sub_i32 s9, s0, s1
	s_lshl_b32 s0, s7, 4
	v_and_b32_e32 v13, -4, v3
	v_lshl_add_u32 v5, v12, 3, v5
	s_sub_i32 s11, s0, s1
	s_mul_i32 s0, s7, 24
	s_lshl_b32 s10, s7, 5
	s_sub_i32 s13, s0, s1
	s_mov_b32 s12, 0
	s_sub_i32 s14, 0, s1
	s_mov_b64 s[0:1], 0
	.p2align	6
.LBB98_160:                             ; =>This Inner Loop Header: Depth=1
	v_add_nc_u32_e32 v15, s14, v5
	v_add_nc_u32_e32 v23, s11, v5
	;; [unrolled: 1-line block ×3, first 2 shown]
	s_add_u32 s0, s0, 4
	s_addc_u32 s1, s1, 0
	ds_load_b64 v[19:20], v15
	v_add_nc_u32_e32 v15, s9, v5
	v_cmp_eq_u64_e32 vcc_lo, s[0:1], v[13:14]
	v_add_nc_u32_e32 v5, s10, v5
	ds_load_b64 v[21:22], v15
	ds_load_b64 v[23:24], v23
	;; [unrolled: 1-line block ×3, first 2 shown]
	s_or_b32 s12, vcc_lo, s12
	s_waitcnt lgkmcnt(3)
	v_add_f64 v[10:11], v[10:11], v[19:20]
	s_waitcnt lgkmcnt(2)
	s_delay_alu instid0(VALU_DEP_1) | instskip(SKIP_1) | instid1(VALU_DEP_1)
	v_add_f64 v[10:11], v[10:11], v[21:22]
	s_waitcnt lgkmcnt(1)
	v_add_f64 v[10:11], v[10:11], v[23:24]
	s_waitcnt lgkmcnt(0)
	s_delay_alu instid0(VALU_DEP_1)
	v_add_f64 v[10:11], v[10:11], v[25:26]
	s_and_not1_b32 exec_lo, exec_lo, s12
	s_cbranch_execnz .LBB98_160
; %bb.161:
	s_or_b32 exec_lo, exec_lo, s12
.LBB98_162:
	s_delay_alu instid0(SALU_CYCLE_1) | instskip(SKIP_2) | instid1(VALU_DEP_1)
	s_or_b32 exec_lo, exec_lo, s8
	v_dual_mov_b32 v15, 0 :: v_dual_and_b32 v14, 3, v3
	s_mov_b32 s0, exec_lo
	v_cmpx_ne_u64_e32 0, v[14:15]
	s_cbranch_execz .LBB98_166
; %bb.163:
	v_mul_lo_u32 v5, s7, v13
	s_mov_b32 s1, 0
	s_delay_alu instid0(VALU_DEP_1) | instskip(NEXT) | instid1(VALU_DEP_1)
	v_add3_u32 v2, v12, v5, v2
	v_subrev_nc_u32_e32 v2, s4, v2
	s_lshl_b32 s4, s7, 3
	s_delay_alu instid0(VALU_DEP_1)
	v_lshlrev_b32_e32 v2, 3, v2
.LBB98_164:                             ; =>This Inner Loop Header: Depth=1
	ds_load_b64 v[19:20], v2
	v_add_co_u32 v14, vcc_lo, v14, -1
	v_add_co_ci_u32_e32 v15, vcc_lo, -1, v15, vcc_lo
	v_add_nc_u32_e32 v2, s4, v2
	s_delay_alu instid0(VALU_DEP_2)
	v_cmp_eq_u64_e32 vcc_lo, 0, v[14:15]
	s_or_b32 s1, vcc_lo, s1
	s_waitcnt lgkmcnt(0)
	v_add_f64 v[10:11], v[10:11], v[19:20]
	s_and_not1_b32 exec_lo, exec_lo, s1
	s_cbranch_execnz .LBB98_164
; %bb.165:
	s_or_b32 exec_lo, exec_lo, s1
.LBB98_166:
	s_delay_alu instid0(SALU_CYCLE_1)
	s_or_b32 exec_lo, exec_lo, s0
.LBB98_167:
	s_delay_alu instid0(SALU_CYCLE_1) | instskip(SKIP_3) | instid1(VALU_DEP_2)
	s_or_b32 exec_lo, exec_lo, s6
	v_mad_u64_u32 v[14:15], null, v3, s7, v[8:9]
	v_mov_b32_e32 v13, 0
	s_mov_b32 s0, exec_lo
	v_mov_b32_e32 v2, v15
	s_delay_alu instid0(VALU_DEP_1) | instskip(NEXT) | instid1(VALU_DEP_4)
	v_mad_u64_u32 v[8:9], null, v4, s7, v[2:3]
	v_sub_co_u32 v2, vcc_lo, v16, v14
	s_delay_alu instid0(VALU_DEP_2) | instskip(NEXT) | instid1(VALU_DEP_1)
	v_mov_b32_e32 v3, v8
	v_sub_co_ci_u32_e32 v3, vcc_lo, v17, v3, vcc_lo
	s_delay_alu instid0(VALU_DEP_1)
	v_cmpx_gt_i64_e64 v[2:3], v[12:13]
	s_cbranch_execz .LBB98_169
; %bb.168:
	v_add_lshl_u32 v2, v12, v14, 3
	ds_load_b64 v[2:3], v2
	s_waitcnt lgkmcnt(0)
	v_add_f64 v[10:11], v[10:11], v[2:3]
.LBB98_169:
	s_or_b32 exec_lo, exec_lo, s0
.LBB98_170:
	s_delay_alu instid0(SALU_CYCLE_1)
	s_or_b32 exec_lo, exec_lo, s5
	v_cmp_gt_i64_e32 vcc_lo, s[22:23], v[0:1]
	s_barrier
	buffer_gl0_inv
	ds_store_b64 v18, v[10:11]
	s_waitcnt lgkmcnt(0)
	s_barrier
	buffer_gl0_inv
	s_and_b32 exec_lo, exec_lo, vcc_lo
	s_cbranch_execz .LBB98_180
; %bb.171:
	v_mul_lo_u32 v1, s7, v0
	v_mov_b32_e32 v4, 0
	v_mov_b32_e32 v5, 0
	s_cmp_lt_u32 s7, 8
	s_cbranch_scc1 .LBB98_174
; %bb.172:
	s_delay_alu instid0(VALU_DEP_3)
	v_lshlrev_b32_e32 v2, 3, v1
	s_and_b32 s0, s7, 0x7ffffff8
	s_mov_b32 s1, 0
	.p2align	6
.LBB98_173:                             ; =>This Inner Loop Header: Depth=1
	ds_load_2addr_b64 v[8:11], v2 offset1:1
	ds_load_2addr_b64 v[12:15], v2 offset0:2 offset1:3
	s_add_i32 s1, s1, 8
	s_delay_alu instid0(SALU_CYCLE_1) | instskip(SKIP_2) | instid1(VALU_DEP_1)
	s_cmp_eq_u32 s0, s1
	s_waitcnt lgkmcnt(1)
	v_add_f64 v[3:4], v[4:5], v[8:9]
	v_add_f64 v[3:4], v[3:4], v[10:11]
	s_waitcnt lgkmcnt(0)
	s_delay_alu instid0(VALU_DEP_1) | instskip(NEXT) | instid1(VALU_DEP_1)
	v_add_f64 v[3:4], v[3:4], v[12:13]
	v_add_f64 v[3:4], v[3:4], v[14:15]
	ds_load_2addr_b64 v[8:11], v2 offset0:4 offset1:5
	ds_load_2addr_b64 v[12:15], v2 offset0:6 offset1:7
	v_add_nc_u32_e32 v2, 64, v2
	s_waitcnt lgkmcnt(1)
	v_add_f64 v[3:4], v[3:4], v[8:9]
	s_delay_alu instid0(VALU_DEP_1) | instskip(SKIP_1) | instid1(VALU_DEP_1)
	v_add_f64 v[3:4], v[3:4], v[10:11]
	s_waitcnt lgkmcnt(0)
	v_add_f64 v[3:4], v[3:4], v[12:13]
	s_delay_alu instid0(VALU_DEP_1)
	v_add_f64 v[4:5], v[3:4], v[14:15]
	s_cbranch_scc0 .LBB98_173
	s_branch .LBB98_175
.LBB98_174:
	s_mov_b32 s0, 0
.LBB98_175:
	s_bfe_u32 s1, s3, 0x30001
	s_delay_alu instid0(SALU_CYCLE_1)
	s_cmp_eq_u32 s1, 0
	s_cbranch_scc1 .LBB98_178
; %bb.176:
	v_add_lshl_u32 v1, s0, v1, 3
.LBB98_177:                             ; =>This Inner Loop Header: Depth=1
	ds_load_b64 v[2:3], v1
	v_add_nc_u32_e32 v1, 8, v1
	s_add_i32 s1, s1, -1
	s_delay_alu instid0(SALU_CYCLE_1)
	s_cmp_lg_u32 s1, 0
	s_waitcnt lgkmcnt(0)
	v_add_f64 v[4:5], v[4:5], v[2:3]
	s_cbranch_scc1 .LBB98_177
.LBB98_178:
	v_lshlrev_b64 v[1:2], 3, v[6:7]
	v_lshlrev_b32_e32 v0, 3, v0
	s_lshl_b32 s0, s2, 3
	s_delay_alu instid0(VALU_DEP_1) | instid1(SALU_CYCLE_1)
	v_add3_u32 v0, 0x2000, s0, v0
	s_delay_alu instid0(VALU_DEP_3) | instskip(NEXT) | instid1(VALU_DEP_4)
	v_add_co_u32 v6, vcc_lo, s20, v1
	v_add_co_ci_u32_e32 v7, vcc_lo, s21, v2, vcc_lo
	ds_load_b64 v[0:1], v0
	s_mov_b32 s0, 0
	global_load_b64 v[2:3], v[6:7], off
	s_waitcnt lgkmcnt(0)
	v_add_f64 v[4:5], v[4:5], v[0:1]
.LBB98_179:                             ; =>This Inner Loop Header: Depth=1
	s_waitcnt vmcnt(0)
	s_delay_alu instid0(VALU_DEP_1)
	v_add_f64 v[0:1], v[2:3], v[4:5]
	global_atomic_cmpswap_b64 v[0:1], v[6:7], v[0:3], off glc
	s_waitcnt vmcnt(0)
	v_cmp_eq_u64_e32 vcc_lo, v[0:1], v[2:3]
	v_dual_mov_b32 v3, v1 :: v_dual_mov_b32 v2, v0
	s_or_b32 s0, vcc_lo, s0
	s_delay_alu instid0(SALU_CYCLE_1)
	s_and_not1_b32 exec_lo, exec_lo, s0
	s_cbranch_execnz .LBB98_179
.LBB98_180:
	s_endpgm
	.section	.rodata,"a",@progbits
	.p2align	6, 0x0
	.amdhsa_kernel _ZN9rocsparseL27csrmvn_symm_adaptive_kernelIllfdddEEvbT_S1_PKS1_NS_24const_host_device_scalarIT4_EES3_PKT0_PKT1_PKT2_S6_PT3_21rocsparse_index_base_b
		.amdhsa_group_segment_fixed_size 8192
		.amdhsa_private_segment_fixed_size 0
		.amdhsa_kernarg_size 352
		.amdhsa_user_sgpr_count 15
		.amdhsa_user_sgpr_dispatch_ptr 0
		.amdhsa_user_sgpr_queue_ptr 0
		.amdhsa_user_sgpr_kernarg_segment_ptr 1
		.amdhsa_user_sgpr_dispatch_id 0
		.amdhsa_user_sgpr_private_segment_size 0
		.amdhsa_wavefront_size32 1
		.amdhsa_uses_dynamic_stack 0
		.amdhsa_enable_private_segment 0
		.amdhsa_system_sgpr_workgroup_id_x 1
		.amdhsa_system_sgpr_workgroup_id_y 0
		.amdhsa_system_sgpr_workgroup_id_z 0
		.amdhsa_system_sgpr_workgroup_info 0
		.amdhsa_system_vgpr_workitem_id 0
		.amdhsa_next_free_vgpr 27
		.amdhsa_next_free_sgpr 41
		.amdhsa_reserve_vcc 1
		.amdhsa_float_round_mode_32 0
		.amdhsa_float_round_mode_16_64 0
		.amdhsa_float_denorm_mode_32 3
		.amdhsa_float_denorm_mode_16_64 3
		.amdhsa_dx10_clamp 1
		.amdhsa_ieee_mode 1
		.amdhsa_fp16_overflow 0
		.amdhsa_workgroup_processor_mode 1
		.amdhsa_memory_ordered 1
		.amdhsa_forward_progress 0
		.amdhsa_shared_vgpr_count 0
		.amdhsa_exception_fp_ieee_invalid_op 0
		.amdhsa_exception_fp_denorm_src 0
		.amdhsa_exception_fp_ieee_div_zero 0
		.amdhsa_exception_fp_ieee_overflow 0
		.amdhsa_exception_fp_ieee_underflow 0
		.amdhsa_exception_fp_ieee_inexact 0
		.amdhsa_exception_int_div_zero 0
	.end_amdhsa_kernel
	.section	.text._ZN9rocsparseL27csrmvn_symm_adaptive_kernelIllfdddEEvbT_S1_PKS1_NS_24const_host_device_scalarIT4_EES3_PKT0_PKT1_PKT2_S6_PT3_21rocsparse_index_base_b,"axG",@progbits,_ZN9rocsparseL27csrmvn_symm_adaptive_kernelIllfdddEEvbT_S1_PKS1_NS_24const_host_device_scalarIT4_EES3_PKT0_PKT1_PKT2_S6_PT3_21rocsparse_index_base_b,comdat
.Lfunc_end98:
	.size	_ZN9rocsparseL27csrmvn_symm_adaptive_kernelIllfdddEEvbT_S1_PKS1_NS_24const_host_device_scalarIT4_EES3_PKT0_PKT1_PKT2_S6_PT3_21rocsparse_index_base_b, .Lfunc_end98-_ZN9rocsparseL27csrmvn_symm_adaptive_kernelIllfdddEEvbT_S1_PKS1_NS_24const_host_device_scalarIT4_EES3_PKT0_PKT1_PKT2_S6_PT3_21rocsparse_index_base_b
                                        ; -- End function
	.section	.AMDGPU.csdata,"",@progbits
; Kernel info:
; codeLenInByte = 10048
; NumSgprs: 43
; NumVgprs: 27
; ScratchSize: 0
; MemoryBound: 0
; FloatMode: 240
; IeeeMode: 1
; LDSByteSize: 8192 bytes/workgroup (compile time only)
; SGPRBlocks: 5
; VGPRBlocks: 3
; NumSGPRsForWavesPerEU: 43
; NumVGPRsForWavesPerEU: 27
; Occupancy: 16
; WaveLimiterHint : 1
; COMPUTE_PGM_RSRC2:SCRATCH_EN: 0
; COMPUTE_PGM_RSRC2:USER_SGPR: 15
; COMPUTE_PGM_RSRC2:TRAP_HANDLER: 0
; COMPUTE_PGM_RSRC2:TGID_X_EN: 1
; COMPUTE_PGM_RSRC2:TGID_Y_EN: 0
; COMPUTE_PGM_RSRC2:TGID_Z_EN: 0
; COMPUTE_PGM_RSRC2:TIDIG_COMP_CNT: 0
	.section	.text._ZL33csrmvn_symm_large_adaptive_kernelIllfdddEvbT_PKS0_N9rocsparse24const_host_device_scalarIT4_EES2_PKT0_PKT1_PKT2_S6_PT3_21rocsparse_index_base_b,"axG",@progbits,_ZL33csrmvn_symm_large_adaptive_kernelIllfdddEvbT_PKS0_N9rocsparse24const_host_device_scalarIT4_EES2_PKT0_PKT1_PKT2_S6_PT3_21rocsparse_index_base_b,comdat
	.globl	_ZL33csrmvn_symm_large_adaptive_kernelIllfdddEvbT_PKS0_N9rocsparse24const_host_device_scalarIT4_EES2_PKT0_PKT1_PKT2_S6_PT3_21rocsparse_index_base_b ; -- Begin function _ZL33csrmvn_symm_large_adaptive_kernelIllfdddEvbT_PKS0_N9rocsparse24const_host_device_scalarIT4_EES2_PKT0_PKT1_PKT2_S6_PT3_21rocsparse_index_base_b
	.p2align	8
	.type	_ZL33csrmvn_symm_large_adaptive_kernelIllfdddEvbT_PKS0_N9rocsparse24const_host_device_scalarIT4_EES2_PKT0_PKT1_PKT2_S6_PT3_21rocsparse_index_base_b,@function
_ZL33csrmvn_symm_large_adaptive_kernelIllfdddEvbT_PKS0_N9rocsparse24const_host_device_scalarIT4_EES2_PKT0_PKT1_PKT2_S6_PT3_21rocsparse_index_base_b: ; @_ZL33csrmvn_symm_large_adaptive_kernelIllfdddEvbT_PKS0_N9rocsparse24const_host_device_scalarIT4_EES2_PKT0_PKT1_PKT2_S6_PT3_21rocsparse_index_base_b
; %bb.0:
	s_clause 0x2
	s_load_b64 s[6:7], s[0:1], 0x50
	s_load_b64 s[8:9], s[0:1], 0x18
	;; [unrolled: 1-line block ×3, first 2 shown]
	s_mov_b32 s4, s15
	s_waitcnt lgkmcnt(0)
	s_bitcmp1_b32 s7, 0
	v_dual_mov_b32 v4, s8 :: v_dual_mov_b32 v5, s9
	s_cselect_b32 s5, -1, 0
	s_delay_alu instid0(SALU_CYCLE_1)
	s_and_b32 vcc_lo, exec_lo, s5
	s_xor_b32 s5, s5, -1
	s_cbranch_vccnz .LBB99_2
; %bb.1:
	v_dual_mov_b32 v1, s8 :: v_dual_mov_b32 v2, s9
	flat_load_b64 v[4:5], v[1:2]
.LBB99_2:
	v_dual_mov_b32 v1, s2 :: v_dual_mov_b32 v2, s3
	s_and_not1_b32 vcc_lo, exec_lo, s5
	s_cbranch_vccnz .LBB99_4
; %bb.3:
	v_dual_mov_b32 v1, s2 :: v_dual_mov_b32 v2, s3
	flat_load_b64 v[1:2], v[1:2]
.LBB99_4:
	s_waitcnt vmcnt(0) lgkmcnt(0)
	v_cmp_neq_f64_e32 vcc_lo, 0, v[4:5]
	v_cmp_neq_f64_e64 s2, 1.0, v[1:2]
	s_delay_alu instid0(VALU_DEP_1) | instskip(NEXT) | instid1(SALU_CYCLE_1)
	s_or_b32 s2, vcc_lo, s2
	s_and_saveexec_b32 s3, s2
	s_cbranch_execz .LBB99_41
; %bb.5:
	s_load_b64 s[8:9], s[0:1], 0x10
	s_mov_b32 s2, 0
	s_ashr_i32 s5, s4, 31
	s_mov_b32 s3, s2
	v_dual_mov_b32 v1, s2 :: v_dual_lshlrev_b32 v10, 3, v0
	v_mov_b32_e32 v2, s3
	s_lshl_b64 s[4:5], s[4:5], 3
	ds_store_2addr_stride64_b64 v10, v[1:2], v[1:2] offset1:4
	ds_store_2addr_stride64_b64 v10, v[1:2], v[1:2] offset0:8 offset1:12
	s_waitcnt lgkmcnt(0)
	s_barrier
	buffer_gl0_inv
	s_add_u32 s4, s8, s4
	s_addc_u32 s5, s9, s5
	s_load_b128 s[16:19], s[4:5], 0x0
	s_clause 0x1
	s_load_b256 s[8:15], s[0:1], 0x20
	s_load_b64 s[20:21], s[0:1], 0x48
	v_sub_co_u32 v11, s1, v0, s6
	s_delay_alu instid0(VALU_DEP_1) | instskip(SKIP_2) | instid1(VALU_DEP_1)
	v_sub_co_ci_u32_e64 v12, null, 0, 0, s1
	s_waitcnt lgkmcnt(0)
	v_cmp_lt_i64_e64 s0, s[16:17], s[18:19]
	s_and_b32 vcc_lo, exec_lo, s0
	s_cbranch_vccnz .LBB99_7
; %bb.6:
	s_lshl_b64 s[0:1], s[16:17], 3
	s_delay_alu instid0(SALU_CYCLE_1)
	s_add_u32 s0, s8, s0
	s_addc_u32 s1, s9, s1
	s_load_b64 s[22:23], s[0:1], 0x0
	s_and_not1_b32 vcc_lo, exec_lo, s2
	s_cbranch_vccz .LBB99_8
	s_branch .LBB99_31
.LBB99_7:
                                        ; implicit-def: $sgpr22_sgpr23
.LBB99_8:
	s_lshl_b64 s[0:1], s[16:17], 3
	v_cmp_gt_u32_e64 s2, 16, v0
	s_add_u32 s0, s8, s0
	s_addc_u32 s1, s9, s1
	v_cmp_gt_u32_e64 s3, 4, v0
	s_waitcnt lgkmcnt(0)
	s_load_b64 s[22:23], s[0:1], 0x0
	v_cmp_gt_u32_e64 s0, 0x100, v0
	v_cmp_gt_u32_e64 s1, 64, v0
	v_cmp_eq_u32_e64 s4, 0, v0
	v_mov_b32_e32 v13, 0
	s_add_u32 s7, s8, 8
	s_addc_u32 s33, s9, 0
	s_mov_b64 s[24:25], s[16:17]
	s_waitcnt lgkmcnt(0)
	s_mov_b64 s[26:27], s[22:23]
	s_branch .LBB99_10
.LBB99_9:                               ;   in Loop: Header=BB99_10 Depth=1
	s_or_b32 exec_lo, exec_lo, s5
	s_add_u32 s24, s24, 1
	s_addc_u32 s25, s25, 0
	s_delay_alu instid0(SALU_CYCLE_1) | instskip(NEXT) | instid1(VALU_DEP_1)
	v_cmp_ge_i64_e64 s5, s[24:25], s[18:19]
	s_and_b32 vcc_lo, exec_lo, s5
	s_cbranch_vccnz .LBB99_31
.LBB99_10:                              ; =>This Loop Header: Depth=1
                                        ;     Child Loop BB99_12 Depth 2
                                        ;     Child Loop BB99_26 Depth 2
	;; [unrolled: 1-line block ×3, first 2 shown]
	s_lshl_b64 s[28:29], s[24:25], 3
	s_mov_b64 s[34:35], s[26:27]
	s_add_u32 s30, s7, s28
	s_addc_u32 s31, s33, s29
	v_add_co_u32 v0, vcc_lo, s34, v11
	s_load_b64 s[26:27], s[30:31], 0x0
	v_mov_b32_e32 v2, 0
	v_add_co_ci_u32_e32 v1, vcc_lo, s35, v12, vcc_lo
	v_mov_b32_e32 v3, 0
	s_mov_b32 s34, exec_lo
	s_waitcnt lgkmcnt(0)
	s_sub_u32 s30, s26, s6
	s_subb_u32 s31, s27, 0
	s_delay_alu instid0(SALU_CYCLE_1)
	v_cmpx_gt_i64_e64 s[30:31], v[0:1]
	s_cbranch_execz .LBB99_14
; %bb.11:                               ;   in Loop: Header=BB99_10 Depth=1
	v_lshlrev_b64 v[6:7], 3, v[0:1]
	v_lshlrev_b64 v[8:9], 2, v[0:1]
	v_mov_b32_e32 v2, 0
	v_mov_b32_e32 v3, 0
	s_mov_b32 s35, 0
	s_delay_alu instid0(VALU_DEP_4)
	v_add_co_u32 v6, vcc_lo, s10, v6
	v_add_co_ci_u32_e32 v7, vcc_lo, s11, v7, vcc_lo
	v_add_co_u32 v8, vcc_lo, s12, v8
	v_add_co_ci_u32_e32 v9, vcc_lo, s13, v9, vcc_lo
	s_set_inst_prefetch_distance 0x1
	.p2align	6
.LBB99_12:                              ;   Parent Loop BB99_10 Depth=1
                                        ; =>  This Inner Loop Header: Depth=2
	global_load_b64 v[14:15], v[6:7], off
	global_load_b32 v16, v[8:9], off
	v_add_co_u32 v8, s5, 0x400, v8
	s_delay_alu instid0(VALU_DEP_1)
	v_add_co_ci_u32_e64 v9, s5, 0, v9, s5
	s_waitcnt vmcnt(1)
	v_sub_co_u32 v14, vcc_lo, v14, s6
	v_subrev_co_ci_u32_e32 v15, vcc_lo, 0, v15, vcc_lo
	s_waitcnt vmcnt(0)
	v_cvt_f64_f32_e32 v[16:17], v16
	s_delay_alu instid0(VALU_DEP_2) | instskip(NEXT) | instid1(VALU_DEP_1)
	v_lshlrev_b64 v[14:15], 3, v[14:15]
	v_add_co_u32 v14, vcc_lo, s14, v14
	s_delay_alu instid0(VALU_DEP_2)
	v_add_co_ci_u32_e32 v15, vcc_lo, s15, v15, vcc_lo
	v_add_co_u32 v0, vcc_lo, 0x100, v0
	v_add_co_ci_u32_e32 v1, vcc_lo, 0, v1, vcc_lo
	global_load_b64 v[14:15], v[14:15], off
	v_add_co_u32 v6, vcc_lo, 0x800, v6
	v_add_co_ci_u32_e32 v7, vcc_lo, 0, v7, vcc_lo
	v_cmp_le_i64_e32 vcc_lo, s[30:31], v[0:1]
	s_or_b32 s35, vcc_lo, s35
	s_waitcnt vmcnt(0)
	v_fma_f64 v[2:3], v[16:17], v[14:15], v[2:3]
	s_and_not1_b32 exec_lo, exec_lo, s35
	s_cbranch_execnz .LBB99_12
; %bb.13:                               ;   in Loop: Header=BB99_10 Depth=1
	s_set_inst_prefetch_distance 0x2
	s_or_b32 exec_lo, exec_lo, s35
.LBB99_14:                              ;   in Loop: Header=BB99_10 Depth=1
	s_delay_alu instid0(SALU_CYCLE_1)
	s_or_b32 exec_lo, exec_lo, s34
	ds_store_b64 v10, v[2:3]
	s_waitcnt lgkmcnt(0)
	s_barrier
	buffer_gl0_inv
	s_and_saveexec_b32 s5, s0
	s_cbranch_execz .LBB99_16
; %bb.15:                               ;   in Loop: Header=BB99_10 Depth=1
	ds_load_2addr_stride64_b64 v[0:3], v10 offset1:4
	ds_load_2addr_stride64_b64 v[6:9], v10 offset0:8 offset1:12
	s_waitcnt lgkmcnt(0)
	v_add_f64 v[2:3], v[2:3], v[6:7]
	s_delay_alu instid0(VALU_DEP_1) | instskip(NEXT) | instid1(VALU_DEP_1)
	v_add_f64 v[2:3], v[2:3], v[8:9]
	v_add_f64 v[0:1], v[0:1], v[2:3]
	ds_store_b64 v10, v[0:1]
.LBB99_16:                              ;   in Loop: Header=BB99_10 Depth=1
	s_or_b32 exec_lo, exec_lo, s5
	s_waitcnt lgkmcnt(0)
	s_barrier
	buffer_gl0_inv
	s_and_saveexec_b32 s5, s1
	s_cbranch_execz .LBB99_18
; %bb.17:                               ;   in Loop: Header=BB99_10 Depth=1
	ds_load_2addr_stride64_b64 v[0:3], v10 offset1:1
	ds_load_2addr_stride64_b64 v[6:9], v10 offset0:2 offset1:3
	s_waitcnt lgkmcnt(0)
	v_add_f64 v[2:3], v[2:3], v[6:7]
	s_delay_alu instid0(VALU_DEP_1) | instskip(NEXT) | instid1(VALU_DEP_1)
	v_add_f64 v[2:3], v[2:3], v[8:9]
	v_add_f64 v[0:1], v[0:1], v[2:3]
	ds_store_b64 v10, v[0:1]
.LBB99_18:                              ;   in Loop: Header=BB99_10 Depth=1
	s_or_b32 exec_lo, exec_lo, s5
	s_waitcnt lgkmcnt(0)
	s_barrier
	buffer_gl0_inv
	s_and_saveexec_b32 s5, s2
	s_cbranch_execz .LBB99_20
; %bb.19:                               ;   in Loop: Header=BB99_10 Depth=1
	ds_load_2addr_b64 v[0:3], v10 offset1:16
	ds_load_2addr_b64 v[6:9], v10 offset0:32 offset1:48
	s_waitcnt lgkmcnt(0)
	v_add_f64 v[2:3], v[2:3], v[6:7]
	s_delay_alu instid0(VALU_DEP_1) | instskip(NEXT) | instid1(VALU_DEP_1)
	v_add_f64 v[2:3], v[2:3], v[8:9]
	v_add_f64 v[0:1], v[0:1], v[2:3]
	ds_store_b64 v10, v[0:1]
.LBB99_20:                              ;   in Loop: Header=BB99_10 Depth=1
	s_or_b32 exec_lo, exec_lo, s5
	s_waitcnt lgkmcnt(0)
	s_barrier
	buffer_gl0_inv
	s_and_saveexec_b32 s5, s3
	s_cbranch_execz .LBB99_22
; %bb.21:                               ;   in Loop: Header=BB99_10 Depth=1
	ds_load_2addr_b64 v[0:3], v10 offset1:4
	ds_load_2addr_b64 v[6:9], v10 offset0:8 offset1:12
	s_waitcnt lgkmcnt(0)
	v_add_f64 v[2:3], v[2:3], v[6:7]
	s_delay_alu instid0(VALU_DEP_1) | instskip(NEXT) | instid1(VALU_DEP_1)
	v_add_f64 v[2:3], v[2:3], v[8:9]
	v_add_f64 v[0:1], v[0:1], v[2:3]
	ds_store_b64 v10, v[0:1]
.LBB99_22:                              ;   in Loop: Header=BB99_10 Depth=1
	s_or_b32 exec_lo, exec_lo, s5
	s_waitcnt lgkmcnt(0)
	s_barrier
	buffer_gl0_inv
	s_and_saveexec_b32 s5, s4
	s_cbranch_execz .LBB99_24
; %bb.23:                               ;   in Loop: Header=BB99_10 Depth=1
	ds_load_2addr_b64 v[0:3], v13 offset0:1 offset1:2
	ds_load_b64 v[6:7], v10
	s_waitcnt lgkmcnt(1)
	v_add_f64 v[0:1], v[0:1], v[2:3]
	ds_load_b64 v[2:3], v13 offset:24
	s_waitcnt lgkmcnt(0)
	v_add_f64 v[0:1], v[0:1], v[2:3]
	s_delay_alu instid0(VALU_DEP_1)
	v_add_f64 v[0:1], v[6:7], v[0:1]
	ds_store_b64 v10, v[0:1]
.LBB99_24:                              ;   in Loop: Header=BB99_10 Depth=1
	s_or_b32 exec_lo, exec_lo, s5
	s_waitcnt lgkmcnt(0)
	s_barrier
	buffer_gl0_inv
	s_and_saveexec_b32 s5, s4
	s_cbranch_execz .LBB99_9
; %bb.25:                               ;   in Loop: Header=BB99_10 Depth=1
	ds_load_b64 v[0:1], v13
	v_mov_b32_e32 v6, 0
	v_bfrev_b32_e32 v7, 1
	s_mov_b32 s30, exec_lo
	s_waitcnt lgkmcnt(0)
	v_mul_f64 v[0:1], v[4:5], v[0:1]
.LBB99_26:                              ;   Parent Loop BB99_10 Depth=1
                                        ; =>  This Inner Loop Header: Depth=2
	s_ctz_i32_b32 s31, s30
	s_delay_alu instid0(VALU_DEP_1) | instid1(SALU_CYCLE_1)
	v_readlane_b32 s35, v1, s31
	s_delay_alu instid0(VALU_DEP_2) | instskip(SKIP_1) | instid1(SALU_CYCLE_1)
	v_readlane_b32 s34, v0, s31
	s_lshl_b32 s31, 1, s31
	s_and_not1_b32 s30, s30, s31
	s_delay_alu instid0(VALU_DEP_1)
	v_add_f64 v[6:7], v[6:7], s[34:35]
	s_cmp_lg_u32 s30, 0
	s_cbranch_scc1 .LBB99_26
; %bb.27:                               ;   in Loop: Header=BB99_10 Depth=1
	v_mbcnt_lo_u32_b32 v0, exec_lo, 0
	s_mov_b32 s30, exec_lo
	s_delay_alu instid0(VALU_DEP_1)
	v_cmpx_eq_u32_e32 0, v0
	s_xor_b32 s30, exec_lo, s30
	s_cbranch_execz .LBB99_9
; %bb.28:                               ;   in Loop: Header=BB99_10 Depth=1
	s_add_u32 s28, s20, s28
	s_addc_u32 s29, s21, s29
	s_mov_b32 s30, 0
	global_load_b64 v[2:3], v13, s[28:29]
.LBB99_29:                              ;   Parent Loop BB99_10 Depth=1
                                        ; =>  This Inner Loop Header: Depth=2
	s_waitcnt vmcnt(0)
	v_add_f64 v[0:1], v[2:3], v[6:7]
	global_atomic_cmpswap_b64 v[0:1], v13, v[0:3], s[28:29] glc
	s_waitcnt vmcnt(0)
	v_cmp_eq_u64_e32 vcc_lo, v[0:1], v[2:3]
	v_dual_mov_b32 v3, v1 :: v_dual_mov_b32 v2, v0
	s_or_b32 s30, vcc_lo, s30
	s_delay_alu instid0(SALU_CYCLE_1)
	s_and_not1_b32 exec_lo, exec_lo, s30
	s_cbranch_execnz .LBB99_29
; %bb.30:                               ;   in Loop: Header=BB99_10 Depth=1
	s_or_b32 exec_lo, exec_lo, s30
	s_branch .LBB99_9
.LBB99_31:
	s_lshl_b64 s[0:1], s[18:19], 3
	s_waitcnt lgkmcnt(0)
	v_add_co_u32 v6, vcc_lo, s22, v11
	s_add_u32 s0, s8, s0
	s_addc_u32 s1, s9, s1
	v_add_co_ci_u32_e32 v7, vcc_lo, s23, v12, vcc_lo
	s_load_b64 s[0:1], s[0:1], 0x0
	s_waitcnt lgkmcnt(0)
	s_sub_u32 s2, s0, s6
	s_subb_u32 s3, s1, 0
	s_delay_alu instid0(SALU_CYCLE_1)
	v_cmp_gt_i64_e32 vcc_lo, s[2:3], v[6:7]
	s_and_b32 exec_lo, exec_lo, vcc_lo
	s_cbranch_execz .LBB99_41
; %bb.32:
	s_add_u32 s4, s18, -1
	s_addc_u32 s5, s19, -1
	s_add_u32 s0, s18, -2
	v_cmp_gt_i64_e64 s7, s[4:5], s[16:17]
	s_addc_u32 s1, s19, -1
	s_delay_alu instid0(SALU_CYCLE_1)
	s_cmp_lg_u64 s[0:1], s[16:17]
	s_cselect_b32 s0, -1, 0
	s_delay_alu instid0(VALU_DEP_1) | instid1(SALU_CYCLE_1)
	s_and_b32 s1, s7, s0
	s_mov_b32 s7, 0
	s_branch .LBB99_34
.LBB99_33:                              ;   in Loop: Header=BB99_34 Depth=1
	s_or_b32 exec_lo, exec_lo, s0
	v_add_co_u32 v6, vcc_lo, 0x100, v6
	v_add_co_ci_u32_e32 v7, vcc_lo, 0, v7, vcc_lo
	s_delay_alu instid0(VALU_DEP_1) | instskip(SKIP_1) | instid1(SALU_CYCLE_1)
	v_cmp_le_i64_e32 vcc_lo, s[2:3], v[6:7]
	s_or_b32 s7, vcc_lo, s7
	s_and_not1_b32 exec_lo, exec_lo, s7
	s_cbranch_execz .LBB99_41
.LBB99_34:                              ; =>This Loop Header: Depth=1
                                        ;     Child Loop BB99_36 Depth 2
                                        ;     Child Loop BB99_40 Depth 2
	v_dual_mov_b32 v0, s16 :: v_dual_mov_b32 v1, s17
	v_dual_mov_b32 v2, s4 :: v_dual_mov_b32 v3, s5
	s_and_not1_b32 vcc_lo, exec_lo, s1
	s_cbranch_vccnz .LBB99_38
; %bb.35:                               ;   in Loop: Header=BB99_34 Depth=1
	v_dual_mov_b32 v0, s16 :: v_dual_mov_b32 v1, s17
	v_dual_mov_b32 v2, s4 :: v_dual_mov_b32 v3, s5
	s_mov_b32 s18, 0
	s_set_inst_prefetch_distance 0x1
	.p2align	6
.LBB99_36:                              ;   Parent Loop BB99_34 Depth=1
                                        ; =>  This Inner Loop Header: Depth=2
	s_delay_alu instid0(VALU_DEP_1) | instskip(NEXT) | instid1(VALU_DEP_2)
	v_add_co_u32 v8, vcc_lo, v2, v0
	v_add_co_ci_u32_e32 v9, vcc_lo, v3, v1, vcc_lo
	s_delay_alu instid0(VALU_DEP_1) | instskip(NEXT) | instid1(VALU_DEP_1)
	v_lshrrev_b32_e32 v10, 31, v9
	v_add_co_u32 v8, vcc_lo, v8, v10
	v_add_co_ci_u32_e32 v9, vcc_lo, 0, v9, vcc_lo
	s_delay_alu instid0(VALU_DEP_1) | instskip(NEXT) | instid1(VALU_DEP_1)
	v_ashrrev_i64 v[8:9], 1, v[8:9]
	v_lshlrev_b64 v[10:11], 3, v[8:9]
	s_delay_alu instid0(VALU_DEP_1) | instskip(NEXT) | instid1(VALU_DEP_2)
	v_add_co_u32 v10, vcc_lo, s8, v10
	v_add_co_ci_u32_e32 v11, vcc_lo, s9, v11, vcc_lo
	global_load_b64 v[10:11], v[10:11], off
	s_waitcnt vmcnt(0)
	v_sub_co_u32 v10, vcc_lo, v10, s6
	v_subrev_co_ci_u32_e32 v11, vcc_lo, 0, v11, vcc_lo
	s_delay_alu instid0(VALU_DEP_1) | instskip(SKIP_2) | instid1(VALU_DEP_2)
	v_cmp_gt_i64_e32 vcc_lo, v[10:11], v[6:7]
	v_dual_cndmask_b32 v3, v3, v9 :: v_dual_cndmask_b32 v2, v2, v8
	v_dual_cndmask_b32 v1, v9, v1 :: v_dual_cndmask_b32 v0, v8, v0
	v_add_co_u32 v8, vcc_lo, v2, -1
	s_delay_alu instid0(VALU_DEP_3) | instskip(NEXT) | instid1(VALU_DEP_3)
	v_add_co_ci_u32_e32 v9, vcc_lo, -1, v3, vcc_lo
	v_cmp_ge_i64_e32 vcc_lo, v[0:1], v[2:3]
	s_delay_alu instid0(VALU_DEP_2) | instskip(NEXT) | instid1(VALU_DEP_1)
	v_cmp_eq_u64_e64 s0, v[0:1], v[8:9]
	s_or_b32 s0, vcc_lo, s0
	s_delay_alu instid0(SALU_CYCLE_1) | instskip(NEXT) | instid1(SALU_CYCLE_1)
	s_and_b32 s0, exec_lo, s0
	s_or_b32 s18, s0, s18
	s_delay_alu instid0(SALU_CYCLE_1)
	s_and_not1_b32 exec_lo, exec_lo, s18
	s_cbranch_execnz .LBB99_36
; %bb.37:                               ;   in Loop: Header=BB99_34 Depth=1
	s_set_inst_prefetch_distance 0x2
	s_or_b32 exec_lo, exec_lo, s18
.LBB99_38:                              ;   in Loop: Header=BB99_34 Depth=1
	s_delay_alu instid0(VALU_DEP_1) | instskip(SKIP_2) | instid1(VALU_DEP_2)
	v_lshlrev_b64 v[8:9], 3, v[2:3]
	v_lshlrev_b64 v[10:11], 3, v[6:7]
	s_mov_b32 s0, exec_lo
	v_add_co_u32 v8, vcc_lo, s8, v8
	s_delay_alu instid0(VALU_DEP_3) | instskip(NEXT) | instid1(VALU_DEP_3)
	v_add_co_ci_u32_e32 v9, vcc_lo, s9, v9, vcc_lo
	v_add_co_u32 v10, vcc_lo, s10, v10
	s_delay_alu instid0(VALU_DEP_4)
	v_add_co_ci_u32_e32 v11, vcc_lo, s11, v11, vcc_lo
	global_load_b64 v[8:9], v[8:9], off
	global_load_b64 v[10:11], v[10:11], off
	s_waitcnt vmcnt(1)
	v_sub_co_u32 v8, vcc_lo, v8, s6
	v_subrev_co_ci_u32_e32 v9, vcc_lo, 0, v9, vcc_lo
	s_delay_alu instid0(VALU_DEP_1) | instskip(SKIP_4) | instid1(VALU_DEP_1)
	v_cmp_gt_i64_e32 vcc_lo, v[8:9], v[6:7]
	v_dual_cndmask_b32 v3, v3, v1 :: v_dual_cndmask_b32 v2, v2, v0
	s_waitcnt vmcnt(0)
	v_sub_co_u32 v0, vcc_lo, v10, s6
	v_subrev_co_ci_u32_e32 v1, vcc_lo, 0, v11, vcc_lo
	v_cmpx_ne_u64_e64 v[0:1], v[2:3]
	s_cbranch_execz .LBB99_33
; %bb.39:                               ;   in Loop: Header=BB99_34 Depth=1
	v_lshlrev_b64 v[8:9], 2, v[6:7]
	v_lshlrev_b64 v[2:3], 3, v[2:3]
	;; [unrolled: 1-line block ×3, first 2 shown]
	s_mov_b32 s18, 0
	s_delay_alu instid0(VALU_DEP_3) | instskip(NEXT) | instid1(VALU_DEP_4)
	v_add_co_u32 v8, vcc_lo, s12, v8
	v_add_co_ci_u32_e32 v9, vcc_lo, s13, v9, vcc_lo
	s_delay_alu instid0(VALU_DEP_4)
	v_add_co_u32 v2, vcc_lo, s14, v2
	v_add_co_ci_u32_e32 v3, vcc_lo, s15, v3, vcc_lo
	global_load_b32 v12, v[8:9], off
	v_add_co_u32 v8, vcc_lo, s20, v0
	global_load_b64 v[10:11], v[2:3], off
	v_add_co_ci_u32_e32 v9, vcc_lo, s21, v1, vcc_lo
	global_load_b64 v[2:3], v[8:9], off
	s_waitcnt vmcnt(2)
	v_cvt_f64_f32_e32 v[0:1], v12
	s_delay_alu instid0(VALU_DEP_1) | instskip(SKIP_1) | instid1(VALU_DEP_1)
	v_mul_f64 v[0:1], v[4:5], v[0:1]
	s_waitcnt vmcnt(1)
	v_mul_f64 v[10:11], v[10:11], v[0:1]
.LBB99_40:                              ;   Parent Loop BB99_34 Depth=1
                                        ; =>  This Inner Loop Header: Depth=2
	s_waitcnt vmcnt(0)
	s_delay_alu instid0(VALU_DEP_1)
	v_add_f64 v[0:1], v[2:3], v[10:11]
	global_atomic_cmpswap_b64 v[0:1], v[8:9], v[0:3], off glc
	s_waitcnt vmcnt(0)
	v_cmp_eq_u64_e32 vcc_lo, v[0:1], v[2:3]
	v_dual_mov_b32 v3, v1 :: v_dual_mov_b32 v2, v0
	s_or_b32 s18, vcc_lo, s18
	s_delay_alu instid0(SALU_CYCLE_1)
	s_and_not1_b32 exec_lo, exec_lo, s18
	s_cbranch_execnz .LBB99_40
	s_branch .LBB99_33
.LBB99_41:
	s_endpgm
	.section	.rodata,"a",@progbits
	.p2align	6, 0x0
	.amdhsa_kernel _ZL33csrmvn_symm_large_adaptive_kernelIllfdddEvbT_PKS0_N9rocsparse24const_host_device_scalarIT4_EES2_PKT0_PKT1_PKT2_S6_PT3_21rocsparse_index_base_b
		.amdhsa_group_segment_fixed_size 8192
		.amdhsa_private_segment_fixed_size 0
		.amdhsa_kernarg_size 88
		.amdhsa_user_sgpr_count 15
		.amdhsa_user_sgpr_dispatch_ptr 0
		.amdhsa_user_sgpr_queue_ptr 0
		.amdhsa_user_sgpr_kernarg_segment_ptr 1
		.amdhsa_user_sgpr_dispatch_id 0
		.amdhsa_user_sgpr_private_segment_size 0
		.amdhsa_wavefront_size32 1
		.amdhsa_uses_dynamic_stack 0
		.amdhsa_enable_private_segment 0
		.amdhsa_system_sgpr_workgroup_id_x 1
		.amdhsa_system_sgpr_workgroup_id_y 0
		.amdhsa_system_sgpr_workgroup_id_z 0
		.amdhsa_system_sgpr_workgroup_info 0
		.amdhsa_system_vgpr_workitem_id 0
		.amdhsa_next_free_vgpr 18
		.amdhsa_next_free_sgpr 36
		.amdhsa_reserve_vcc 1
		.amdhsa_float_round_mode_32 0
		.amdhsa_float_round_mode_16_64 0
		.amdhsa_float_denorm_mode_32 3
		.amdhsa_float_denorm_mode_16_64 3
		.amdhsa_dx10_clamp 1
		.amdhsa_ieee_mode 1
		.amdhsa_fp16_overflow 0
		.amdhsa_workgroup_processor_mode 1
		.amdhsa_memory_ordered 1
		.amdhsa_forward_progress 0
		.amdhsa_shared_vgpr_count 0
		.amdhsa_exception_fp_ieee_invalid_op 0
		.amdhsa_exception_fp_denorm_src 0
		.amdhsa_exception_fp_ieee_div_zero 0
		.amdhsa_exception_fp_ieee_overflow 0
		.amdhsa_exception_fp_ieee_underflow 0
		.amdhsa_exception_fp_ieee_inexact 0
		.amdhsa_exception_int_div_zero 0
	.end_amdhsa_kernel
	.section	.text._ZL33csrmvn_symm_large_adaptive_kernelIllfdddEvbT_PKS0_N9rocsparse24const_host_device_scalarIT4_EES2_PKT0_PKT1_PKT2_S6_PT3_21rocsparse_index_base_b,"axG",@progbits,_ZL33csrmvn_symm_large_adaptive_kernelIllfdddEvbT_PKS0_N9rocsparse24const_host_device_scalarIT4_EES2_PKT0_PKT1_PKT2_S6_PT3_21rocsparse_index_base_b,comdat
.Lfunc_end99:
	.size	_ZL33csrmvn_symm_large_adaptive_kernelIllfdddEvbT_PKS0_N9rocsparse24const_host_device_scalarIT4_EES2_PKT0_PKT1_PKT2_S6_PT3_21rocsparse_index_base_b, .Lfunc_end99-_ZL33csrmvn_symm_large_adaptive_kernelIllfdddEvbT_PKS0_N9rocsparse24const_host_device_scalarIT4_EES2_PKT0_PKT1_PKT2_S6_PT3_21rocsparse_index_base_b
                                        ; -- End function
	.section	.AMDGPU.csdata,"",@progbits
; Kernel info:
; codeLenInByte = 2144
; NumSgprs: 38
; NumVgprs: 18
; ScratchSize: 0
; MemoryBound: 0
; FloatMode: 240
; IeeeMode: 1
; LDSByteSize: 8192 bytes/workgroup (compile time only)
; SGPRBlocks: 4
; VGPRBlocks: 2
; NumSGPRsForWavesPerEU: 38
; NumVGPRsForWavesPerEU: 18
; Occupancy: 16
; WaveLimiterHint : 1
; COMPUTE_PGM_RSRC2:SCRATCH_EN: 0
; COMPUTE_PGM_RSRC2:USER_SGPR: 15
; COMPUTE_PGM_RSRC2:TRAP_HANDLER: 0
; COMPUTE_PGM_RSRC2:TGID_X_EN: 1
; COMPUTE_PGM_RSRC2:TGID_Y_EN: 0
; COMPUTE_PGM_RSRC2:TGID_Z_EN: 0
; COMPUTE_PGM_RSRC2:TIDIG_COMP_CNT: 0
	.section	.text._ZN9rocsparseL22csrmvn_adaptive_kernelIiid21rocsparse_complex_numIdES2_S2_EEvbT_PKS3_PjPKT0_NS_24const_host_device_scalarIT4_EES5_S9_PKT1_PKT2_SC_PT3_21rocsparse_index_base_b,"axG",@progbits,_ZN9rocsparseL22csrmvn_adaptive_kernelIiid21rocsparse_complex_numIdES2_S2_EEvbT_PKS3_PjPKT0_NS_24const_host_device_scalarIT4_EES5_S9_PKT1_PKT2_SC_PT3_21rocsparse_index_base_b,comdat
	.globl	_ZN9rocsparseL22csrmvn_adaptive_kernelIiid21rocsparse_complex_numIdES2_S2_EEvbT_PKS3_PjPKT0_NS_24const_host_device_scalarIT4_EES5_S9_PKT1_PKT2_SC_PT3_21rocsparse_index_base_b ; -- Begin function _ZN9rocsparseL22csrmvn_adaptive_kernelIiid21rocsparse_complex_numIdES2_S2_EEvbT_PKS3_PjPKT0_NS_24const_host_device_scalarIT4_EES5_S9_PKT1_PKT2_SC_PT3_21rocsparse_index_base_b
	.p2align	8
	.type	_ZN9rocsparseL22csrmvn_adaptive_kernelIiid21rocsparse_complex_numIdES2_S2_EEvbT_PKS3_PjPKT0_NS_24const_host_device_scalarIT4_EES5_S9_PKT1_PKT2_SC_PT3_21rocsparse_index_base_b,@function
_ZN9rocsparseL22csrmvn_adaptive_kernelIiid21rocsparse_complex_numIdES2_S2_EEvbT_PKS3_PjPKT0_NS_24const_host_device_scalarIT4_EES5_S9_PKT1_PKT2_SC_PT3_21rocsparse_index_base_b: ; @_ZN9rocsparseL22csrmvn_adaptive_kernelIiid21rocsparse_complex_numIdES2_S2_EEvbT_PKS3_PjPKT0_NS_24const_host_device_scalarIT4_EES5_S9_PKT1_PKT2_SC_PT3_21rocsparse_index_base_b
; %bb.0:
	s_clause 0x2
	s_load_b64 s[26:27], s[0:1], 0x68
	s_load_b128 s[8:11], s[0:1], 0x20
	s_load_b128 s[4:7], s[0:1], 0x50
	s_mov_b64 s[2:3], src_private_base
	v_mov_b32_e32 v1, 0
	s_mov_b32 s30, s15
	s_waitcnt lgkmcnt(0)
	s_bitcmp1_b32 s27, 0
	v_dual_mov_b32 v3, s8 :: v_dual_mov_b32 v6, s5
	s_cselect_b32 s2, -1, 0
	v_mov_b32_e32 v4, s9
	s_and_b32 vcc_lo, s2, exec_lo
	s_cselect_b32 s12, s3, s9
	v_cndmask_b32_e64 v1, s8, v1, s2
	v_dual_mov_b32 v5, s4 :: v_dual_mov_b32 v2, s12
	s_clause 0x1
	scratch_store_b64 off, v[3:4], off
	scratch_store_b64 off, v[5:6], off offset:8
	v_dual_mov_b32 v16, s11 :: v_dual_mov_b32 v15, s10
	flat_load_b64 v[13:14], v[1:2]
	s_xor_b32 s10, s2, -1
	s_cbranch_vccnz .LBB100_2
; %bb.1:
	v_dual_mov_b32 v1, s8 :: v_dual_mov_b32 v2, s9
	flat_load_b64 v[15:16], v[1:2] offset:8
.LBB100_2:
	s_and_b32 s8, s2, exec_lo
	s_cselect_b32 s3, s3, s5
	s_delay_alu instid0(SALU_CYCLE_1) | instskip(SKIP_2) | instid1(VALU_DEP_2)
	v_dual_mov_b32 v1, 8 :: v_dual_mov_b32 v2, s3
	v_dual_mov_b32 v12, s7 :: v_dual_mov_b32 v11, s6
	s_and_not1_b32 vcc_lo, exec_lo, s10
	v_cndmask_b32_e64 v1, s4, v1, s2
	flat_load_b64 v[9:10], v[1:2]
	s_cbranch_vccnz .LBB100_4
; %bb.3:
	v_dual_mov_b32 v1, s4 :: v_dual_mov_b32 v2, s5
	flat_load_b64 v[11:12], v[1:2] offset:8
.LBB100_4:
	s_waitcnt vmcnt(1) lgkmcnt(1)
	v_cmp_eq_f64_e32 vcc_lo, 0, v[13:14]
	v_cmp_eq_f64_e64 s2, 0, v[15:16]
	s_delay_alu instid0(VALU_DEP_1)
	s_and_b32 s4, vcc_lo, s2
	s_mov_b32 s2, -1
	s_and_saveexec_b32 s3, s4
	s_cbranch_execz .LBB100_6
; %bb.5:
	s_waitcnt vmcnt(0) lgkmcnt(0)
	v_cmp_neq_f64_e32 vcc_lo, 1.0, v[9:10]
	v_cmp_neq_f64_e64 s2, 0, v[11:12]
	s_delay_alu instid0(VALU_DEP_1) | instskip(NEXT) | instid1(SALU_CYCLE_1)
	s_or_b32 s2, vcc_lo, s2
	s_or_not1_b32 s2, s2, exec_lo
.LBB100_6:
	s_or_b32 exec_lo, exec_lo, s3
	s_and_saveexec_b32 s3, s2
	s_cbranch_execz .LBB100_121
; %bb.7:
	s_clause 0x2
	s_load_b64 s[2:3], s[0:1], 0x8
	s_load_b64 s[4:5], s[0:1], 0x18
	;; [unrolled: 1-line block ×3, first 2 shown]
	s_ashr_i32 s31, s30, 31
	s_delay_alu instid0(SALU_CYCLE_1)
	s_lshl_b64 s[34:35], s[30:31], 2
	s_waitcnt lgkmcnt(0)
	s_add_u32 s2, s2, s34
	s_addc_u32 s3, s3, s35
	s_load_b64 s[22:23], s[2:3], 0x0
	s_load_b256 s[12:19], s[0:1], 0x30
	s_mov_b32 s3, -1
	s_waitcnt lgkmcnt(0)
	s_sub_i32 s2, s23, s22
	s_add_u32 s4, s4, s34
	s_addc_u32 s5, s5, s35
	s_ashr_i32 s29, s22, 31
	s_mov_b32 s28, s22
	s_delay_alu instid0(SALU_CYCLE_1) | instskip(NEXT) | instid1(SALU_CYCLE_1)
	s_lshl_b64 s[6:7], s[28:29], 2
	s_add_u32 s24, s12, s6
	s_addc_u32 s25, s13, s7
	s_load_b32 s11, s[4:5], 0x0
	s_load_b32 s27, s[24:25], 0x0
	s_cmp_lt_i32 s2, 2
	s_cbranch_scc0 .LBB100_77
; %bb.8:
	s_cmp_lg_u32 s2, 1
	s_cselect_b32 s2, -1, 0
	s_waitcnt lgkmcnt(0)
	s_cmp_lg_u32 s11, 0
	s_cselect_b32 s3, -1, 0
	s_delay_alu instid0(SALU_CYCLE_1) | instskip(NEXT) | instid1(SALU_CYCLE_1)
	s_or_b32 s2, s2, s3
	s_and_b32 vcc_lo, exec_lo, s2
	s_mov_b32 s2, -1
	s_cbranch_vccnz .LBB100_37
; %bb.9:
	s_cmp_le_i32 s23, s22
	s_cbranch_scc1 .LBB100_36
; %bb.10:
	s_waitcnt vmcnt(0)
	v_cmp_neq_f64_e64 s9, 0, v[9:10]
	v_cmp_neq_f64_e64 s10, 0, v[11:12]
	v_mul_f64 v[5:6], 0x80000000, v[15:16]
	v_mul_f64 v[7:8], v[13:14], 0
	v_subrev_nc_u32_e32 v22, s26, v0
	v_dual_mov_b32 v24, 0 :: v_dual_lshlrev_b32 v23, 4, v0
	v_cmp_gt_u32_e32 vcc_lo, 0x80, v0
	v_cmp_gt_u32_e64 s2, 64, v0
	v_cmp_gt_u32_e64 s3, 32, v0
	;; [unrolled: 1-line block ×6, first 2 shown]
	v_cmp_eq_u32_e64 s8, 0, v0
	s_mov_b32 s39, s27
	s_mov_b32 s36, s22
	s_or_b32 s31, s9, s10
	s_add_u32 s33, s12, 4
	s_addc_u32 s38, s13, 0
	s_branch .LBB100_13
.LBB100_11:                             ;   in Loop: Header=BB100_13 Depth=1
	s_or_b32 exec_lo, exec_lo, s10
	s_lshl_b64 s[40:41], s[36:37], 4
	s_delay_alu instid0(SALU_CYCLE_1)
	s_add_u32 s40, s20, s40
	s_addc_u32 s41, s21, s41
	s_waitcnt lgkmcnt(0)
	global_store_b128 v24, v[1:4], s[40:41]
.LBB100_12:                             ;   in Loop: Header=BB100_13 Depth=1
	s_or_b32 exec_lo, exec_lo, s9
	s_add_i32 s36, s36, 1
	s_delay_alu instid0(SALU_CYCLE_1)
	s_cmp_ge_i32 s36, s23
	s_cbranch_scc1 .LBB100_36
.LBB100_13:                             ; =>This Loop Header: Depth=1
                                        ;     Child Loop BB100_15 Depth 2
	s_ashr_i32 s37, s36, 31
	s_mov_b32 s9, s39
	s_lshl_b64 s[40:41], s[36:37], 2
	v_mov_b32_e32 v3, 0
	s_add_u32 s40, s33, s40
	s_addc_u32 s41, s38, s41
	v_dual_mov_b32 v4, 0 :: v_dual_add_nc_u32 v17, s9, v22
	s_load_b32 s39, s[40:41], 0x0
	v_mov_b32_e32 v1, v3
	s_mov_b32 s40, exec_lo
	s_delay_alu instid0(VALU_DEP_2) | instskip(SKIP_2) | instid1(SALU_CYCLE_1)
	v_mov_b32_e32 v2, v4
	s_waitcnt lgkmcnt(0)
	s_sub_i32 s41, s39, s26
	v_cmpx_gt_i32_e64 s41, v17
	s_cbranch_execz .LBB100_17
; %bb.14:                               ;   in Loop: Header=BB100_13 Depth=1
	v_ashrrev_i32_e32 v18, 31, v17
	v_mov_b32_e32 v3, 0
	v_mov_b32_e32 v4, 0
	s_mov_b32 s42, 0
	s_delay_alu instid0(VALU_DEP_3) | instskip(SKIP_1) | instid1(VALU_DEP_2)
	v_lshlrev_b64 v[1:2], 3, v[17:18]
	v_lshlrev_b64 v[20:21], 2, v[17:18]
	v_add_co_u32 v18, s9, s16, v1
	s_delay_alu instid0(VALU_DEP_1) | instskip(NEXT) | instid1(VALU_DEP_3)
	v_add_co_ci_u32_e64 v19, s9, s17, v2, s9
	v_add_co_u32 v20, s9, s14, v20
	s_delay_alu instid0(VALU_DEP_1)
	v_add_co_ci_u32_e64 v21, s9, s15, v21, s9
	v_dual_mov_b32 v1, v3 :: v_dual_mov_b32 v2, v4
	s_set_inst_prefetch_distance 0x1
	.p2align	6
.LBB100_15:                             ;   Parent Loop BB100_13 Depth=1
                                        ; =>  This Inner Loop Header: Depth=2
	global_load_b32 v25, v[20:21], off
	global_load_b64 v[29:30], v[18:19], off
	v_add_nc_u32_e32 v17, 0x100, v17
	v_add_co_u32 v20, s10, 0x400, v20
	s_delay_alu instid0(VALU_DEP_1)
	v_add_co_ci_u32_e64 v21, s10, 0, v21, s10
	s_waitcnt vmcnt(1)
	v_subrev_nc_u32_e32 v25, s26, v25
	s_waitcnt vmcnt(0)
	v_fma_f64 v[31:32], v[13:14], v[29:30], v[5:6]
	v_fma_f64 v[29:30], v[15:16], v[29:30], v[7:8]
	s_delay_alu instid0(VALU_DEP_3) | instskip(NEXT) | instid1(VALU_DEP_1)
	v_ashrrev_i32_e32 v26, 31, v25
	v_lshlrev_b64 v[25:26], 4, v[25:26]
	s_delay_alu instid0(VALU_DEP_1) | instskip(NEXT) | instid1(VALU_DEP_1)
	v_add_co_u32 v25, s9, s18, v25
	v_add_co_ci_u32_e64 v26, s9, s19, v26, s9
	v_add_co_u32 v18, s9, 0x800, v18
	s_delay_alu instid0(VALU_DEP_1) | instskip(SKIP_2) | instid1(VALU_DEP_1)
	v_add_co_ci_u32_e64 v19, s9, 0, v19, s9
	global_load_b128 v[25:28], v[25:26], off
	v_cmp_le_i32_e64 s9, s41, v17
	s_or_b32 s42, s9, s42
	s_waitcnt vmcnt(0)
	v_fma_f64 v[1:2], v[31:32], v[25:26], v[1:2]
	v_fma_f64 v[3:4], v[29:30], v[25:26], v[3:4]
	s_delay_alu instid0(VALU_DEP_2) | instskip(NEXT) | instid1(VALU_DEP_2)
	v_fma_f64 v[1:2], -v[29:30], v[27:28], v[1:2]
	v_fma_f64 v[3:4], v[31:32], v[27:28], v[3:4]
	s_and_not1_b32 exec_lo, exec_lo, s42
	s_cbranch_execnz .LBB100_15
; %bb.16:                               ;   in Loop: Header=BB100_13 Depth=1
	s_set_inst_prefetch_distance 0x2
	s_or_b32 exec_lo, exec_lo, s42
.LBB100_17:                             ;   in Loop: Header=BB100_13 Depth=1
	s_delay_alu instid0(SALU_CYCLE_1)
	s_or_b32 exec_lo, exec_lo, s40
	ds_store_b128 v23, v[1:4]
	s_waitcnt lgkmcnt(0)
	s_waitcnt_vscnt null, 0x0
	s_barrier
	buffer_gl0_inv
	s_and_saveexec_b32 s9, vcc_lo
	s_cbranch_execz .LBB100_19
; %bb.18:                               ;   in Loop: Header=BB100_13 Depth=1
	ds_load_b128 v[1:4], v23 offset:2048
	ds_load_b128 v[17:20], v23
	s_waitcnt lgkmcnt(0)
	v_add_f64 v[1:2], v[1:2], v[17:18]
	v_add_f64 v[3:4], v[3:4], v[19:20]
	ds_store_b128 v23, v[1:4]
.LBB100_19:                             ;   in Loop: Header=BB100_13 Depth=1
	s_or_b32 exec_lo, exec_lo, s9
	s_waitcnt lgkmcnt(0)
	s_barrier
	buffer_gl0_inv
	s_and_saveexec_b32 s9, s2
	s_cbranch_execz .LBB100_21
; %bb.20:                               ;   in Loop: Header=BB100_13 Depth=1
	ds_load_b128 v[1:4], v23 offset:1024
	ds_load_b128 v[17:20], v23
	s_waitcnt lgkmcnt(0)
	v_add_f64 v[1:2], v[1:2], v[17:18]
	v_add_f64 v[3:4], v[3:4], v[19:20]
	ds_store_b128 v23, v[1:4]
.LBB100_21:                             ;   in Loop: Header=BB100_13 Depth=1
	s_or_b32 exec_lo, exec_lo, s9
	s_waitcnt lgkmcnt(0)
	s_barrier
	buffer_gl0_inv
	s_and_saveexec_b32 s9, s3
	;; [unrolled: 14-line block ×6, first 2 shown]
	s_cbranch_execz .LBB100_31
; %bb.30:                               ;   in Loop: Header=BB100_13 Depth=1
	ds_load_b128 v[1:4], v23
	ds_load_b128 v[17:20], v23 offset:32
	s_waitcnt lgkmcnt(0)
	v_add_f64 v[1:2], v[17:18], v[1:2]
	v_add_f64 v[3:4], v[19:20], v[3:4]
	ds_store_b128 v23, v[1:4]
.LBB100_31:                             ;   in Loop: Header=BB100_13 Depth=1
	s_or_b32 exec_lo, exec_lo, s9
	s_waitcnt lgkmcnt(0)
	s_barrier
	buffer_gl0_inv
	s_and_saveexec_b32 s9, s8
	s_cbranch_execz .LBB100_33
; %bb.32:                               ;   in Loop: Header=BB100_13 Depth=1
	ds_load_b128 v[1:4], v24
	ds_load_b128 v[17:20], v24 offset:16
	s_waitcnt lgkmcnt(0)
	v_add_f64 v[1:2], v[17:18], v[1:2]
	v_add_f64 v[3:4], v[19:20], v[3:4]
	ds_store_b128 v24, v[1:4]
.LBB100_33:                             ;   in Loop: Header=BB100_13 Depth=1
	s_or_b32 exec_lo, exec_lo, s9
	s_waitcnt lgkmcnt(0)
	s_barrier
	buffer_gl0_inv
	s_and_saveexec_b32 s9, s8
	s_cbranch_execz .LBB100_12
; %bb.34:                               ;   in Loop: Header=BB100_13 Depth=1
	ds_load_b128 v[1:4], v24
	s_and_saveexec_b32 s10, s31
	s_cbranch_execz .LBB100_11
; %bb.35:                               ;   in Loop: Header=BB100_13 Depth=1
	s_lshl_b64 s[40:41], s[36:37], 4
	s_delay_alu instid0(SALU_CYCLE_1)
	s_add_u32 s40, s20, s40
	s_addc_u32 s41, s21, s41
	global_load_b128 v[17:20], v24, s[40:41]
	s_waitcnt vmcnt(0) lgkmcnt(0)
	v_fma_f64 v[1:2], v[9:10], v[17:18], v[1:2]
	v_fma_f64 v[3:4], v[11:12], v[17:18], v[3:4]
	s_delay_alu instid0(VALU_DEP_2) | instskip(NEXT) | instid1(VALU_DEP_2)
	v_fma_f64 v[1:2], -v[11:12], v[19:20], v[1:2]
	v_fma_f64 v[3:4], v[9:10], v[19:20], v[3:4]
	s_branch .LBB100_11
.LBB100_36:
	s_mov_b32 s2, 0
.LBB100_37:
	s_delay_alu instid0(SALU_CYCLE_1)
	s_and_not1_b32 vcc_lo, exec_lo, s2
	s_cbranch_vccnz .LBB100_76
; %bb.38:
	s_load_b64 s[6:7], s[0:1], 0x10
	s_sub_i32 s8, s30, s11
	v_mov_b32_e32 v1, 0
	v_or_b32_e32 v3, s11, v0
	v_mov_b32_e32 v2, 0
	s_delay_alu instid0(VALU_DEP_2) | instskip(NEXT) | instid1(VALU_DEP_2)
	v_cmp_eq_u32_e32 vcc_lo, 0, v3
	v_dual_mov_b32 v4, v2 :: v_dual_mov_b32 v3, v1
	s_waitcnt lgkmcnt(0)
	s_add_u32 s4, s6, s34
	s_addc_u32 s5, s7, s35
	s_load_b32 s10, s[4:5], 0x0
	s_and_saveexec_b32 s2, vcc_lo
	s_cbranch_execz .LBB100_42
; %bb.39:
	s_lshl_b64 s[30:31], s[28:29], 4
	v_mov_b32_e32 v17, 0
	s_add_u32 s30, s20, s30
	s_addc_u32 s31, s21, s31
	s_waitcnt vmcnt(0)
	v_add_f64 v[1:2], v[9:10], -1.0
	s_mov_b32 s3, exec_lo
	global_load_b128 v[3:6], v17, s[30:31]
	v_mbcnt_lo_u32_b32 v18, s3, 0
	s_mov_b32 s30, exec_lo
	s_waitcnt vmcnt(0) expcnt(0) lgkmcnt(0)
	s_waitcnt_vscnt null, 0x0
	v_mul_f64 v[7:8], v[5:6], -v[11:12]
	v_mul_f64 v[5:6], v[1:2], v[5:6]
	v_cmpx_eq_u32_e32 0, v18
	s_cbranch_execz .LBB100_41
; %bb.40:
	s_ashr_i32 s9, s8, 31
	s_delay_alu instid0(SALU_CYCLE_1) | instskip(NEXT) | instid1(SALU_CYCLE_1)
	s_lshl_b64 s[34:35], s[8:9], 2
	s_add_u32 s34, s6, s34
	s_addc_u32 s35, s7, s35
	s_bcnt1_i32_b32 s3, s3
	s_delay_alu instid0(SALU_CYCLE_1) | instskip(NEXT) | instid1(SALU_CYCLE_1)
	s_and_b32 s3, s3, 1
	v_mov_b32_e32 v18, s3
	global_atomic_xor_b32 v17, v18, s[34:35]
.LBB100_41:
	s_or_b32 exec_lo, exec_lo, s30
	s_delay_alu instid0(VALU_DEP_3) | instskip(NEXT) | instid1(VALU_DEP_3)
	v_fma_f64 v[1:2], v[1:2], v[3:4], v[7:8]
	v_fma_f64 v[3:4], v[11:12], v[3:4], v[5:6]
.LBB100_42:
	s_or_b32 exec_lo, exec_lo, s2
	s_load_b32 s2, s[24:25], 0x4
	s_mul_i32 s3, s11, 0xc00
	s_sub_i32 s9, s27, s26
	s_delay_alu instid0(SALU_CYCLE_1)
	s_add_i32 s9, s9, s3
	s_mov_b32 s3, exec_lo
	v_add_nc_u32_e32 v5, s9, v0
	s_waitcnt lgkmcnt(0)
	s_sub_i32 s2, s2, s26
	s_delay_alu instid0(VALU_DEP_1) | instid1(SALU_CYCLE_1)
	v_cmpx_gt_i32_e64 s2, v5
	s_cbranch_execz .LBB100_46
; %bb.43:
	v_mul_f64 v[7:8], 0x80000000, v[15:16]
	v_mul_f64 v[17:18], v[13:14], 0
	v_ashrrev_i32_e32 v6, 31, v5
	s_addk_i32 s9, 0xc00
	s_mov_b32 s30, 0
	s_min_i32 s9, s9, s2
	s_delay_alu instid0(VALU_DEP_1) | instskip(SKIP_1) | instid1(VALU_DEP_2)
	v_lshlrev_b64 v[19:20], 3, v[5:6]
	v_lshlrev_b64 v[21:22], 2, v[5:6]
	v_add_co_u32 v19, vcc_lo, s16, v19
	s_delay_alu instid0(VALU_DEP_3) | instskip(NEXT) | instid1(VALU_DEP_3)
	v_add_co_ci_u32_e32 v20, vcc_lo, s17, v20, vcc_lo
	v_add_co_u32 v21, vcc_lo, s14, v21
	s_delay_alu instid0(VALU_DEP_4)
	v_add_co_ci_u32_e32 v22, vcc_lo, s15, v22, vcc_lo
	s_set_inst_prefetch_distance 0x1
	.p2align	6
.LBB100_44:                             ; =>This Inner Loop Header: Depth=1
	global_load_b32 v6, v[21:22], off
	global_load_b64 v[27:28], v[19:20], off
	v_add_nc_u32_e32 v5, 0x100, v5
	v_add_co_u32 v21, s2, 0x400, v21
	s_delay_alu instid0(VALU_DEP_1)
	v_add_co_ci_u32_e64 v22, s2, 0, v22, s2
	s_waitcnt vmcnt(1)
	v_subrev_nc_u32_e32 v23, s26, v6
	s_waitcnt vmcnt(0)
	v_fma_f64 v[29:30], v[13:14], v[27:28], v[7:8]
	v_fma_f64 v[27:28], v[15:16], v[27:28], v[17:18]
	s_delay_alu instid0(VALU_DEP_3) | instskip(NEXT) | instid1(VALU_DEP_1)
	v_ashrrev_i32_e32 v24, 31, v23
	v_lshlrev_b64 v[23:24], 4, v[23:24]
	s_delay_alu instid0(VALU_DEP_1) | instskip(NEXT) | instid1(VALU_DEP_2)
	v_add_co_u32 v23, vcc_lo, s18, v23
	v_add_co_ci_u32_e32 v24, vcc_lo, s19, v24, vcc_lo
	v_add_co_u32 v19, vcc_lo, 0x800, v19
	v_add_co_ci_u32_e32 v20, vcc_lo, 0, v20, vcc_lo
	global_load_b128 v[23:26], v[23:24], off
	v_cmp_le_i32_e32 vcc_lo, s9, v5
	s_or_b32 s30, vcc_lo, s30
	s_waitcnt vmcnt(0)
	v_fma_f64 v[1:2], v[29:30], v[23:24], v[1:2]
	v_fma_f64 v[3:4], v[27:28], v[23:24], v[3:4]
	s_delay_alu instid0(VALU_DEP_2) | instskip(NEXT) | instid1(VALU_DEP_2)
	v_fma_f64 v[1:2], -v[27:28], v[25:26], v[1:2]
	v_fma_f64 v[3:4], v[29:30], v[25:26], v[3:4]
	s_and_not1_b32 exec_lo, exec_lo, s30
	s_cbranch_execnz .LBB100_44
; %bb.45:
	s_set_inst_prefetch_distance 0x2
	s_or_b32 exec_lo, exec_lo, s30
.LBB100_46:
	s_delay_alu instid0(SALU_CYCLE_1)
	s_or_b32 exec_lo, exec_lo, s3
	v_lshlrev_b32_e32 v5, 4, v0
	s_mov_b32 s2, exec_lo
	ds_store_b128 v5, v[1:4]
	s_waitcnt vmcnt(0) lgkmcnt(0)
	s_waitcnt_vscnt null, 0x0
	s_barrier
	buffer_gl0_inv
	v_cmpx_gt_u32_e32 0x80, v0
	s_cbranch_execz .LBB100_48
; %bb.47:
	ds_load_b128 v[1:4], v5 offset:2048
	ds_load_b128 v[17:20], v5
	s_waitcnt lgkmcnt(0)
	v_add_f64 v[1:2], v[1:2], v[17:18]
	v_add_f64 v[3:4], v[3:4], v[19:20]
	ds_store_b128 v5, v[1:4]
.LBB100_48:
	s_or_b32 exec_lo, exec_lo, s2
	s_delay_alu instid0(SALU_CYCLE_1)
	s_mov_b32 s2, exec_lo
	s_waitcnt lgkmcnt(0)
	s_barrier
	buffer_gl0_inv
	v_cmpx_gt_u32_e32 64, v0
	s_cbranch_execz .LBB100_50
; %bb.49:
	ds_load_b128 v[1:4], v5 offset:1024
	ds_load_b128 v[17:20], v5
	s_waitcnt lgkmcnt(0)
	v_add_f64 v[1:2], v[1:2], v[17:18]
	v_add_f64 v[3:4], v[3:4], v[19:20]
	ds_store_b128 v5, v[1:4]
.LBB100_50:
	s_or_b32 exec_lo, exec_lo, s2
	s_delay_alu instid0(SALU_CYCLE_1)
	s_mov_b32 s2, exec_lo
	s_waitcnt lgkmcnt(0)
	;; [unrolled: 16-line block ×6, first 2 shown]
	s_barrier
	buffer_gl0_inv
	v_cmpx_gt_u32_e32 2, v0
	s_cbranch_execz .LBB100_60
; %bb.59:
	ds_load_b128 v[1:4], v5
	ds_load_b128 v[17:20], v5 offset:32
	s_waitcnt lgkmcnt(0)
	v_add_f64 v[1:2], v[17:18], v[1:2]
	v_add_f64 v[3:4], v[19:20], v[3:4]
	ds_store_b128 v5, v[1:4]
.LBB100_60:
	s_or_b32 exec_lo, exec_lo, s2
	v_cmp_eq_u32_e32 vcc_lo, 0, v0
	s_waitcnt lgkmcnt(0)
	s_barrier
	buffer_gl0_inv
	s_and_saveexec_b32 s2, vcc_lo
	s_cbranch_execz .LBB100_62
; %bb.61:
	v_mov_b32_e32 v17, 0
	ds_load_b128 v[1:4], v17
	ds_load_b128 v[5:8], v17 offset:16
	s_waitcnt lgkmcnt(0)
	v_add_f64 v[1:2], v[5:6], v[1:2]
	v_add_f64 v[3:4], v[7:8], v[3:4]
	ds_store_b128 v17, v[1:4]
.LBB100_62:
	s_or_b32 exec_lo, exec_lo, s2
	s_waitcnt lgkmcnt(0)
	s_barrier
	buffer_gl0_inv
	s_and_saveexec_b32 s30, vcc_lo
	s_cbranch_execz .LBB100_75
; %bb.63:
	s_cmp_eq_u32 s11, 0
	s_cbranch_scc1 .LBB100_69
; %bb.64:
	s_ashr_i32 s9, s8, 31
	v_mov_b32_e32 v1, 0
	s_lshl_b64 s[2:3], s[8:9], 2
	s_delay_alu instid0(SALU_CYCLE_1)
	s_add_u32 s2, s6, s2
	s_addc_u32 s3, s7, s3
	s_branch .LBB100_66
.LBB100_65:                             ;   in Loop: Header=BB100_66 Depth=1
	s_or_b32 exec_lo, exec_lo, s6
	s_waitcnt vmcnt(0)
	v_readfirstlane_b32 s6, v2
	s_delay_alu instid0(VALU_DEP_1)
	s_cmp_eq_u32 s6, s10
	s_cbranch_scc0 .LBB100_68
.LBB100_66:                             ; =>This Inner Loop Header: Depth=1
	v_mbcnt_lo_u32_b32 v2, exec_lo, 0
	s_delay_alu instid0(VALU_DEP_1)
	v_cmp_eq_u32_e32 vcc_lo, 0, v2
                                        ; implicit-def: $vgpr2
	s_and_saveexec_b32 s6, vcc_lo
	s_cbranch_execz .LBB100_65
; %bb.67:                               ;   in Loop: Header=BB100_66 Depth=1
	global_load_b32 v2, v1, s[2:3] glc
	s_branch .LBB100_65
.LBB100_68:
	v_mov_b32_e32 v1, 0
	global_load_b32 v2, v1, s[4:5]
	s_waitcnt vmcnt(0)
	v_xor_b32_e32 v2, 1, v2
	global_store_b32 v1, v2, s[4:5]
.LBB100_69:
	v_mov_b32_e32 v17, 0
	s_mov_b32 s5, exec_lo
	s_lshl_b64 s[2:3], s[28:29], 4
	v_mbcnt_lo_u32_b32 v5, s5, 0
	s_add_u32 s2, s20, s2
	ds_load_b128 v[1:4], v17
	s_addc_u32 s3, s21, s3
	s_mov_b32 s4, exec_lo
	v_cmpx_eq_u32_e32 0, v5
	s_cbranch_execz .LBB100_72
; %bb.70:
	global_load_b64 v[7:8], v17, s[2:3]
	s_bcnt1_i32_b32 s5, s5
	s_delay_alu instid0(SALU_CYCLE_1) | instskip(SKIP_2) | instid1(VALU_DEP_1)
	v_cvt_f64_u32_e32 v[5:6], s5
	s_mov_b32 s5, 0
	s_waitcnt lgkmcnt(0)
	v_mul_f64 v[1:2], v[1:2], v[5:6]
.LBB100_71:                             ; =>This Inner Loop Header: Depth=1
	s_waitcnt vmcnt(0)
	s_delay_alu instid0(VALU_DEP_1)
	v_add_f64 v[5:6], v[7:8], v[1:2]
	global_atomic_cmpswap_b64 v[5:6], v17, v[5:8], s[2:3] glc
	s_waitcnt vmcnt(0)
	v_cmp_eq_u64_e32 vcc_lo, v[5:6], v[7:8]
	v_dual_mov_b32 v8, v6 :: v_dual_mov_b32 v7, v5
	s_or_b32 s5, vcc_lo, s5
	s_delay_alu instid0(SALU_CYCLE_1)
	s_and_not1_b32 exec_lo, exec_lo, s5
	s_cbranch_execnz .LBB100_71
.LBB100_72:
	s_or_b32 exec_lo, exec_lo, s4
	s_delay_alu instid0(SALU_CYCLE_1) | instskip(SKIP_3) | instid1(VALU_DEP_1)
	s_mov_b32 s5, exec_lo
	s_mov_b32 s4, 0
	s_waitcnt lgkmcnt(0)
	v_mbcnt_lo_u32_b32 v1, s5, 0
	v_cmp_eq_u32_e32 vcc_lo, 0, v1
	s_and_b32 s6, exec_lo, vcc_lo
	s_delay_alu instid0(SALU_CYCLE_1)
	s_mov_b32 exec_lo, s6
	s_cbranch_execz .LBB100_75
; %bb.73:
	v_mov_b32_e32 v7, 0
	s_bcnt1_i32_b32 s5, s5
	s_delay_alu instid0(SALU_CYCLE_1)
	v_cvt_f64_u32_e32 v[1:2], s5
	global_load_b64 v[5:6], v7, s[2:3] offset:8
	v_mul_f64 v[1:2], v[3:4], v[1:2]
.LBB100_74:                             ; =>This Inner Loop Header: Depth=1
	s_waitcnt vmcnt(0)
	s_delay_alu instid0(VALU_DEP_1)
	v_add_f64 v[3:4], v[5:6], v[1:2]
	global_atomic_cmpswap_b64 v[3:4], v7, v[3:6], s[2:3] offset:8 glc
	s_waitcnt vmcnt(0)
	v_cmp_eq_u64_e32 vcc_lo, v[3:4], v[5:6]
	v_dual_mov_b32 v6, v4 :: v_dual_mov_b32 v5, v3
	s_or_b32 s4, vcc_lo, s4
	s_delay_alu instid0(SALU_CYCLE_1)
	s_and_not1_b32 exec_lo, exec_lo, s4
	s_cbranch_execnz .LBB100_74
.LBB100_75:
	s_or_b32 exec_lo, exec_lo, s30
.LBB100_76:
	s_mov_b32 s3, 0
.LBB100_77:
	s_delay_alu instid0(SALU_CYCLE_1)
	s_and_not1_b32 vcc_lo, exec_lo, s3
	s_cbranch_vccnz .LBB100_121
; %bb.78:
	s_load_b32 s0, s[0:1], 0x4
	v_subrev_nc_u32_e32 v1, s26, v0
	s_waitcnt lgkmcnt(0)
	s_delay_alu instid0(VALU_DEP_1) | instskip(NEXT) | instid1(VALU_DEP_1)
	v_add_nc_u32_e32 v1, s27, v1
	v_add_nc_u32_e32 v2, 0x300, v1
	s_delay_alu instid0(VALU_DEP_1) | instskip(SKIP_1) | instid1(SALU_CYCLE_1)
	v_cmp_le_i32_e32 vcc_lo, s0, v2
	s_and_saveexec_b32 s0, vcc_lo
	s_xor_b32 s0, exec_lo, s0
	s_cbranch_execz .LBB100_83
; %bb.79:
	s_ashr_i32 s3, s23, 31
	s_mov_b32 s2, s23
	s_delay_alu instid0(SALU_CYCLE_1) | instskip(NEXT) | instid1(SALU_CYCLE_1)
	s_lshl_b64 s[2:3], s[2:3], 2
	s_add_u32 s2, s12, s2
	s_addc_u32 s3, s13, s3
	s_load_b32 s1, s[2:3], 0x0
	s_mov_b32 s2, exec_lo
	s_waitcnt lgkmcnt(0)
	s_sub_i32 s1, s1, s26
	s_delay_alu instid0(SALU_CYCLE_1)
	v_cmpx_gt_i32_e64 s1, v1
	s_cbranch_execz .LBB100_82
; %bb.80:
	v_mul_f64 v[3:4], 0x80000000, v[15:16]
	v_mul_f64 v[5:6], v[13:14], 0
	v_lshlrev_b32_e32 v7, 4, v0
	s_mov_b32 s3, 0
	s_set_inst_prefetch_distance 0x1
	.p2align	6
.LBB100_81:                             ; =>This Inner Loop Header: Depth=1
	v_ashrrev_i32_e32 v2, 31, v1
	s_delay_alu instid0(VALU_DEP_1) | instskip(NEXT) | instid1(VALU_DEP_1)
	v_lshlrev_b64 v[17:18], 2, v[1:2]
	v_add_co_u32 v17, vcc_lo, s14, v17
	s_delay_alu instid0(VALU_DEP_2) | instskip(SKIP_3) | instid1(VALU_DEP_2)
	v_add_co_ci_u32_e32 v18, vcc_lo, s15, v18, vcc_lo
	global_load_b32 v8, v[17:18], off
	v_lshlrev_b64 v[17:18], 3, v[1:2]
	v_add_nc_u32_e32 v1, 0x100, v1
	v_add_co_u32 v17, vcc_lo, s16, v17
	s_delay_alu instid0(VALU_DEP_3) | instskip(SKIP_3) | instid1(VALU_DEP_1)
	v_add_co_ci_u32_e32 v18, vcc_lo, s17, v18, vcc_lo
	global_load_b64 v[21:22], v[17:18], off
	s_waitcnt vmcnt(1)
	v_subrev_nc_u32_e32 v17, s26, v8
	v_ashrrev_i32_e32 v18, 31, v17
	s_delay_alu instid0(VALU_DEP_1) | instskip(SKIP_3) | instid1(VALU_DEP_3)
	v_lshlrev_b64 v[17:18], 4, v[17:18]
	s_waitcnt vmcnt(0)
	v_fma_f64 v[23:24], v[15:16], v[21:22], v[5:6]
	v_fma_f64 v[21:22], v[13:14], v[21:22], v[3:4]
	v_add_co_u32 v17, vcc_lo, s18, v17
	s_delay_alu instid0(VALU_DEP_4)
	v_add_co_ci_u32_e32 v18, vcc_lo, s19, v18, vcc_lo
	v_cmp_le_i32_e32 vcc_lo, s1, v1
	global_load_b128 v[17:20], v[17:18], off
	s_or_b32 s3, vcc_lo, s3
	s_waitcnt vmcnt(0)
	v_mul_f64 v[25:26], v[19:20], -v[23:24]
	v_mul_f64 v[27:28], v[21:22], v[19:20]
	s_delay_alu instid0(VALU_DEP_2) | instskip(NEXT) | instid1(VALU_DEP_2)
	v_fma_f64 v[19:20], v[21:22], v[17:18], v[25:26]
	v_fma_f64 v[21:22], v[23:24], v[17:18], v[27:28]
	ds_store_b128 v7, v[19:22]
	v_add_nc_u32_e32 v7, 0x1000, v7
	s_and_not1_b32 exec_lo, exec_lo, s3
	s_cbranch_execnz .LBB100_81
.LBB100_82:
	s_set_inst_prefetch_distance 0x2
	s_or_b32 exec_lo, exec_lo, s2
                                        ; implicit-def: $vgpr15_vgpr16
                                        ; implicit-def: $vgpr13_vgpr14
                                        ; implicit-def: $vgpr1
.LBB100_83:
	s_or_saveexec_b32 s0, s0
	v_lshlrev_b32_e32 v17, 4, v0
	s_xor_b32 exec_lo, exec_lo, s0
	s_cbranch_execz .LBB100_85
; %bb.84:
	v_ashrrev_i32_e32 v2, 31, v1
	v_mul_f64 v[34:35], v[13:14], 0
	v_mul_f64 v[36:37], 0x80000000, v[15:16]
	s_delay_alu instid0(VALU_DEP_3) | instskip(SKIP_1) | instid1(VALU_DEP_2)
	v_lshlrev_b64 v[3:4], 2, v[1:2]
	v_lshlrev_b64 v[1:2], 3, v[1:2]
	v_add_co_u32 v3, vcc_lo, s14, v3
	s_delay_alu instid0(VALU_DEP_3) | instskip(NEXT) | instid1(VALU_DEP_3)
	v_add_co_ci_u32_e32 v4, vcc_lo, s15, v4, vcc_lo
	v_add_co_u32 v1, vcc_lo, s16, v1
	s_delay_alu instid0(VALU_DEP_4)
	v_add_co_ci_u32_e32 v2, vcc_lo, s17, v2, vcc_lo
	s_clause 0x3
	global_load_b32 v5, v[3:4], off
	global_load_b32 v6, v[3:4], off offset:1024
	global_load_b32 v7, v[3:4], off offset:2048
	;; [unrolled: 1-line block ×3, first 2 shown]
	v_add_co_u32 v3, vcc_lo, 0x1000, v1
	v_add_co_ci_u32_e32 v4, vcc_lo, 0, v2, vcc_lo
	s_clause 0x3
	global_load_b64 v[26:27], v[1:2], off
	global_load_b64 v[28:29], v[1:2], off offset:2048
	global_load_b64 v[30:31], v[3:4], off
	global_load_b64 v[32:33], v[3:4], off offset:2048
	s_waitcnt vmcnt(7)
	v_subrev_nc_u32_e32 v1, s26, v5
	s_waitcnt vmcnt(6)
	v_subrev_nc_u32_e32 v3, s26, v6
	;; [unrolled: 2-line block ×4, first 2 shown]
	v_ashrrev_i32_e32 v2, 31, v1
	v_ashrrev_i32_e32 v4, 31, v3
	;; [unrolled: 1-line block ×3, first 2 shown]
	s_delay_alu instid0(VALU_DEP_4)
	v_ashrrev_i32_e32 v8, 31, v7
	s_waitcnt vmcnt(3)
	v_fma_f64 v[38:39], v[15:16], v[26:27], v[34:35]
	v_lshlrev_b64 v[1:2], 4, v[1:2]
	v_lshlrev_b64 v[3:4], 4, v[3:4]
	;; [unrolled: 1-line block ×4, first 2 shown]
	v_fma_f64 v[26:27], v[13:14], v[26:27], v[36:37]
	s_waitcnt vmcnt(2)
	v_fma_f64 v[40:41], v[15:16], v[28:29], v[34:35]
	v_add_co_u32 v1, vcc_lo, s18, v1
	v_add_co_ci_u32_e32 v2, vcc_lo, s19, v2, vcc_lo
	v_add_co_u32 v18, vcc_lo, s18, v3
	v_add_co_ci_u32_e32 v19, vcc_lo, s19, v4, vcc_lo
	;; [unrolled: 2-line block ×3, first 2 shown]
	v_add_co_u32 v22, vcc_lo, s18, v7
	global_load_b128 v[1:4], v[1:2], off
	v_add_co_ci_u32_e32 v23, vcc_lo, s19, v8, vcc_lo
	s_clause 0x2
	global_load_b128 v[5:8], v[18:19], off
	global_load_b128 v[18:21], v[20:21], off
	;; [unrolled: 1-line block ×3, first 2 shown]
	v_fma_f64 v[28:29], v[13:14], v[28:29], v[36:37]
	s_waitcnt vmcnt(5)
	v_fma_f64 v[42:43], v[15:16], v[30:31], v[34:35]
	v_fma_f64 v[30:31], v[13:14], v[30:31], v[36:37]
	s_waitcnt vmcnt(4)
	v_fma_f64 v[34:35], v[15:16], v[32:33], v[34:35]
	v_fma_f64 v[32:33], v[13:14], v[32:33], v[36:37]
	s_waitcnt vmcnt(3)
	v_mul_f64 v[13:14], v[3:4], -v[38:39]
	v_mul_f64 v[3:4], v[26:27], v[3:4]
	s_waitcnt vmcnt(2)
	v_mul_f64 v[36:37], v[7:8], -v[40:41]
	v_mul_f64 v[7:8], v[28:29], v[7:8]
	;; [unrolled: 3-line block ×4, first 2 shown]
	v_fma_f64 v[13:14], v[26:27], v[1:2], v[13:14]
	v_fma_f64 v[15:16], v[38:39], v[1:2], v[3:4]
	;; [unrolled: 1-line block ×8, first 2 shown]
	ds_store_b128 v17, v[13:16]
	ds_store_b128 v17, v[1:4] offset:4096
	ds_store_b128 v17, v[5:8] offset:8192
	;; [unrolled: 1-line block ×3, first 2 shown]
.LBB100_85:
	s_or_b32 exec_lo, exec_lo, s0
	s_cmp_lt_i32 s11, 2
	s_mov_b32 s0, -1
	s_waitcnt vmcnt(0) lgkmcnt(0)
	s_waitcnt_vscnt null, 0x0
	s_barrier
	buffer_gl0_inv
	s_cbranch_scc0 .LBB100_96
; %bb.86:
	v_add_nc_u32_e32 v5, s22, v0
	s_mov_b32 s1, exec_lo
	s_delay_alu instid0(VALU_DEP_1)
	v_cmpx_gt_i32_e64 s23, v5
	s_cbranch_execz .LBB100_95
; %bb.87:
	v_cmp_neq_f64_e32 vcc_lo, 0, v[9:10]
	v_cmp_neq_f64_e64 s0, 0, v[11:12]
	s_lshl_b32 s4, s27, 4
	s_mov_b32 s2, 0
	s_sub_i32 s4, 0, s4
	s_delay_alu instid0(VALU_DEP_1)
	s_or_b32 s3, vcc_lo, s0
	s_branch .LBB100_89
.LBB100_88:                             ;   in Loop: Header=BB100_89 Depth=1
	s_or_b32 exec_lo, exec_lo, s0
	v_add_nc_u32_e32 v5, 0x100, v5
	s_delay_alu instid0(VALU_DEP_2) | instskip(NEXT) | instid1(VALU_DEP_1)
	v_add_co_u32 v6, s0, s20, v6
	v_add_co_ci_u32_e64 v7, s0, s21, v7, s0
	s_delay_alu instid0(VALU_DEP_3) | instskip(SKIP_2) | instid1(SALU_CYCLE_1)
	v_cmp_le_i32_e32 vcc_lo, s23, v5
	global_store_b128 v[6:7], v[1:4], off
	s_or_b32 s2, vcc_lo, s2
	s_and_not1_b32 exec_lo, exec_lo, s2
	s_cbranch_execz .LBB100_95
.LBB100_89:                             ; =>This Loop Header: Depth=1
                                        ;     Child Loop BB100_91 Depth 2
	v_ashrrev_i32_e32 v6, 31, v5
	v_mov_b32_e32 v3, 0
	v_mov_b32_e32 v4, 0
	s_mov_b32 s0, exec_lo
	s_delay_alu instid0(VALU_DEP_3) | instskip(NEXT) | instid1(VALU_DEP_1)
	v_lshlrev_b64 v[1:2], 2, v[5:6]
	v_add_co_u32 v1, vcc_lo, s12, v1
	s_delay_alu instid0(VALU_DEP_2)
	v_add_co_ci_u32_e32 v2, vcc_lo, s13, v2, vcc_lo
	global_load_b64 v[7:8], v[1:2], off
	v_dual_mov_b32 v1, v3 :: v_dual_mov_b32 v2, v4
	s_waitcnt vmcnt(0)
	v_cmpx_lt_i32_e64 v7, v8
	s_cbranch_execz .LBB100_93
; %bb.90:                               ;   in Loop: Header=BB100_89 Depth=1
	v_mov_b32_e32 v3, 0
	v_mov_b32_e32 v4, 0
	v_subrev_nc_u32_e32 v8, s27, v8
	v_subrev_nc_u32_e32 v13, s27, v7
	v_lshl_add_u32 v7, v7, 4, s4
	s_delay_alu instid0(VALU_DEP_4)
	v_dual_mov_b32 v1, v3 :: v_dual_mov_b32 v2, v4
	s_mov_b32 s5, 0
.LBB100_91:                             ;   Parent Loop BB100_89 Depth=1
                                        ; =>  This Inner Loop Header: Depth=2
	ds_load_b128 v[18:21], v7
	v_add_nc_u32_e32 v13, 1, v13
	v_add_nc_u32_e32 v7, 16, v7
	s_delay_alu instid0(VALU_DEP_2)
	v_cmp_ge_i32_e32 vcc_lo, v13, v8
	s_or_b32 s5, vcc_lo, s5
	s_waitcnt lgkmcnt(0)
	v_add_f64 v[1:2], v[1:2], v[18:19]
	v_add_f64 v[3:4], v[3:4], v[20:21]
	s_and_not1_b32 exec_lo, exec_lo, s5
	s_cbranch_execnz .LBB100_91
; %bb.92:                               ;   in Loop: Header=BB100_89 Depth=1
	s_or_b32 exec_lo, exec_lo, s5
.LBB100_93:                             ;   in Loop: Header=BB100_89 Depth=1
	s_delay_alu instid0(SALU_CYCLE_1)
	s_or_b32 exec_lo, exec_lo, s0
	v_lshlrev_b64 v[6:7], 4, v[5:6]
	s_and_saveexec_b32 s0, s3
	s_cbranch_execz .LBB100_88
; %bb.94:                               ;   in Loop: Header=BB100_89 Depth=1
	s_delay_alu instid0(VALU_DEP_1) | instskip(NEXT) | instid1(VALU_DEP_2)
	v_add_co_u32 v13, vcc_lo, s20, v6
	v_add_co_ci_u32_e32 v14, vcc_lo, s21, v7, vcc_lo
	global_load_b128 v[13:16], v[13:14], off
	s_waitcnt vmcnt(0)
	v_fma_f64 v[1:2], v[9:10], v[13:14], v[1:2]
	v_fma_f64 v[3:4], v[11:12], v[13:14], v[3:4]
	s_delay_alu instid0(VALU_DEP_2) | instskip(NEXT) | instid1(VALU_DEP_2)
	v_fma_f64 v[1:2], -v[11:12], v[15:16], v[1:2]
	v_fma_f64 v[3:4], v[9:10], v[15:16], v[3:4]
	s_branch .LBB100_88
.LBB100_95:
	s_or_b32 exec_lo, exec_lo, s1
	s_mov_b32 s0, 0
.LBB100_96:
	s_delay_alu instid0(SALU_CYCLE_1)
	s_and_not1_b32 vcc_lo, exec_lo, s0
	s_cbranch_vccnz .LBB100_121
; %bb.97:
	s_clz_i32_u32 s0, s11
	s_mov_b32 s1, exec_lo
	s_xor_b32 s0, s0, 31
	s_delay_alu instid0(SALU_CYCLE_1) | instskip(SKIP_1) | instid1(SALU_CYCLE_1)
	v_lshrrev_b32_e32 v7, s0, v0
	s_add_i32 s0, s11, -1
	v_dual_mov_b32 v1, 0 :: v_dual_and_b32 v6, s0, v0
	s_delay_alu instid0(VALU_DEP_2) | instskip(NEXT) | instid1(VALU_DEP_1)
	v_dual_mov_b32 v2, 0 :: v_dual_add_nc_u32 v5, s22, v7
	v_dual_mov_b32 v4, v2 :: v_dual_mov_b32 v3, v1
	s_delay_alu instid0(VALU_DEP_2)
	v_cmp_le_i32_e32 vcc_lo, s23, v5
	v_cmpx_gt_i32_e64 s23, v5
	s_cbranch_execz .LBB100_103
; %bb.98:
	v_dual_mov_b32 v3, 0 :: v_dual_lshlrev_b32 v0, 2, v7
	v_subrev_nc_u32_e32 v7, s27, v6
	s_mov_b32 s2, exec_lo
	global_load_b64 v[1:2], v0, s[24:25]
	s_waitcnt vmcnt(0)
	v_dual_mov_b32 v4, 0 :: v_dual_add_nc_u32 v7, v1, v7
	v_subrev_nc_u32_e32 v0, s27, v2
	s_delay_alu instid0(VALU_DEP_2) | instskip(NEXT) | instid1(VALU_DEP_2)
	v_dual_mov_b32 v1, v3 :: v_dual_mov_b32 v2, v4
	v_cmpx_lt_i32_e64 v7, v0
	s_cbranch_execz .LBB100_102
; %bb.99:
	v_dual_mov_b32 v3, 0 :: v_dual_lshlrev_b32 v8, 4, v7
	v_mov_b32_e32 v4, 0
	s_delay_alu instid0(VALU_DEP_2) | instskip(SKIP_2) | instid1(VALU_DEP_2)
	v_mov_b32_e32 v1, v3
	s_lshl_b32 s4, s11, 4
	s_mov_b32 s3, 0
	v_mov_b32_e32 v2, v4
.LBB100_100:                            ; =>This Inner Loop Header: Depth=1
	ds_load_b128 v[13:16], v8
	v_add_nc_u32_e32 v7, s11, v7
	v_add_nc_u32_e32 v8, s4, v8
	s_delay_alu instid0(VALU_DEP_2) | instskip(NEXT) | instid1(VALU_DEP_1)
	v_cmp_ge_i32_e64 s0, v7, v0
	s_or_b32 s3, s0, s3
	s_waitcnt lgkmcnt(0)
	v_add_f64 v[1:2], v[1:2], v[13:14]
	v_add_f64 v[3:4], v[3:4], v[15:16]
	s_and_not1_b32 exec_lo, exec_lo, s3
	s_cbranch_execnz .LBB100_100
; %bb.101:
	s_or_b32 exec_lo, exec_lo, s3
.LBB100_102:
	s_delay_alu instid0(SALU_CYCLE_1)
	s_or_b32 exec_lo, exec_lo, s2
.LBB100_103:
	s_delay_alu instid0(SALU_CYCLE_1)
	s_or_b32 exec_lo, exec_lo, s1
	s_cmpk_lt_i32 s11, 0x81
	s_waitcnt_vscnt null, 0x0
	s_barrier
	buffer_gl0_inv
	ds_store_b128 v17, v[1:4]
	s_waitcnt lgkmcnt(0)
	s_barrier
	buffer_gl0_inv
	s_cbranch_scc1 .LBB100_105
; %bb.104:
	ds_load_b128 v[13:16], v17 offset:2048
	s_waitcnt lgkmcnt(0)
	s_barrier
	buffer_gl0_inv
	v_add_f64 v[1:2], v[1:2], v[13:14]
	v_add_f64 v[3:4], v[3:4], v[15:16]
	ds_store_b128 v17, v[1:4]
.LBB100_105:
	s_cmpk_lt_i32 s11, 0x41
	s_waitcnt lgkmcnt(0)
	s_barrier
	buffer_gl0_inv
	s_cbranch_scc1 .LBB100_107
; %bb.106:
	ds_load_b128 v[13:16], v17 offset:1024
	s_waitcnt lgkmcnt(0)
	s_barrier
	buffer_gl0_inv
	v_add_f64 v[1:2], v[1:2], v[13:14]
	v_add_f64 v[3:4], v[3:4], v[15:16]
	ds_store_b128 v17, v[1:4]
.LBB100_107:
	s_cmp_lt_i32 s11, 33
	s_waitcnt lgkmcnt(0)
	s_barrier
	buffer_gl0_inv
	s_cbranch_scc1 .LBB100_109
; %bb.108:
	ds_load_b128 v[13:16], v17 offset:512
	s_waitcnt lgkmcnt(0)
	s_barrier
	buffer_gl0_inv
	v_add_f64 v[1:2], v[1:2], v[13:14]
	v_add_f64 v[3:4], v[3:4], v[15:16]
	ds_store_b128 v17, v[1:4]
.LBB100_109:
	s_cmp_lt_i32 s11, 17
	;; [unrolled: 14-line block ×4, first 2 shown]
	s_waitcnt lgkmcnt(0)
	s_barrier
	buffer_gl0_inv
	s_cbranch_scc1 .LBB100_115
; %bb.114:
	ds_load_b128 v[13:16], v17 offset:64
	s_waitcnt lgkmcnt(0)
	s_barrier
	buffer_gl0_inv
	v_add_f64 v[1:2], v[1:2], v[13:14]
	v_add_f64 v[3:4], v[3:4], v[15:16]
	ds_store_b128 v17, v[1:4]
.LBB100_115:
	s_cmp_eq_u32 s11, 2
	s_waitcnt lgkmcnt(0)
	s_barrier
	buffer_gl0_inv
	s_cbranch_scc1 .LBB100_117
; %bb.116:
	ds_load_b128 v[13:16], v17 offset:32
	s_waitcnt lgkmcnt(0)
	s_barrier
	buffer_gl0_inv
	v_add_f64 v[1:2], v[1:2], v[13:14]
	v_add_f64 v[3:4], v[3:4], v[15:16]
	ds_store_b128 v17, v[1:4]
.LBB100_117:
	s_waitcnt lgkmcnt(0)
	s_barrier
	buffer_gl0_inv
	ds_load_b128 v[13:16], v17 offset:16
	v_cmp_eq_u32_e64 s0, 0, v6
	s_xor_b32 s1, vcc_lo, -1
	s_waitcnt lgkmcnt(0)
	s_barrier
	buffer_gl0_inv
	s_and_b32 s0, s0, s1
	v_add_f64 v[0:1], v[1:2], v[13:14]
	v_add_f64 v[2:3], v[3:4], v[15:16]
	ds_store_b128 v17, v[0:3]
	s_and_b32 exec_lo, exec_lo, s0
	s_cbranch_execz .LBB100_121
; %bb.118:
	v_cmp_neq_f64_e32 vcc_lo, 0, v[9:10]
	v_cmp_neq_f64_e64 s0, 0, v[11:12]
	v_ashrrev_i32_e32 v6, 31, v5
	s_delay_alu instid0(VALU_DEP_1) | instskip(NEXT) | instid1(VALU_DEP_3)
	v_lshlrev_b64 v[4:5], 4, v[5:6]
	s_or_b32 s1, vcc_lo, s0
	s_delay_alu instid0(SALU_CYCLE_1)
	s_and_saveexec_b32 s0, s1
	s_cbranch_execz .LBB100_120
; %bb.119:
	s_delay_alu instid0(VALU_DEP_1) | instskip(NEXT) | instid1(VALU_DEP_2)
	v_add_co_u32 v6, vcc_lo, s20, v4
	v_add_co_ci_u32_e32 v7, vcc_lo, s21, v5, vcc_lo
	global_load_b128 v[13:16], v[6:7], off
	s_waitcnt vmcnt(0)
	v_fma_f64 v[0:1], v[9:10], v[13:14], v[0:1]
	v_fma_f64 v[2:3], v[11:12], v[13:14], v[2:3]
	s_delay_alu instid0(VALU_DEP_2) | instskip(NEXT) | instid1(VALU_DEP_2)
	v_fma_f64 v[0:1], -v[11:12], v[15:16], v[0:1]
	v_fma_f64 v[2:3], v[9:10], v[15:16], v[2:3]
.LBB100_120:
	s_or_b32 exec_lo, exec_lo, s0
	s_delay_alu instid0(VALU_DEP_1)
	v_add_co_u32 v4, vcc_lo, s20, v4
	v_add_co_ci_u32_e32 v5, vcc_lo, s21, v5, vcc_lo
	global_store_b128 v[4:5], v[0:3], off
.LBB100_121:
	s_endpgm
	.section	.rodata,"a",@progbits
	.p2align	6, 0x0
	.amdhsa_kernel _ZN9rocsparseL22csrmvn_adaptive_kernelIiid21rocsparse_complex_numIdES2_S2_EEvbT_PKS3_PjPKT0_NS_24const_host_device_scalarIT4_EES5_S9_PKT1_PKT2_SC_PT3_21rocsparse_index_base_b
		.amdhsa_group_segment_fixed_size 16384
		.amdhsa_private_segment_fixed_size 24
		.amdhsa_kernarg_size 112
		.amdhsa_user_sgpr_count 15
		.amdhsa_user_sgpr_dispatch_ptr 0
		.amdhsa_user_sgpr_queue_ptr 0
		.amdhsa_user_sgpr_kernarg_segment_ptr 1
		.amdhsa_user_sgpr_dispatch_id 0
		.amdhsa_user_sgpr_private_segment_size 0
		.amdhsa_wavefront_size32 1
		.amdhsa_uses_dynamic_stack 0
		.amdhsa_enable_private_segment 1
		.amdhsa_system_sgpr_workgroup_id_x 1
		.amdhsa_system_sgpr_workgroup_id_y 0
		.amdhsa_system_sgpr_workgroup_id_z 0
		.amdhsa_system_sgpr_workgroup_info 0
		.amdhsa_system_vgpr_workitem_id 0
		.amdhsa_next_free_vgpr 48
		.amdhsa_next_free_sgpr 43
		.amdhsa_reserve_vcc 1
		.amdhsa_float_round_mode_32 0
		.amdhsa_float_round_mode_16_64 0
		.amdhsa_float_denorm_mode_32 3
		.amdhsa_float_denorm_mode_16_64 3
		.amdhsa_dx10_clamp 1
		.amdhsa_ieee_mode 1
		.amdhsa_fp16_overflow 0
		.amdhsa_workgroup_processor_mode 1
		.amdhsa_memory_ordered 1
		.amdhsa_forward_progress 0
		.amdhsa_shared_vgpr_count 0
		.amdhsa_exception_fp_ieee_invalid_op 0
		.amdhsa_exception_fp_denorm_src 0
		.amdhsa_exception_fp_ieee_div_zero 0
		.amdhsa_exception_fp_ieee_overflow 0
		.amdhsa_exception_fp_ieee_underflow 0
		.amdhsa_exception_fp_ieee_inexact 0
		.amdhsa_exception_int_div_zero 0
	.end_amdhsa_kernel
	.section	.text._ZN9rocsparseL22csrmvn_adaptive_kernelIiid21rocsparse_complex_numIdES2_S2_EEvbT_PKS3_PjPKT0_NS_24const_host_device_scalarIT4_EES5_S9_PKT1_PKT2_SC_PT3_21rocsparse_index_base_b,"axG",@progbits,_ZN9rocsparseL22csrmvn_adaptive_kernelIiid21rocsparse_complex_numIdES2_S2_EEvbT_PKS3_PjPKT0_NS_24const_host_device_scalarIT4_EES5_S9_PKT1_PKT2_SC_PT3_21rocsparse_index_base_b,comdat
.Lfunc_end100:
	.size	_ZN9rocsparseL22csrmvn_adaptive_kernelIiid21rocsparse_complex_numIdES2_S2_EEvbT_PKS3_PjPKT0_NS_24const_host_device_scalarIT4_EES5_S9_PKT1_PKT2_SC_PT3_21rocsparse_index_base_b, .Lfunc_end100-_ZN9rocsparseL22csrmvn_adaptive_kernelIiid21rocsparse_complex_numIdES2_S2_EEvbT_PKS3_PjPKT0_NS_24const_host_device_scalarIT4_EES5_S9_PKT1_PKT2_SC_PT3_21rocsparse_index_base_b
                                        ; -- End function
	.section	.AMDGPU.csdata,"",@progbits
; Kernel info:
; codeLenInByte = 5868
; NumSgprs: 45
; NumVgprs: 48
; ScratchSize: 24
; MemoryBound: 0
; FloatMode: 240
; IeeeMode: 1
; LDSByteSize: 16384 bytes/workgroup (compile time only)
; SGPRBlocks: 5
; VGPRBlocks: 5
; NumSGPRsForWavesPerEU: 45
; NumVGPRsForWavesPerEU: 48
; Occupancy: 16
; WaveLimiterHint : 1
; COMPUTE_PGM_RSRC2:SCRATCH_EN: 1
; COMPUTE_PGM_RSRC2:USER_SGPR: 15
; COMPUTE_PGM_RSRC2:TRAP_HANDLER: 0
; COMPUTE_PGM_RSRC2:TGID_X_EN: 1
; COMPUTE_PGM_RSRC2:TGID_Y_EN: 0
; COMPUTE_PGM_RSRC2:TGID_Z_EN: 0
; COMPUTE_PGM_RSRC2:TIDIG_COMP_CNT: 0
	.section	.text._ZN9rocsparseL27csrmvn_symm_adaptive_kernelIiid21rocsparse_complex_numIdES2_S2_EEvbT_S3_PKS3_NS_24const_host_device_scalarIT4_EES5_PKT0_PKT1_PKT2_S8_PT3_21rocsparse_index_base_b,"axG",@progbits,_ZN9rocsparseL27csrmvn_symm_adaptive_kernelIiid21rocsparse_complex_numIdES2_S2_EEvbT_S3_PKS3_NS_24const_host_device_scalarIT4_EES5_PKT0_PKT1_PKT2_S8_PT3_21rocsparse_index_base_b,comdat
	.globl	_ZN9rocsparseL27csrmvn_symm_adaptive_kernelIiid21rocsparse_complex_numIdES2_S2_EEvbT_S3_PKS3_NS_24const_host_device_scalarIT4_EES5_PKT0_PKT1_PKT2_S8_PT3_21rocsparse_index_base_b ; -- Begin function _ZN9rocsparseL27csrmvn_symm_adaptive_kernelIiid21rocsparse_complex_numIdES2_S2_EEvbT_S3_PKS3_NS_24const_host_device_scalarIT4_EES5_PKT0_PKT1_PKT2_S8_PT3_21rocsparse_index_base_b
	.p2align	8
	.type	_ZN9rocsparseL27csrmvn_symm_adaptive_kernelIiid21rocsparse_complex_numIdES2_S2_EEvbT_S3_PKS3_NS_24const_host_device_scalarIT4_EES5_PKT0_PKT1_PKT2_S8_PT3_21rocsparse_index_base_b,@function
_ZN9rocsparseL27csrmvn_symm_adaptive_kernelIiid21rocsparse_complex_numIdES2_S2_EEvbT_S3_PKS3_NS_24const_host_device_scalarIT4_EES5_PKT0_PKT1_PKT2_S8_PT3_21rocsparse_index_base_b: ; @_ZN9rocsparseL27csrmvn_symm_adaptive_kernelIiid21rocsparse_complex_numIdES2_S2_EEvbT_S3_PKS3_NS_24const_host_device_scalarIT4_EES5_PKT0_PKT1_PKT2_S8_PT3_21rocsparse_index_base_b
; %bb.0:
	s_clause 0x2
	s_load_b64 s[20:21], s[0:1], 0x60
	s_load_b128 s[8:11], s[0:1], 0x18
	s_load_b128 s[4:7], s[0:1], 0x48
	s_mov_b64 s[2:3], src_private_base
	v_mov_b32_e32 v1, 0
	s_mov_b32 s12, s15
	s_waitcnt lgkmcnt(0)
	s_bitcmp1_b32 s21, 0
	v_dual_mov_b32 v3, s8 :: v_dual_mov_b32 v6, s5
	s_cselect_b32 s2, -1, 0
	v_mov_b32_e32 v4, s9
	s_and_b32 vcc_lo, s2, exec_lo
	s_cselect_b32 s13, s3, s9
	v_cndmask_b32_e64 v1, s8, v1, s2
	v_dual_mov_b32 v5, s4 :: v_dual_mov_b32 v2, s13
	s_clause 0x1
	scratch_store_b64 off, v[3:4], off
	scratch_store_b64 off, v[5:6], off offset:8
	v_dual_mov_b32 v14, s11 :: v_dual_mov_b32 v13, s10
	flat_load_b64 v[11:12], v[1:2]
	s_xor_b32 s10, s2, -1
	s_cbranch_vccnz .LBB101_2
; %bb.1:
	v_dual_mov_b32 v1, s8 :: v_dual_mov_b32 v2, s9
	flat_load_b64 v[13:14], v[1:2] offset:8
.LBB101_2:
	s_and_b32 s8, s2, exec_lo
	s_cselect_b32 s3, s3, s5
	s_delay_alu instid0(SALU_CYCLE_1) | instskip(SKIP_2) | instid1(VALU_DEP_2)
	v_dual_mov_b32 v1, 8 :: v_dual_mov_b32 v2, s3
	v_dual_mov_b32 v3, s6 :: v_dual_mov_b32 v4, s7
	s_and_not1_b32 vcc_lo, exec_lo, s10
	v_cndmask_b32_e64 v1, s4, v1, s2
	flat_load_b64 v[1:2], v[1:2]
	s_cbranch_vccnz .LBB101_4
; %bb.3:
	v_dual_mov_b32 v3, s4 :: v_dual_mov_b32 v4, s5
	flat_load_b64 v[3:4], v[3:4] offset:8
.LBB101_4:
	s_waitcnt vmcnt(1) lgkmcnt(1)
	v_cmp_eq_f64_e32 vcc_lo, 0, v[11:12]
	v_cmp_eq_f64_e64 s2, 0, v[13:14]
	s_delay_alu instid0(VALU_DEP_1)
	s_and_b32 s4, vcc_lo, s2
	s_mov_b32 s2, -1
	s_and_saveexec_b32 s3, s4
	s_cbranch_execz .LBB101_6
; %bb.5:
	s_waitcnt vmcnt(0) lgkmcnt(0)
	v_cmp_neq_f64_e32 vcc_lo, 1.0, v[1:2]
	v_cmp_neq_f64_e64 s2, 0, v[3:4]
	s_delay_alu instid0(VALU_DEP_1) | instskip(NEXT) | instid1(SALU_CYCLE_1)
	s_or_b32 s2, vcc_lo, s2
	s_or_not1_b32 s2, s2, exec_lo
.LBB101_6:
	s_or_b32 exec_lo, exec_lo, s3
	s_and_saveexec_b32 s3, s2
	s_cbranch_execz .LBB101_226
; %bb.7:
	s_load_b64 s[2:3], s[0:1], 0x10
	s_mov_b32 s4, 0
	s_ashr_i32 s13, s12, 31
	s_mov_b32 s5, s4
	s_mov_b32 s6, s4
	;; [unrolled: 1-line block ×3, first 2 shown]
	s_waitcnt vmcnt(0) lgkmcnt(0)
	v_dual_mov_b32 v1, s4 :: v_dual_mov_b32 v4, s7
	v_dual_mov_b32 v2, s5 :: v_dual_lshlrev_b32 v27, 4, v0
	v_mov_b32_e32 v3, s6
	s_lshl_b64 s[4:5], s[12:13], 2
	ds_store_b128 v27, v[1:4]
	ds_store_b128 v27, v[1:4] offset:4096
	ds_store_b128 v27, v[1:4] offset:8192
	;; [unrolled: 1-line block ×3, first 2 shown]
	s_waitcnt lgkmcnt(0)
	s_waitcnt_vscnt null, 0x0
	s_barrier
	buffer_gl0_inv
	v_subrev_nc_u32_e32 v28, s20, v0
	s_add_u32 s2, s2, s4
	s_addc_u32 s3, s3, s5
	s_load_b64 s[18:19], s[2:3], 0x0
	s_clause 0x1
	s_load_b64 s[16:17], s[0:1], 0x58
	s_load_b256 s[8:15], s[0:1], 0x28
	s_mov_b32 s2, -1
	s_waitcnt lgkmcnt(0)
	s_sub_i32 s21, s19, s18
	s_delay_alu instid0(SALU_CYCLE_1)
	s_cmp_gt_i32 s21, 2
	s_cbranch_scc1 .LBB101_53
; %bb.8:
	s_cmp_gt_i32 s19, s18
	s_cbranch_scc1 .LBB101_10
; %bb.9:
	s_ashr_i32 s3, s18, 31
	s_mov_b32 s2, s18
	s_delay_alu instid0(SALU_CYCLE_1) | instskip(NEXT) | instid1(SALU_CYCLE_1)
	s_lshl_b64 s[2:3], s[2:3], 2
	s_add_u32 s2, s8, s2
	s_addc_u32 s3, s9, s3
	s_load_b32 s26, s[2:3], 0x0
	s_cbranch_execz .LBB101_11
	s_branch .LBB101_40
.LBB101_10:
                                        ; implicit-def: $sgpr26
	s_and_not1_b32 vcc_lo, exec_lo, s2
	s_cbranch_vccnz .LBB101_40
.LBB101_11:
	s_ashr_i32 s3, s18, 31
	s_mov_b32 s2, s18
	v_cmp_gt_u32_e32 vcc_lo, 0x100, v0
	s_lshl_b64 s[2:3], s[2:3], 2
	v_cmp_gt_u32_e64 s4, 4, v0
	s_add_u32 s2, s8, s2
	s_addc_u32 s3, s9, s3
	v_cmp_eq_u32_e64 s5, 0, v0
	s_waitcnt lgkmcnt(0)
	s_load_b32 s26, s[2:3], 0x0
	v_cmp_gt_u32_e64 s2, 64, v0
	v_cmp_gt_u32_e64 s3, 16, v0
	v_mov_b32_e32 v15, 0
	s_add_u32 s27, s8, 4
	s_addc_u32 s28, s9, 0
	s_mov_b32 s22, s18
	s_waitcnt lgkmcnt(0)
	s_mov_b32 s29, s26
	s_branch .LBB101_13
.LBB101_12:                             ;   in Loop: Header=BB101_13 Depth=1
	s_or_b32 exec_lo, exec_lo, s7
	s_add_i32 s22, s22, 1
	s_delay_alu instid0(SALU_CYCLE_1)
	s_cmp_ge_i32 s22, s19
	s_cbranch_scc1 .LBB101_40
.LBB101_13:                             ; =>This Loop Header: Depth=1
                                        ;     Child Loop BB101_15 Depth 2
                                        ;     Child Loop BB101_29 Depth 2
                                        ;     Child Loop BB101_32 Depth 2
                                        ;     Child Loop BB101_35 Depth 2
                                        ;     Child Loop BB101_38 Depth 2
	s_ashr_i32 s23, s22, 31
	s_mov_b32 s24, s29
	s_lshl_b64 s[6:7], s[22:23], 2
	v_mov_b32_e32 v3, 0
	s_add_u32 s6, s27, s6
	s_addc_u32 s7, s28, s7
	v_dual_mov_b32 v4, 0 :: v_dual_add_nc_u32 v5, s24, v28
	s_load_b32 s29, s[6:7], 0x0
	v_mov_b32_e32 v1, v3
	s_mov_b32 s24, exec_lo
	s_delay_alu instid0(VALU_DEP_2) | instskip(SKIP_2) | instid1(SALU_CYCLE_1)
	v_mov_b32_e32 v2, v4
	s_waitcnt lgkmcnt(0)
	s_sub_i32 s25, s29, s20
	v_cmpx_gt_i32_e64 s25, v5
	s_cbranch_execz .LBB101_17
; %bb.14:                               ;   in Loop: Header=BB101_13 Depth=1
	v_ashrrev_i32_e32 v6, 31, v5
	v_mov_b32_e32 v3, 0
	v_mov_b32_e32 v4, 0
	s_mov_b32 s30, 0
	s_delay_alu instid0(VALU_DEP_3) | instskip(SKIP_1) | instid1(VALU_DEP_2)
	v_lshlrev_b64 v[1:2], 2, v[5:6]
	v_lshlrev_b64 v[8:9], 3, v[5:6]
	v_add_co_u32 v6, s6, s10, v1
	s_delay_alu instid0(VALU_DEP_1) | instskip(NEXT) | instid1(VALU_DEP_3)
	v_add_co_ci_u32_e64 v7, s6, s11, v2, s6
	v_add_co_u32 v8, s6, s12, v8
	s_delay_alu instid0(VALU_DEP_1)
	v_add_co_ci_u32_e64 v9, s6, s13, v9, s6
	v_dual_mov_b32 v1, v3 :: v_dual_mov_b32 v2, v4
	s_set_inst_prefetch_distance 0x1
	.p2align	6
.LBB101_15:                             ;   Parent Loop BB101_13 Depth=1
                                        ; =>  This Inner Loop Header: Depth=2
	global_load_b32 v10, v[6:7], off
	v_add_nc_u32_e32 v5, 0x100, v5
	s_waitcnt vmcnt(0)
	v_subrev_nc_u32_e32 v16, s20, v10
	s_delay_alu instid0(VALU_DEP_1) | instskip(NEXT) | instid1(VALU_DEP_1)
	v_ashrrev_i32_e32 v17, 31, v16
	v_lshlrev_b64 v[16:17], 4, v[16:17]
	s_delay_alu instid0(VALU_DEP_1) | instskip(NEXT) | instid1(VALU_DEP_1)
	v_add_co_u32 v16, s6, s14, v16
	v_add_co_ci_u32_e64 v17, s6, s15, v17, s6
	v_add_co_u32 v6, s6, 0x400, v6
	global_load_b64 v[20:21], v[8:9], off
	global_load_b128 v[16:19], v[16:17], off
	v_add_co_ci_u32_e64 v7, s6, 0, v7, s6
	v_cmp_le_i32_e64 s6, s25, v5
	v_add_co_u32 v8, s7, 0x800, v8
	s_delay_alu instid0(VALU_DEP_1) | instskip(NEXT) | instid1(VALU_DEP_3)
	v_add_co_ci_u32_e64 v9, s7, 0, v9, s7
	s_or_b32 s30, s6, s30
	s_waitcnt vmcnt(0)
	v_fma_f64 v[1:2], v[20:21], v[16:17], v[1:2]
	v_fma_f64 v[3:4], v[16:17], 0, v[3:4]
	s_delay_alu instid0(VALU_DEP_2) | instskip(NEXT) | instid1(VALU_DEP_2)
	v_fma_f64 v[1:2], 0x80000000, v[18:19], v[1:2]
	v_fma_f64 v[3:4], v[20:21], v[18:19], v[3:4]
	s_and_not1_b32 exec_lo, exec_lo, s30
	s_cbranch_execnz .LBB101_15
; %bb.16:                               ;   in Loop: Header=BB101_13 Depth=1
	s_set_inst_prefetch_distance 0x2
	s_or_b32 exec_lo, exec_lo, s30
.LBB101_17:                             ;   in Loop: Header=BB101_13 Depth=1
	s_delay_alu instid0(SALU_CYCLE_1)
	s_or_b32 exec_lo, exec_lo, s24
	ds_store_b128 v27, v[1:4]
	s_waitcnt lgkmcnt(0)
	s_barrier
	buffer_gl0_inv
	s_and_saveexec_b32 s6, vcc_lo
	s_cbranch_execz .LBB101_19
; %bb.18:                               ;   in Loop: Header=BB101_13 Depth=1
	ds_load_b128 v[1:4], v27 offset:4096
	ds_load_b128 v[5:8], v27 offset:8192
	ds_load_b128 v[16:19], v27 offset:12288
	ds_load_b128 v[20:23], v27
	s_waitcnt lgkmcnt(2)
	v_add_f64 v[1:2], v[5:6], v[1:2]
	v_add_f64 v[3:4], v[7:8], v[3:4]
	s_waitcnt lgkmcnt(1)
	s_delay_alu instid0(VALU_DEP_2) | instskip(NEXT) | instid1(VALU_DEP_2)
	v_add_f64 v[1:2], v[1:2], v[16:17]
	v_add_f64 v[3:4], v[3:4], v[18:19]
	s_waitcnt lgkmcnt(0)
	s_delay_alu instid0(VALU_DEP_2) | instskip(NEXT) | instid1(VALU_DEP_2)
	v_add_f64 v[1:2], v[1:2], v[20:21]
	v_add_f64 v[3:4], v[3:4], v[22:23]
	ds_store_b128 v27, v[1:4]
.LBB101_19:                             ;   in Loop: Header=BB101_13 Depth=1
	s_or_b32 exec_lo, exec_lo, s6
	s_waitcnt lgkmcnt(0)
	s_barrier
	buffer_gl0_inv
	s_and_saveexec_b32 s6, s2
	s_cbranch_execz .LBB101_21
; %bb.20:                               ;   in Loop: Header=BB101_13 Depth=1
	ds_load_b128 v[1:4], v27 offset:1024
	ds_load_b128 v[5:8], v27 offset:2048
	ds_load_b128 v[16:19], v27 offset:3072
	ds_load_b128 v[20:23], v27
	s_waitcnt lgkmcnt(2)
	v_add_f64 v[1:2], v[5:6], v[1:2]
	v_add_f64 v[3:4], v[7:8], v[3:4]
	s_waitcnt lgkmcnt(1)
	s_delay_alu instid0(VALU_DEP_2) | instskip(NEXT) | instid1(VALU_DEP_2)
	v_add_f64 v[1:2], v[1:2], v[16:17]
	v_add_f64 v[3:4], v[3:4], v[18:19]
	s_waitcnt lgkmcnt(0)
	s_delay_alu instid0(VALU_DEP_2) | instskip(NEXT) | instid1(VALU_DEP_2)
	v_add_f64 v[1:2], v[1:2], v[20:21]
	v_add_f64 v[3:4], v[3:4], v[22:23]
	ds_store_b128 v27, v[1:4]
.LBB101_21:                             ;   in Loop: Header=BB101_13 Depth=1
	s_or_b32 exec_lo, exec_lo, s6
	s_waitcnt lgkmcnt(0)
	s_barrier
	buffer_gl0_inv
	s_and_saveexec_b32 s6, s3
	;; [unrolled: 24-line block ×5, first 2 shown]
	s_cbranch_execz .LBB101_12
; %bb.28:                               ;   in Loop: Header=BB101_13 Depth=1
	ds_load_b128 v[1:4], v15
	v_mov_b32_e32 v9, 0
	v_bfrev_b32_e32 v10, 1
	s_mov_b32 s6, exec_lo
	s_waitcnt lgkmcnt(0)
	v_mul_f64 v[5:6], v[3:4], -v[13:14]
	s_delay_alu instid0(VALU_DEP_1)
	v_fma_f64 v[5:6], v[11:12], v[1:2], v[5:6]
.LBB101_29:                             ;   Parent Loop BB101_13 Depth=1
                                        ; =>  This Inner Loop Header: Depth=2
	s_ctz_i32_b32 s30, s6
	s_delay_alu instid0(VALU_DEP_1) | instid1(SALU_CYCLE_1)
	v_readlane_b32 s25, v6, s30
	s_delay_alu instid0(VALU_DEP_2) | instskip(NEXT) | instid1(VALU_DEP_1)
	v_readlane_b32 s24, v5, s30
	v_add_f64 v[9:10], v[9:10], s[24:25]
	s_lshl_b32 s24, 1, s30
	s_delay_alu instid0(SALU_CYCLE_1) | instskip(NEXT) | instid1(SALU_CYCLE_1)
	s_and_not1_b32 s6, s6, s24
	s_cmp_lg_u32 s6, 0
	s_cbranch_scc1 .LBB101_29
; %bb.30:                               ;   in Loop: Header=BB101_13 Depth=1
	v_mbcnt_lo_u32_b32 v5, exec_lo, 0
	s_lshl_b64 s[24:25], s[22:23], 4
	s_mov_b32 s23, exec_lo
	s_add_u32 s24, s16, s24
	s_addc_u32 s25, s17, s25
	v_cmpx_eq_u32_e32 0, v5
	s_xor_b32 s23, exec_lo, s23
	s_cbranch_execz .LBB101_34
; %bb.31:                               ;   in Loop: Header=BB101_13 Depth=1
	global_load_b64 v[7:8], v15, s[24:25]
	s_mov_b32 s30, 0
.LBB101_32:                             ;   Parent Loop BB101_13 Depth=1
                                        ; =>  This Inner Loop Header: Depth=2
	s_waitcnt vmcnt(0)
	v_add_f64 v[5:6], v[7:8], v[9:10]
	global_atomic_cmpswap_b64 v[5:6], v15, v[5:8], s[24:25] glc
	s_waitcnt vmcnt(0)
	v_cmp_eq_u64_e64 s6, v[5:6], v[7:8]
	v_dual_mov_b32 v8, v6 :: v_dual_mov_b32 v7, v5
	s_delay_alu instid0(VALU_DEP_2) | instskip(NEXT) | instid1(SALU_CYCLE_1)
	s_or_b32 s30, s6, s30
	s_and_not1_b32 exec_lo, exec_lo, s30
	s_cbranch_execnz .LBB101_32
; %bb.33:                               ;   in Loop: Header=BB101_13 Depth=1
	s_or_b32 exec_lo, exec_lo, s30
.LBB101_34:                             ;   in Loop: Header=BB101_13 Depth=1
	s_delay_alu instid0(SALU_CYCLE_1) | instskip(SKIP_4) | instid1(VALU_DEP_3)
	s_or_b32 exec_lo, exec_lo, s23
	v_mul_f64 v[3:4], v[11:12], v[3:4]
	v_mov_b32_e32 v5, 0
	v_bfrev_b32_e32 v6, 1
	s_mov_b32 s6, exec_lo
	v_fma_f64 v[1:2], v[13:14], v[1:2], v[3:4]
.LBB101_35:                             ;   Parent Loop BB101_13 Depth=1
                                        ; =>  This Inner Loop Header: Depth=2
	s_ctz_i32_b32 s23, s6
	s_delay_alu instid0(VALU_DEP_1) | instid1(SALU_CYCLE_1)
	v_readlane_b32 s31, v2, s23
	s_delay_alu instid0(VALU_DEP_2) | instskip(SKIP_1) | instid1(SALU_CYCLE_1)
	v_readlane_b32 s30, v1, s23
	s_lshl_b32 s23, 1, s23
	s_and_not1_b32 s6, s6, s23
	s_delay_alu instid0(VALU_DEP_1)
	v_add_f64 v[5:6], v[5:6], s[30:31]
	s_cmp_lg_u32 s6, 0
	s_cbranch_scc1 .LBB101_35
; %bb.36:                               ;   in Loop: Header=BB101_13 Depth=1
	v_mbcnt_lo_u32_b32 v1, exec_lo, 0
	s_mov_b32 s23, exec_lo
	s_delay_alu instid0(VALU_DEP_1)
	v_cmpx_eq_u32_e32 0, v1
	s_xor_b32 s23, exec_lo, s23
	s_cbranch_execz .LBB101_12
; %bb.37:                               ;   in Loop: Header=BB101_13 Depth=1
	global_load_b64 v[3:4], v15, s[24:25] offset:8
	s_mov_b32 s23, 0
.LBB101_38:                             ;   Parent Loop BB101_13 Depth=1
                                        ; =>  This Inner Loop Header: Depth=2
	s_waitcnt vmcnt(0)
	v_add_f64 v[1:2], v[3:4], v[5:6]
	global_atomic_cmpswap_b64 v[1:2], v15, v[1:4], s[24:25] offset:8 glc
	s_waitcnt vmcnt(0)
	v_cmp_eq_u64_e64 s6, v[1:2], v[3:4]
	v_dual_mov_b32 v4, v2 :: v_dual_mov_b32 v3, v1
	s_delay_alu instid0(VALU_DEP_2) | instskip(NEXT) | instid1(SALU_CYCLE_1)
	s_or_b32 s23, s6, s23
	s_and_not1_b32 exec_lo, exec_lo, s23
	s_cbranch_execnz .LBB101_38
; %bb.39:                               ;   in Loop: Header=BB101_13 Depth=1
	s_or_b32 exec_lo, exec_lo, s23
	s_branch .LBB101_12
.LBB101_40:
	s_ashr_i32 s3, s19, 31
	s_mov_b32 s2, s19
	s_waitcnt lgkmcnt(0)
	v_add_nc_u32_e32 v9, s26, v28
	s_lshl_b64 s[2:3], s[2:3], 2
	s_mov_b32 s4, exec_lo
	s_add_u32 s2, s8, s2
	s_addc_u32 s3, s9, s3
	s_load_b32 s2, s[2:3], 0x0
	s_waitcnt lgkmcnt(0)
	s_sub_i32 s3, s2, s20
	s_delay_alu instid0(SALU_CYCLE_1)
	v_cmpx_gt_i32_e64 s3, v9
	s_cbranch_execz .LBB101_52
; %bb.41:
	v_mul_f64 v[15:16], 0x80000000, v[13:14]
	v_mul_f64 v[17:18], v[11:12], 0
	s_add_i32 s5, s19, -1
	s_mov_b32 s7, 0
	s_cmp_gt_i32 s5, s18
	s_cselect_b32 s2, -1, 0
	s_add_i32 s6, s19, -2
	s_delay_alu instid0(SALU_CYCLE_1) | instskip(SKIP_1) | instid1(SALU_CYCLE_1)
	s_cmp_lg_u32 s6, s18
	s_cselect_b32 s6, -1, 0
	s_and_b32 s6, s2, s6
	s_branch .LBB101_43
.LBB101_42:                             ;   in Loop: Header=BB101_43 Depth=1
	s_or_b32 exec_lo, exec_lo, s2
	v_add_nc_u32_e32 v9, 0x100, v9
	s_delay_alu instid0(VALU_DEP_1) | instskip(SKIP_1) | instid1(SALU_CYCLE_1)
	v_cmp_le_i32_e32 vcc_lo, s3, v9
	s_or_b32 s7, vcc_lo, s7
	s_and_not1_b32 exec_lo, exec_lo, s7
	s_cbranch_execz .LBB101_52
.LBB101_43:                             ; =>This Loop Header: Depth=1
                                        ;     Child Loop BB101_45 Depth 2
                                        ;     Child Loop BB101_49 Depth 2
	;; [unrolled: 1-line block ×3, first 2 shown]
	v_mov_b32_e32 v3, s18
	v_mov_b32_e32 v1, s5
	s_and_not1_b32 vcc_lo, exec_lo, s6
	s_cbranch_vccnz .LBB101_47
; %bb.44:                               ;   in Loop: Header=BB101_43 Depth=1
	v_mov_b32_e32 v3, s18
	v_mov_b32_e32 v1, s5
	s_mov_b32 s22, 0
	.p2align	6
.LBB101_45:                             ;   Parent Loop BB101_43 Depth=1
                                        ; =>  This Inner Loop Header: Depth=2
	s_delay_alu instid0(VALU_DEP_1) | instskip(NEXT) | instid1(VALU_DEP_1)
	v_add_nc_u32_e32 v2, v1, v3
	v_lshrrev_b32_e32 v4, 31, v2
	s_delay_alu instid0(VALU_DEP_1) | instskip(NEXT) | instid1(VALU_DEP_1)
	v_add_nc_u32_e32 v2, v2, v4
	v_ashrrev_i32_e32 v4, 1, v2
	s_delay_alu instid0(VALU_DEP_1) | instskip(NEXT) | instid1(VALU_DEP_1)
	v_ashrrev_i32_e32 v5, 31, v4
	v_lshlrev_b64 v[5:6], 2, v[4:5]
	s_delay_alu instid0(VALU_DEP_1) | instskip(NEXT) | instid1(VALU_DEP_2)
	v_add_co_u32 v5, vcc_lo, s8, v5
	v_add_co_ci_u32_e32 v6, vcc_lo, s9, v6, vcc_lo
	global_load_b32 v2, v[5:6], off
	s_waitcnt vmcnt(0)
	v_subrev_nc_u32_e32 v2, s20, v2
	s_delay_alu instid0(VALU_DEP_1) | instskip(SKIP_2) | instid1(VALU_DEP_1)
	v_cmp_gt_i32_e32 vcc_lo, v2, v9
	v_cndmask_b32_e32 v3, v4, v3, vcc_lo
	v_cndmask_b32_e32 v1, v1, v4, vcc_lo
	v_add_nc_u32_e32 v2, -1, v1
	s_delay_alu instid0(VALU_DEP_3) | instskip(NEXT) | instid1(VALU_DEP_2)
	v_cmp_ge_i32_e32 vcc_lo, v3, v1
	v_cmp_eq_u32_e64 s2, v3, v2
	s_delay_alu instid0(VALU_DEP_1) | instskip(NEXT) | instid1(SALU_CYCLE_1)
	s_or_b32 s2, vcc_lo, s2
	s_and_b32 s2, exec_lo, s2
	s_delay_alu instid0(SALU_CYCLE_1) | instskip(NEXT) | instid1(SALU_CYCLE_1)
	s_or_b32 s22, s2, s22
	s_and_not1_b32 exec_lo, exec_lo, s22
	s_cbranch_execnz .LBB101_45
; %bb.46:                               ;   in Loop: Header=BB101_43 Depth=1
	s_or_b32 exec_lo, exec_lo, s22
.LBB101_47:                             ;   in Loop: Header=BB101_43 Depth=1
	s_delay_alu instid0(VALU_DEP_1) | instskip(SKIP_2) | instid1(VALU_DEP_2)
	v_ashrrev_i32_e32 v2, 31, v1
	v_ashrrev_i32_e32 v10, 31, v9
	s_mov_b32 s2, exec_lo
	v_lshlrev_b64 v[4:5], 2, v[1:2]
	s_delay_alu instid0(VALU_DEP_2) | instskip(NEXT) | instid1(VALU_DEP_2)
	v_lshlrev_b64 v[6:7], 2, v[9:10]
	v_add_co_u32 v4, vcc_lo, s8, v4
	s_delay_alu instid0(VALU_DEP_3)
	v_add_co_ci_u32_e32 v5, vcc_lo, s9, v5, vcc_lo
	global_load_b32 v2, v[4:5], off
	v_add_co_u32 v4, vcc_lo, s10, v6
	v_add_co_ci_u32_e32 v5, vcc_lo, s11, v7, vcc_lo
	global_load_b32 v4, v[4:5], off
	s_waitcnt vmcnt(1)
	v_subrev_nc_u32_e32 v2, s20, v2
	s_delay_alu instid0(VALU_DEP_1) | instskip(SKIP_3) | instid1(VALU_DEP_1)
	v_cmp_gt_i32_e32 vcc_lo, v2, v9
	s_waitcnt vmcnt(0)
	v_subrev_nc_u32_e32 v5, s20, v4
	v_cndmask_b32_e32 v1, v1, v3, vcc_lo
	v_cmpx_ne_u32_e64 v5, v1
	s_cbranch_execz .LBB101_42
; %bb.48:                               ;   in Loop: Header=BB101_43 Depth=1
	v_lshlrev_b64 v[2:3], 3, v[9:10]
	v_ashrrev_i32_e32 v6, 31, v5
	s_mov_b32 s22, 0
	s_delay_alu instid0(VALU_DEP_1) | instskip(NEXT) | instid1(VALU_DEP_3)
	v_lshlrev_b64 v[5:6], 4, v[5:6]
	v_add_co_u32 v2, vcc_lo, s12, v2
	s_delay_alu instid0(VALU_DEP_4) | instskip(SKIP_2) | instid1(VALU_DEP_1)
	v_add_co_ci_u32_e32 v3, vcc_lo, s13, v3, vcc_lo
	global_load_b64 v[23:24], v[2:3], off
	v_ashrrev_i32_e32 v2, 31, v1
	v_lshlrev_b64 v[1:2], 4, v[1:2]
	s_delay_alu instid0(VALU_DEP_1) | instskip(NEXT) | instid1(VALU_DEP_2)
	v_add_co_u32 v1, vcc_lo, s14, v1
	v_add_co_ci_u32_e32 v2, vcc_lo, s15, v2, vcc_lo
	v_add_co_u32 v19, vcc_lo, s16, v5
	v_add_co_ci_u32_e32 v20, vcc_lo, s17, v6, vcc_lo
	global_load_b128 v[1:4], v[1:2], off
	global_load_b64 v[7:8], v[19:20], off
	s_waitcnt vmcnt(2)
	v_fma_f64 v[21:22], v[13:14], v[23:24], v[17:18]
	v_fma_f64 v[23:24], v[11:12], v[23:24], v[15:16]
	s_waitcnt vmcnt(1)
	s_delay_alu instid0(VALU_DEP_2) | instskip(NEXT) | instid1(VALU_DEP_1)
	v_mul_f64 v[5:6], v[3:4], -v[21:22]
	v_fma_f64 v[25:26], v[23:24], v[1:2], v[5:6]
.LBB101_49:                             ;   Parent Loop BB101_43 Depth=1
                                        ; =>  This Inner Loop Header: Depth=2
	s_waitcnt vmcnt(0)
	s_delay_alu instid0(VALU_DEP_1)
	v_add_f64 v[5:6], v[7:8], v[25:26]
	global_atomic_cmpswap_b64 v[5:6], v[19:20], v[5:8], off glc
	s_waitcnt vmcnt(0)
	v_cmp_eq_u64_e32 vcc_lo, v[5:6], v[7:8]
	v_dual_mov_b32 v8, v6 :: v_dual_mov_b32 v7, v5
	s_or_b32 s22, vcc_lo, s22
	s_delay_alu instid0(SALU_CYCLE_1)
	s_and_not1_b32 exec_lo, exec_lo, s22
	s_cbranch_execnz .LBB101_49
; %bb.50:                               ;   in Loop: Header=BB101_43 Depth=1
	s_or_b32 exec_lo, exec_lo, s22
	global_load_b64 v[5:6], v[19:20], off offset:8
	v_mul_f64 v[3:4], v[23:24], v[3:4]
	s_mov_b32 s22, 0
	s_delay_alu instid0(VALU_DEP_1)
	v_fma_f64 v[1:2], v[21:22], v[1:2], v[3:4]
.LBB101_51:                             ;   Parent Loop BB101_43 Depth=1
                                        ; =>  This Inner Loop Header: Depth=2
	s_waitcnt vmcnt(0)
	s_delay_alu instid0(VALU_DEP_1)
	v_add_f64 v[3:4], v[5:6], v[1:2]
	global_atomic_cmpswap_b64 v[3:4], v[19:20], v[3:6], off offset:8 glc
	s_waitcnt vmcnt(0)
	v_cmp_eq_u64_e32 vcc_lo, v[3:4], v[5:6]
	v_dual_mov_b32 v6, v4 :: v_dual_mov_b32 v5, v3
	s_or_b32 s22, vcc_lo, s22
	s_delay_alu instid0(SALU_CYCLE_1)
	s_and_not1_b32 exec_lo, exec_lo, s22
	s_cbranch_execnz .LBB101_51
	s_branch .LBB101_42
.LBB101_52:
	s_or_b32 exec_lo, exec_lo, s4
	s_mov_b32 s2, 0
.LBB101_53:
	s_delay_alu instid0(SALU_CYCLE_1)
	s_and_b32 vcc_lo, exec_lo, s2
	s_cbranch_vccz .LBB101_226
; %bb.54:
	s_ashr_i32 s3, s18, 31
	s_mov_b32 s2, s18
	s_sub_i32 s7, 0, s21
	s_lshl_b64 s[2:3], s[2:3], 2
	v_cvt_f32_u32_e32 v1, s21
	s_add_u32 s2, s8, s2
	s_addc_u32 s3, s9, s3
	s_load_b32 s22, s[2:3], 0x0
	s_delay_alu instid0(VALU_DEP_1)
	v_rcp_iflag_f32_e32 v1, v1
	s_clause 0x1
	s_load_b64 s[4:5], s[0:1], 0x4
	s_load_b32 s1, s[0:1], 0x74
	s_waitcnt_depctr 0xfff
	v_mul_f32_e32 v1, 0x4f7ffffe, v1
	s_delay_alu instid0(VALU_DEP_1) | instskip(SKIP_2) | instid1(VALU_DEP_2)
	v_cvt_u32_f32_e32 v1, v1
	s_waitcnt lgkmcnt(0)
	v_add_nc_u32_e32 v9, s22, v28
	v_readfirstlane_b32 s6, v1
	s_delay_alu instid0(VALU_DEP_2) | instskip(NEXT) | instid1(VALU_DEP_2)
	v_add_nc_u32_e32 v20, 0x300, v9
	s_mul_i32 s7, s7, s6
	s_delay_alu instid0(SALU_CYCLE_1) | instskip(NEXT) | instid1(VALU_DEP_1)
	s_mul_hi_u32 s7, s6, s7
	v_cmp_le_i32_e32 vcc_lo, s4, v20
	s_and_saveexec_b32 s0, vcc_lo
	s_delay_alu instid0(SALU_CYCLE_1)
	s_xor_b32 s4, exec_lo, s0
	s_cbranch_execz .LBB101_59
; %bb.55:
	s_ashr_i32 s25, s19, 31
	s_mov_b32 s24, s19
	s_delay_alu instid0(SALU_CYCLE_1) | instskip(NEXT) | instid1(SALU_CYCLE_1)
	s_lshl_b64 s[24:25], s[24:25], 2
	s_add_u32 s24, s8, s24
	s_addc_u32 s25, s9, s25
	s_load_b32 s0, s[24:25], 0x0
	s_mov_b32 s24, exec_lo
	s_waitcnt lgkmcnt(0)
	s_sub_i32 s23, s0, s22
	s_delay_alu instid0(SALU_CYCLE_1)
	v_cmpx_gt_i32_e64 s23, v0
	s_cbranch_execz .LBB101_58
; %bb.56:
	v_mul_f64 v[1:2], 0x80000000, v[13:14]
	v_mul_f64 v[3:4], v[11:12], 0
	v_dual_mov_b32 v5, v0 :: v_dual_mov_b32 v6, v27
	s_sub_i32 s25, s22, s20
	s_mov_b32 s26, 0
	.p2align	6
.LBB101_57:                             ; =>This Inner Loop Header: Depth=1
	s_delay_alu instid0(VALU_DEP_1) | instskip(SKIP_1) | instid1(VALU_DEP_2)
	v_add_nc_u32_e32 v7, s25, v5
	v_add_nc_u32_e32 v5, 0x100, v5
	v_ashrrev_i32_e32 v8, 31, v7
	s_delay_alu instid0(VALU_DEP_1) | instskip(NEXT) | instid1(VALU_DEP_1)
	v_lshlrev_b64 v[7:8], 3, v[7:8]
	v_add_co_u32 v7, s0, s12, v7
	s_delay_alu instid0(VALU_DEP_1)
	v_add_co_ci_u32_e64 v8, s0, s13, v8, s0
	v_cmp_le_i32_e64 s0, s23, v5
	global_load_b64 v[7:8], v[7:8], off
	s_or_b32 s26, s0, s26
	s_waitcnt vmcnt(0)
	v_fma_f64 v[15:16], v[11:12], v[7:8], v[1:2]
	v_fma_f64 v[17:18], v[13:14], v[7:8], v[3:4]
	ds_store_b128 v6, v[15:18]
	v_add_nc_u32_e32 v6, 0x1000, v6
	s_and_not1_b32 exec_lo, exec_lo, s26
	s_cbranch_execnz .LBB101_57
.LBB101_58:
	s_or_b32 exec_lo, exec_lo, s24
                                        ; implicit-def: $vgpr13_vgpr14
                                        ; implicit-def: $vgpr11_vgpr12
.LBB101_59:
	s_or_saveexec_b32 s4, s4
	v_ashrrev_i32_e32 v10, 31, v9
	s_and_b32 s1, s1, 0xffff
	s_add_i32 s6, s6, s7
	s_xor_b32 exec_lo, exec_lo, s4
	s_cbranch_execz .LBB101_61
; %bb.60:
	v_lshlrev_b64 v[1:2], 3, v[9:10]
	v_mul_f64 v[23:24], 0x80000000, v[13:14]
	v_mul_f64 v[25:26], v[11:12], 0
	s_delay_alu instid0(VALU_DEP_3) | instskip(NEXT) | instid1(VALU_DEP_1)
	v_add_co_u32 v1, s0, s12, v1
	v_add_co_ci_u32_e64 v2, s0, s13, v2, s0
	s_delay_alu instid0(VALU_DEP_2) | instskip(NEXT) | instid1(VALU_DEP_1)
	v_add_co_u32 v3, s0, 0x1000, v1
	v_add_co_ci_u32_e64 v4, s0, 0, v2, s0
	s_clause 0x3
	global_load_b64 v[5:6], v[1:2], off
	global_load_b64 v[7:8], v[1:2], off offset:2048
	global_load_b64 v[17:18], v[3:4], off
	global_load_b64 v[21:22], v[3:4], off offset:2048
	s_waitcnt vmcnt(3)
	v_fma_f64 v[1:2], v[11:12], v[5:6], v[23:24]
	v_fma_f64 v[3:4], v[13:14], v[5:6], v[25:26]
	s_waitcnt vmcnt(2)
	v_fma_f64 v[5:6], v[11:12], v[7:8], v[23:24]
	v_fma_f64 v[7:8], v[13:14], v[7:8], v[25:26]
	;; [unrolled: 3-line block ×4, first 2 shown]
	ds_store_b128 v27, v[1:4]
	ds_store_b128 v27, v[5:8] offset:4096
	ds_store_b128 v27, v[15:18] offset:8192
	ds_store_b128 v27, v[11:14] offset:12288
.LBB101_61:
	s_or_b32 exec_lo, exec_lo, s4
	s_mul_hi_u32 s4, s1, s6
	s_mov_b32 s12, exec_lo
	v_cmpx_gt_i32_e64 s5, v0
	s_cbranch_execz .LBB101_64
; %bb.62:
	s_mov_b32 s6, 0
	v_lshl_add_u32 v5, v0, 4, 0x4000
	s_mov_b32 s7, s6
	s_mov_b32 s24, s6
	;; [unrolled: 1-line block ×3, first 2 shown]
	v_dual_mov_b32 v1, s6 :: v_dual_mov_b32 v2, s7
	v_dual_mov_b32 v3, s24 :: v_dual_mov_b32 v4, s25
	v_mov_b32_e32 v6, v0
.LBB101_63:                             ; =>This Inner Loop Header: Depth=1
	s_delay_alu instid0(VALU_DEP_1) | instskip(SKIP_3) | instid1(VALU_DEP_1)
	v_add_nc_u32_e32 v6, 0x100, v6
	ds_store_2addr_b64 v5, v[1:2], v[3:4] offset1:1
	v_add_nc_u32_e32 v5, 0x1000, v5
	v_cmp_le_i32_e64 s0, s5, v6
	s_or_b32 s6, s0, s6
	s_delay_alu instid0(SALU_CYCLE_1)
	s_and_not1_b32 exec_lo, exec_lo, s6
	s_cbranch_execnz .LBB101_63
.LBB101_64:
	s_or_b32 exec_lo, exec_lo, s12
	s_sub_i32 s0, s19, s5
	s_cmp_ge_i32 s19, s5
	s_waitcnt lgkmcnt(0)
	s_cselect_b32 s12, s0, 0
	s_barrier
	buffer_gl0_inv
	s_and_saveexec_b32 s0, vcc_lo
	s_delay_alu instid0(SALU_CYCLE_1)
	s_xor_b32 s6, exec_lo, s0
	s_cbranch_execz .LBB101_89
; %bb.65:
	s_ashr_i32 s25, s19, 31
	s_mov_b32 s24, s19
	s_mov_b32 s13, exec_lo
	s_lshl_b64 s[24:25], s[24:25], 2
	s_delay_alu instid0(SALU_CYCLE_1) | instskip(SKIP_4) | instid1(SALU_CYCLE_1)
	s_add_u32 s24, s8, s24
	s_addc_u32 s25, s9, s25
	s_load_b32 s0, s[24:25], 0x0
	s_waitcnt lgkmcnt(0)
	s_sub_i32 s7, s0, s22
	v_cmpx_gt_i32_e64 s7, v0
	s_cbranch_execz .LBB101_88
; %bb.66:
	s_add_i32 s23, s19, -1
	s_mov_b32 s26, 0
	s_cmp_gt_i32 s23, s18
	s_mov_b32 s27, 0
	s_cselect_b32 s24, -1, 0
	s_add_i32 s25, s19, -2
	s_delay_alu instid0(SALU_CYCLE_1) | instskip(SKIP_1) | instid1(SALU_CYCLE_1)
	s_cmp_lg_u32 s25, s18
	s_cselect_b32 s25, -1, 0
	s_and_b32 s24, s24, s25
	s_sub_i32 s25, s0, s20
	s_branch .LBB101_69
.LBB101_67:                             ;   in Loop: Header=BB101_69 Depth=1
	s_or_b32 exec_lo, exec_lo, s0
.LBB101_68:                             ;   in Loop: Header=BB101_69 Depth=1
	s_delay_alu instid0(SALU_CYCLE_1) | instskip(SKIP_2) | instid1(VALU_DEP_1)
	s_or_b32 exec_lo, exec_lo, s28
	v_ashrrev_i32_e32 v11, 31, v10
	s_addk_i32 s27, 0x100
	v_lshlrev_b64 v[5:6], 4, v[10:11]
	s_delay_alu instid0(VALU_DEP_1) | instskip(NEXT) | instid1(VALU_DEP_2)
	v_add_co_u32 v5, vcc_lo, s14, v5
	v_add_co_ci_u32_e32 v6, vcc_lo, s15, v6, vcc_lo
	global_load_b128 v[5:8], v[5:6], off
	s_waitcnt vmcnt(0)
	v_mul_f64 v[10:11], v[7:8], v[12:13]
	v_mul_f64 v[7:8], v[7:8], v[1:2]
	s_delay_alu instid0(VALU_DEP_2) | instskip(NEXT) | instid1(VALU_DEP_2)
	v_fma_f64 v[1:2], v[1:2], v[5:6], v[10:11]
	v_fma_f64 v[3:4], v[3:4], v[5:6], v[7:8]
	v_add_nc_u32_e32 v5, s27, v0
	s_delay_alu instid0(VALU_DEP_1)
	v_cmp_le_i32_e32 vcc_lo, s7, v5
	s_or_b32 s26, vcc_lo, s26
	ds_store_b128 v20, v[1:4]
	s_and_not1_b32 exec_lo, exec_lo, s26
	s_cbranch_execz .LBB101_88
.LBB101_69:                             ; =>This Loop Header: Depth=1
                                        ;     Child Loop BB101_71 Depth 2
                                        ;     Child Loop BB101_78 Depth 2
	;; [unrolled: 1-line block ×5, first 2 shown]
	v_add_nc_u32_e32 v1, s27, v9
	v_mov_b32_e32 v5, s18
	v_mov_b32_e32 v3, s23
	s_and_not1_b32 vcc_lo, exec_lo, s24
	s_cbranch_vccnz .LBB101_73
; %bb.70:                               ;   in Loop: Header=BB101_69 Depth=1
	v_mov_b32_e32 v5, s18
	v_mov_b32_e32 v3, s23
	s_mov_b32 s28, 0
	.p2align	6
.LBB101_71:                             ;   Parent Loop BB101_69 Depth=1
                                        ; =>  This Inner Loop Header: Depth=2
	s_delay_alu instid0(VALU_DEP_1) | instskip(NEXT) | instid1(VALU_DEP_1)
	v_add_nc_u32_e32 v2, v3, v5
	v_lshrrev_b32_e32 v4, 31, v2
	s_delay_alu instid0(VALU_DEP_1) | instskip(NEXT) | instid1(VALU_DEP_1)
	v_add_nc_u32_e32 v2, v2, v4
	v_ashrrev_i32_e32 v6, 1, v2
	s_delay_alu instid0(VALU_DEP_1) | instskip(NEXT) | instid1(VALU_DEP_1)
	v_ashrrev_i32_e32 v7, 31, v6
	v_lshlrev_b64 v[7:8], 2, v[6:7]
	s_delay_alu instid0(VALU_DEP_1) | instskip(NEXT) | instid1(VALU_DEP_2)
	v_add_co_u32 v7, vcc_lo, s8, v7
	v_add_co_ci_u32_e32 v8, vcc_lo, s9, v8, vcc_lo
	global_load_b32 v2, v[7:8], off
	s_waitcnt vmcnt(0)
	v_subrev_nc_u32_e32 v2, s20, v2
	s_delay_alu instid0(VALU_DEP_1) | instskip(SKIP_1) | instid1(VALU_DEP_1)
	v_cmp_gt_i32_e32 vcc_lo, v2, v1
	v_cndmask_b32_e32 v3, v3, v6, vcc_lo
	v_dual_cndmask_b32 v5, v6, v5 :: v_dual_add_nc_u32 v2, -1, v3
	s_delay_alu instid0(VALU_DEP_1) | instskip(NEXT) | instid1(VALU_DEP_2)
	v_cmp_ge_i32_e32 vcc_lo, v5, v3
	v_cmp_eq_u32_e64 s0, v5, v2
	s_delay_alu instid0(VALU_DEP_1) | instskip(NEXT) | instid1(SALU_CYCLE_1)
	s_or_b32 s0, vcc_lo, s0
	s_and_b32 s0, exec_lo, s0
	s_delay_alu instid0(SALU_CYCLE_1) | instskip(NEXT) | instid1(SALU_CYCLE_1)
	s_or_b32 s28, s0, s28
	s_and_not1_b32 exec_lo, exec_lo, s28
	s_cbranch_execnz .LBB101_71
; %bb.72:                               ;   in Loop: Header=BB101_69 Depth=1
	s_or_b32 exec_lo, exec_lo, s28
.LBB101_73:                             ;   in Loop: Header=BB101_69 Depth=1
	s_delay_alu instid0(VALU_DEP_1) | instskip(SKIP_3) | instid1(VALU_DEP_4)
	v_ashrrev_i32_e32 v4, 31, v3
	v_ashrrev_i32_e32 v2, 31, v1
	v_cmp_le_i32_e64 s0, s25, v1
	v_lshl_add_u32 v20, s27, 4, v27
                                        ; implicit-def: $vgpr12_vgpr13
	v_lshlrev_b64 v[6:7], 2, v[3:4]
	s_delay_alu instid0(VALU_DEP_4) | instskip(NEXT) | instid1(VALU_DEP_2)
	v_lshlrev_b64 v[10:11], 2, v[1:2]
	v_add_co_u32 v6, vcc_lo, s8, v6
	s_delay_alu instid0(VALU_DEP_3) | instskip(NEXT) | instid1(VALU_DEP_3)
	v_add_co_ci_u32_e32 v7, vcc_lo, s9, v7, vcc_lo
	v_add_co_u32 v10, vcc_lo, s10, v10
	s_delay_alu instid0(VALU_DEP_4)
	v_add_co_ci_u32_e32 v11, vcc_lo, s11, v11, vcc_lo
	global_load_b32 v2, v[6:7], off
	global_load_b32 v4, v[10:11], off
	s_waitcnt vmcnt(1)
	v_subrev_nc_u32_e32 v2, s20, v2
	s_waitcnt vmcnt(0)
	v_subrev_nc_u32_e32 v10, s20, v4
	s_delay_alu instid0(VALU_DEP_2) | instskip(SKIP_1) | instid1(VALU_DEP_1)
	v_cmp_gt_i32_e32 vcc_lo, v2, v1
                                        ; implicit-def: $vgpr1_vgpr2
	v_cndmask_b32_e32 v5, v3, v5, vcc_lo
	v_cmp_eq_u32_e32 vcc_lo, v10, v5
	s_or_b32 s0, vcc_lo, s0
	s_delay_alu instid0(SALU_CYCLE_1) | instskip(NEXT) | instid1(SALU_CYCLE_1)
	s_and_saveexec_b32 s28, s0
	s_xor_b32 s0, exec_lo, s28
	s_cbranch_execz .LBB101_75
; %bb.74:                               ;   in Loop: Header=BB101_69 Depth=1
	ds_load_b128 v[1:4], v20
                                        ; implicit-def: $vgpr5
	s_waitcnt lgkmcnt(0)
	v_xor_b32_e32 v13, 0x80000000, v4
	v_mov_b32_e32 v12, v3
.LBB101_75:                             ;   in Loop: Header=BB101_69 Depth=1
	s_and_not1_saveexec_b32 s28, s0
	s_cbranch_execz .LBB101_68
; %bb.76:                               ;   in Loop: Header=BB101_69 Depth=1
	v_ashrrev_i32_e32 v6, 31, v5
	v_cmp_le_i32_e64 s0, s19, v10
	s_delay_alu instid0(VALU_DEP_2) | instskip(NEXT) | instid1(VALU_DEP_1)
	v_lshlrev_b64 v[1:2], 4, v[5:6]
	v_add_co_u32 v1, vcc_lo, s14, v1
	s_delay_alu instid0(VALU_DEP_2)
	v_add_co_ci_u32_e32 v2, vcc_lo, s15, v2, vcc_lo
	v_cmp_gt_i32_e32 vcc_lo, s12, v10
	global_load_b128 v[5:8], v[1:2], off
	ds_load_b128 v[1:4], v20
	s_or_b32 s0, vcc_lo, s0
	s_waitcnt lgkmcnt(0)
	v_xor_b32_e32 v13, 0x80000000, v4
	s_waitcnt vmcnt(0)
	v_mul_f64 v[11:12], v[7:8], -v[3:4]
	v_mul_f64 v[7:8], v[7:8], v[1:2]
	s_delay_alu instid0(VALU_DEP_2) | instskip(NEXT) | instid1(VALU_DEP_2)
	v_fma_f64 v[16:17], v[1:2], v[5:6], v[11:12]
	v_fma_f64 v[14:15], v[3:4], v[5:6], v[7:8]
	v_mov_b32_e32 v12, v3
	s_and_saveexec_b32 s29, s0
	s_delay_alu instid0(SALU_CYCLE_1)
	s_xor_b32 s0, exec_lo, s29
	s_cbranch_execz .LBB101_82
; %bb.77:                               ;   in Loop: Header=BB101_69 Depth=1
	v_ashrrev_i32_e32 v11, 31, v10
	s_mov_b32 s29, 0
	s_delay_alu instid0(VALU_DEP_1) | instskip(NEXT) | instid1(VALU_DEP_1)
	v_lshlrev_b64 v[5:6], 4, v[10:11]
	v_add_co_u32 v18, vcc_lo, s16, v5
	s_delay_alu instid0(VALU_DEP_2)
	v_add_co_ci_u32_e32 v19, vcc_lo, s17, v6, vcc_lo
	global_load_b64 v[7:8], v[18:19], off
.LBB101_78:                             ;   Parent Loop BB101_69 Depth=1
                                        ; =>  This Inner Loop Header: Depth=2
	s_waitcnt vmcnt(0)
	v_add_f64 v[5:6], v[7:8], v[16:17]
	global_atomic_cmpswap_b64 v[5:6], v[18:19], v[5:8], off glc
	s_waitcnt vmcnt(0)
	v_cmp_eq_u64_e32 vcc_lo, v[5:6], v[7:8]
	v_dual_mov_b32 v8, v6 :: v_dual_mov_b32 v7, v5
	s_or_b32 s29, vcc_lo, s29
	s_delay_alu instid0(SALU_CYCLE_1)
	s_and_not1_b32 exec_lo, exec_lo, s29
	s_cbranch_execnz .LBB101_78
; %bb.79:                               ;   in Loop: Header=BB101_69 Depth=1
	s_or_b32 exec_lo, exec_lo, s29
	global_load_b64 v[7:8], v[18:19], off offset:8
	s_mov_b32 s29, 0
.LBB101_80:                             ;   Parent Loop BB101_69 Depth=1
                                        ; =>  This Inner Loop Header: Depth=2
	s_waitcnt vmcnt(0)
	v_add_f64 v[5:6], v[7:8], v[14:15]
	global_atomic_cmpswap_b64 v[5:6], v[18:19], v[5:8], off offset:8 glc
	s_waitcnt vmcnt(0)
	v_cmp_eq_u64_e32 vcc_lo, v[5:6], v[7:8]
	v_dual_mov_b32 v8, v6 :: v_dual_mov_b32 v7, v5
	s_or_b32 s29, vcc_lo, s29
	s_delay_alu instid0(SALU_CYCLE_1)
	s_and_not1_b32 exec_lo, exec_lo, s29
	s_cbranch_execnz .LBB101_80
; %bb.81:                               ;   in Loop: Header=BB101_69 Depth=1
	s_or_b32 exec_lo, exec_lo, s29
                                        ; implicit-def: $vgpr14_vgpr15
                                        ; implicit-def: $vgpr16_vgpr17
.LBB101_82:                             ;   in Loop: Header=BB101_69 Depth=1
	s_and_not1_saveexec_b32 s0, s0
	s_cbranch_execz .LBB101_67
; %bb.83:                               ;   in Loop: Header=BB101_69 Depth=1
	v_subrev_nc_u32_e32 v5, s12, v10
	s_mov_b32 s29, 0
	s_delay_alu instid0(VALU_DEP_1)
	v_lshl_add_u32 v7, v5, 4, 0x4000
	ds_load_b64 v[5:6], v7
.LBB101_84:                             ;   Parent Loop BB101_69 Depth=1
                                        ; =>  This Inner Loop Header: Depth=2
	s_waitcnt lgkmcnt(0)
	v_add_f64 v[18:19], v[5:6], v[16:17]
	ds_cmpstore_rtn_b64 v[18:19], v7, v[18:19], v[5:6]
	s_waitcnt lgkmcnt(0)
	v_cmp_eq_u64_e32 vcc_lo, v[18:19], v[5:6]
	v_dual_mov_b32 v5, v18 :: v_dual_mov_b32 v6, v19
	s_or_b32 s29, vcc_lo, s29
	s_delay_alu instid0(SALU_CYCLE_1)
	s_and_not1_b32 exec_lo, exec_lo, s29
	s_cbranch_execnz .LBB101_84
; %bb.85:                               ;   in Loop: Header=BB101_69 Depth=1
	s_or_b32 exec_lo, exec_lo, s29
	ds_load_b64 v[5:6], v7 offset:8
	s_mov_b32 s29, 0
.LBB101_86:                             ;   Parent Loop BB101_69 Depth=1
                                        ; =>  This Inner Loop Header: Depth=2
	s_waitcnt lgkmcnt(0)
	v_add_f64 v[16:17], v[5:6], v[14:15]
	ds_cmpstore_rtn_b64 v[16:17], v7, v[16:17], v[5:6] offset:8
	s_waitcnt lgkmcnt(0)
	v_cmp_eq_u64_e32 vcc_lo, v[16:17], v[5:6]
	v_dual_mov_b32 v5, v16 :: v_dual_mov_b32 v6, v17
	s_or_b32 s29, vcc_lo, s29
	s_delay_alu instid0(SALU_CYCLE_1)
	s_and_not1_b32 exec_lo, exec_lo, s29
	s_cbranch_execnz .LBB101_86
; %bb.87:                               ;   in Loop: Header=BB101_69 Depth=1
	s_or_b32 exec_lo, exec_lo, s29
	s_branch .LBB101_67
.LBB101_88:
	s_or_b32 exec_lo, exec_lo, s13
                                        ; implicit-def: $vgpr20
                                        ; implicit-def: $vgpr9
.LBB101_89:
	s_and_not1_saveexec_b32 s13, s6
	s_cbranch_execz .LBB101_179
; %bb.90:
	s_add_i32 s23, s19, -1
	v_mov_b32_e32 v3, s18
	s_cmp_le_i32 s23, s18
	v_mov_b32_e32 v1, s23
	s_cselect_b32 s0, -1, 0
	s_add_i32 s6, s19, -2
	s_delay_alu instid0(SALU_CYCLE_1) | instskip(SKIP_1) | instid1(SALU_CYCLE_1)
	s_cmp_eq_u32 s6, s18
	s_cselect_b32 s6, -1, 0
	s_or_b32 s6, s0, s6
	s_delay_alu instid0(SALU_CYCLE_1)
	s_and_b32 vcc_lo, exec_lo, s6
	s_cbranch_vccnz .LBB101_94
; %bb.91:
	v_mov_b32_e32 v3, s18
	v_mov_b32_e32 v1, s23
	s_mov_b32 s7, 0
	.p2align	6
.LBB101_92:                             ; =>This Inner Loop Header: Depth=1
	s_delay_alu instid0(VALU_DEP_1) | instskip(NEXT) | instid1(VALU_DEP_1)
	v_add_nc_u32_e32 v2, v1, v3
	v_lshrrev_b32_e32 v4, 31, v2
	s_delay_alu instid0(VALU_DEP_1) | instskip(NEXT) | instid1(VALU_DEP_1)
	v_add_nc_u32_e32 v2, v2, v4
	v_ashrrev_i32_e32 v4, 1, v2
	s_delay_alu instid0(VALU_DEP_1) | instskip(NEXT) | instid1(VALU_DEP_1)
	v_ashrrev_i32_e32 v5, 31, v4
	v_lshlrev_b64 v[5:6], 2, v[4:5]
	s_delay_alu instid0(VALU_DEP_1) | instskip(NEXT) | instid1(VALU_DEP_2)
	v_add_co_u32 v5, vcc_lo, s8, v5
	v_add_co_ci_u32_e32 v6, vcc_lo, s9, v6, vcc_lo
	global_load_b32 v2, v[5:6], off
	s_waitcnt vmcnt(0)
	v_subrev_nc_u32_e32 v2, s20, v2
	s_delay_alu instid0(VALU_DEP_1) | instskip(SKIP_2) | instid1(VALU_DEP_1)
	v_cmp_gt_i32_e32 vcc_lo, v2, v9
	v_cndmask_b32_e32 v3, v4, v3, vcc_lo
	v_cndmask_b32_e32 v1, v1, v4, vcc_lo
	v_add_nc_u32_e32 v2, -1, v1
	s_delay_alu instid0(VALU_DEP_3) | instskip(NEXT) | instid1(VALU_DEP_2)
	v_cmp_ge_i32_e32 vcc_lo, v3, v1
	v_cmp_eq_u32_e64 s0, v3, v2
	s_delay_alu instid0(VALU_DEP_1) | instskip(NEXT) | instid1(SALU_CYCLE_1)
	s_or_b32 s0, vcc_lo, s0
	s_and_b32 s0, exec_lo, s0
	s_delay_alu instid0(SALU_CYCLE_1) | instskip(NEXT) | instid1(SALU_CYCLE_1)
	s_or_b32 s7, s0, s7
	s_and_not1_b32 exec_lo, exec_lo, s7
	s_cbranch_execnz .LBB101_92
; %bb.93:
	s_or_b32 exec_lo, exec_lo, s7
.LBB101_94:
	v_ashrrev_i32_e32 v2, 31, v1
	v_lshlrev_b64 v[6:7], 2, v[9:10]
	s_xor_b32 s24, s6, -1
	s_ashr_i32 s7, s19, 31
	s_mov_b32 s6, s19
	v_lshlrev_b64 v[4:5], 2, v[1:2]
	s_lshl_b64 s[6:7], s[6:7], 2
	s_mov_b32 s0, exec_lo
	s_add_u32 s6, s8, s6
	s_addc_u32 s7, s9, s7
	s_delay_alu instid0(VALU_DEP_1)
	v_add_co_u32 v4, vcc_lo, s8, v4
	v_add_co_ci_u32_e32 v5, vcc_lo, s9, v5, vcc_lo
	v_add_co_u32 v10, vcc_lo, s10, v6
	v_add_co_ci_u32_e32 v11, vcc_lo, s11, v7, vcc_lo
	global_load_b32 v2, v[4:5], off
	global_load_b32 v4, v[10:11], off
	s_waitcnt vmcnt(1)
	v_subrev_nc_u32_e32 v2, s20, v2
	s_waitcnt vmcnt(0)
	v_subrev_nc_u32_e32 v12, s20, v4
	s_delay_alu instid0(VALU_DEP_2) | instskip(SKIP_1) | instid1(VALU_DEP_1)
	v_cmp_gt_i32_e32 vcc_lo, v2, v9
	v_cndmask_b32_e32 v5, v1, v3, vcc_lo
                                        ; implicit-def: $vgpr1_vgpr2
	v_cmpx_ne_u32_e64 v12, v5
	s_xor_b32 s10, exec_lo, s0
	s_cbranch_execz .LBB101_110
; %bb.95:
	s_load_b32 s0, s[6:7], 0x0
	ds_load_b128 v[1:4], v27
	s_mov_b32 s11, exec_lo
	s_waitcnt lgkmcnt(0)
	s_sub_i32 s0, s0, s20
	s_delay_alu instid0(SALU_CYCLE_1)
	v_cmpx_gt_i32_e64 s0, v9
	s_cbranch_execz .LBB101_109
; %bb.96:
	v_ashrrev_i32_e32 v6, 31, v5
	v_cmp_le_i32_e64 s0, s19, v12
	s_delay_alu instid0(VALU_DEP_2) | instskip(NEXT) | instid1(VALU_DEP_1)
	v_lshlrev_b64 v[5:6], 4, v[5:6]
	v_add_co_u32 v5, vcc_lo, s14, v5
	s_delay_alu instid0(VALU_DEP_2)
	v_add_co_ci_u32_e32 v6, vcc_lo, s15, v6, vcc_lo
	v_cmp_gt_i32_e32 vcc_lo, s12, v12
	global_load_b128 v[5:8], v[5:6], off
	s_or_b32 s0, vcc_lo, s0
	s_waitcnt vmcnt(0)
	v_mul_f64 v[13:14], v[7:8], -v[3:4]
	v_mul_f64 v[7:8], v[7:8], v[1:2]
	s_delay_alu instid0(VALU_DEP_2) | instskip(NEXT) | instid1(VALU_DEP_2)
	v_fma_f64 v[16:17], v[1:2], v[5:6], v[13:14]
	v_fma_f64 v[14:15], v[3:4], v[5:6], v[7:8]
	s_and_saveexec_b32 s25, s0
	s_delay_alu instid0(SALU_CYCLE_1)
	s_xor_b32 s0, exec_lo, s25
	s_cbranch_execz .LBB101_102
; %bb.97:
	v_ashrrev_i32_e32 v13, 31, v12
	s_mov_b32 s25, 0
	s_delay_alu instid0(VALU_DEP_1) | instskip(NEXT) | instid1(VALU_DEP_1)
	v_lshlrev_b64 v[5:6], 4, v[12:13]
	v_add_co_u32 v18, vcc_lo, s16, v5
	s_delay_alu instid0(VALU_DEP_2)
	v_add_co_ci_u32_e32 v19, vcc_lo, s17, v6, vcc_lo
	global_load_b64 v[7:8], v[18:19], off
.LBB101_98:                             ; =>This Inner Loop Header: Depth=1
	s_waitcnt vmcnt(0)
	v_add_f64 v[5:6], v[7:8], v[16:17]
	global_atomic_cmpswap_b64 v[5:6], v[18:19], v[5:8], off glc
	s_waitcnt vmcnt(0)
	v_cmp_eq_u64_e32 vcc_lo, v[5:6], v[7:8]
	v_dual_mov_b32 v8, v6 :: v_dual_mov_b32 v7, v5
	s_or_b32 s25, vcc_lo, s25
	s_delay_alu instid0(SALU_CYCLE_1)
	s_and_not1_b32 exec_lo, exec_lo, s25
	s_cbranch_execnz .LBB101_98
; %bb.99:
	s_or_b32 exec_lo, exec_lo, s25
	global_load_b64 v[7:8], v[18:19], off offset:8
	s_mov_b32 s25, 0
.LBB101_100:                            ; =>This Inner Loop Header: Depth=1
	s_waitcnt vmcnt(0)
	v_add_f64 v[5:6], v[7:8], v[14:15]
	global_atomic_cmpswap_b64 v[5:6], v[18:19], v[5:8], off offset:8 glc
	s_waitcnt vmcnt(0)
	v_cmp_eq_u64_e32 vcc_lo, v[5:6], v[7:8]
	v_dual_mov_b32 v8, v6 :: v_dual_mov_b32 v7, v5
	s_or_b32 s25, vcc_lo, s25
	s_delay_alu instid0(SALU_CYCLE_1)
	s_and_not1_b32 exec_lo, exec_lo, s25
	s_cbranch_execnz .LBB101_100
; %bb.101:
	s_or_b32 exec_lo, exec_lo, s25
                                        ; implicit-def: $vgpr14_vgpr15
                                        ; implicit-def: $vgpr16_vgpr17
.LBB101_102:
	s_and_not1_saveexec_b32 s0, s0
	s_cbranch_execz .LBB101_108
; %bb.103:
	v_subrev_nc_u32_e32 v5, s12, v12
	s_mov_b32 s25, 0
	s_delay_alu instid0(VALU_DEP_1)
	v_lshl_add_u32 v7, v5, 4, 0x4000
	ds_load_b64 v[5:6], v7
.LBB101_104:                            ; =>This Inner Loop Header: Depth=1
	s_waitcnt lgkmcnt(0)
	v_add_f64 v[18:19], v[5:6], v[16:17]
	ds_cmpstore_rtn_b64 v[18:19], v7, v[18:19], v[5:6]
	s_waitcnt lgkmcnt(0)
	v_cmp_eq_u64_e32 vcc_lo, v[18:19], v[5:6]
	v_dual_mov_b32 v5, v18 :: v_dual_mov_b32 v6, v19
	s_or_b32 s25, vcc_lo, s25
	s_delay_alu instid0(SALU_CYCLE_1)
	s_and_not1_b32 exec_lo, exec_lo, s25
	s_cbranch_execnz .LBB101_104
; %bb.105:
	s_or_b32 exec_lo, exec_lo, s25
	ds_load_b64 v[5:6], v7 offset:8
	s_mov_b32 s25, 0
.LBB101_106:                            ; =>This Inner Loop Header: Depth=1
	s_waitcnt lgkmcnt(0)
	v_add_f64 v[16:17], v[5:6], v[14:15]
	ds_cmpstore_rtn_b64 v[16:17], v7, v[16:17], v[5:6] offset:8
	s_waitcnt lgkmcnt(0)
	v_cmp_eq_u64_e32 vcc_lo, v[16:17], v[5:6]
	v_dual_mov_b32 v5, v16 :: v_dual_mov_b32 v6, v17
	s_or_b32 s25, vcc_lo, s25
	s_delay_alu instid0(SALU_CYCLE_1)
	s_and_not1_b32 exec_lo, exec_lo, s25
	s_cbranch_execnz .LBB101_106
; %bb.107:
	s_or_b32 exec_lo, exec_lo, s25
.LBB101_108:
	s_delay_alu instid0(SALU_CYCLE_1)
	s_or_b32 exec_lo, exec_lo, s0
.LBB101_109:
	s_delay_alu instid0(SALU_CYCLE_1)
	s_or_b32 exec_lo, exec_lo, s11
.LBB101_110:
	s_and_not1_saveexec_b32 s0, s10
	s_cbranch_execz .LBB101_112
; %bb.111:
	ds_load_b128 v[1:4], v27
.LBB101_112:
	s_or_b32 exec_lo, exec_lo, s0
	v_ashrrev_i32_e32 v13, 31, v12
	v_cndmask_b32_e64 v21, 0, 1, s24
	s_delay_alu instid0(VALU_DEP_2) | instskip(NEXT) | instid1(VALU_DEP_1)
	v_lshlrev_b64 v[5:6], 4, v[12:13]
	v_add_co_u32 v5, vcc_lo, s14, v5
	s_delay_alu instid0(VALU_DEP_2)
	v_add_co_ci_u32_e32 v6, vcc_lo, s15, v6, vcc_lo
	s_and_not1_b32 vcc_lo, exec_lo, s24
	global_load_b128 v[5:8], v[5:6], off
	s_waitcnt vmcnt(0) lgkmcnt(0)
	v_mul_f64 v[12:13], v[7:8], -v[3:4]
	v_mul_f64 v[7:8], v[7:8], v[1:2]
	s_delay_alu instid0(VALU_DEP_2) | instskip(NEXT) | instid1(VALU_DEP_2)
	v_fma_f64 v[12:13], v[1:2], v[5:6], v[12:13]
	v_fma_f64 v[14:15], v[3:4], v[5:6], v[7:8]
	v_dual_mov_b32 v3, s18 :: v_dual_add_nc_u32 v6, 0x100, v9
	v_mov_b32_e32 v1, s23
	ds_store_b128 v27, v[12:15]
	s_cbranch_vccnz .LBB101_116
; %bb.113:
	v_mov_b32_e32 v3, s18
	v_mov_b32_e32 v1, s23
	s_mov_b32 s10, 0
	.p2align	6
.LBB101_114:                            ; =>This Inner Loop Header: Depth=1
	s_delay_alu instid0(VALU_DEP_1) | instskip(NEXT) | instid1(VALU_DEP_1)
	v_add_nc_u32_e32 v2, v1, v3
	v_lshrrev_b32_e32 v4, 31, v2
	s_delay_alu instid0(VALU_DEP_1) | instskip(NEXT) | instid1(VALU_DEP_1)
	v_add_nc_u32_e32 v2, v2, v4
	v_ashrrev_i32_e32 v4, 1, v2
	s_delay_alu instid0(VALU_DEP_1) | instskip(NEXT) | instid1(VALU_DEP_1)
	v_ashrrev_i32_e32 v5, 31, v4
	v_lshlrev_b64 v[7:8], 2, v[4:5]
	s_delay_alu instid0(VALU_DEP_1) | instskip(NEXT) | instid1(VALU_DEP_2)
	v_add_co_u32 v7, vcc_lo, s8, v7
	v_add_co_ci_u32_e32 v8, vcc_lo, s9, v8, vcc_lo
	global_load_b32 v2, v[7:8], off
	s_waitcnt vmcnt(0)
	v_subrev_nc_u32_e32 v2, s20, v2
	s_delay_alu instid0(VALU_DEP_1) | instskip(SKIP_2) | instid1(VALU_DEP_1)
	v_cmp_gt_i32_e32 vcc_lo, v2, v6
	v_cndmask_b32_e32 v3, v4, v3, vcc_lo
	v_cndmask_b32_e32 v1, v1, v4, vcc_lo
	v_add_nc_u32_e32 v2, -1, v1
	s_delay_alu instid0(VALU_DEP_3) | instskip(NEXT) | instid1(VALU_DEP_2)
	v_cmp_ge_i32_e32 vcc_lo, v3, v1
	v_cmp_eq_u32_e64 s0, v3, v2
	s_delay_alu instid0(VALU_DEP_1) | instskip(NEXT) | instid1(SALU_CYCLE_1)
	s_or_b32 s0, vcc_lo, s0
	s_and_b32 s0, exec_lo, s0
	s_delay_alu instid0(SALU_CYCLE_1) | instskip(NEXT) | instid1(SALU_CYCLE_1)
	s_or_b32 s10, s0, s10
	s_and_not1_b32 exec_lo, exec_lo, s10
	s_cbranch_execnz .LBB101_114
; %bb.115:
	s_or_b32 exec_lo, exec_lo, s10
.LBB101_116:
	v_ashrrev_i32_e32 v2, 31, v1
	s_mov_b32 s0, exec_lo
	s_delay_alu instid0(VALU_DEP_1) | instskip(NEXT) | instid1(VALU_DEP_1)
	v_lshlrev_b64 v[4:5], 2, v[1:2]
	v_add_co_u32 v4, vcc_lo, s8, v4
	s_delay_alu instid0(VALU_DEP_2)
	v_add_co_ci_u32_e32 v5, vcc_lo, s9, v5, vcc_lo
	global_load_b32 v2, v[4:5], off
	global_load_b32 v4, v[10:11], off offset:1024
	s_waitcnt vmcnt(1)
	v_subrev_nc_u32_e32 v2, s20, v2
	s_waitcnt vmcnt(0)
	v_subrev_nc_u32_e32 v12, s20, v4
	s_delay_alu instid0(VALU_DEP_2) | instskip(SKIP_1) | instid1(VALU_DEP_1)
	v_cmp_gt_i32_e32 vcc_lo, v2, v6
	v_cndmask_b32_e32 v5, v1, v3, vcc_lo
                                        ; implicit-def: $vgpr1_vgpr2
	v_cmpx_ne_u32_e64 v12, v5
	s_xor_b32 s10, exec_lo, s0
	s_cbranch_execz .LBB101_132
; %bb.117:
	s_load_b32 s0, s[6:7], 0x0
	ds_load_b128 v[1:4], v27 offset:4096
	s_mov_b32 s11, exec_lo
	s_waitcnt lgkmcnt(0)
	s_sub_i32 s0, s0, s20
	s_delay_alu instid0(SALU_CYCLE_1)
	v_cmpx_gt_i32_e64 s0, v6
	s_cbranch_execz .LBB101_131
; %bb.118:
	v_ashrrev_i32_e32 v6, 31, v5
	v_cmp_le_i32_e64 s0, s19, v12
	s_delay_alu instid0(VALU_DEP_2) | instskip(NEXT) | instid1(VALU_DEP_1)
	v_lshlrev_b64 v[5:6], 4, v[5:6]
	v_add_co_u32 v5, vcc_lo, s14, v5
	s_delay_alu instid0(VALU_DEP_2)
	v_add_co_ci_u32_e32 v6, vcc_lo, s15, v6, vcc_lo
	v_cmp_gt_i32_e32 vcc_lo, s12, v12
	global_load_b128 v[5:8], v[5:6], off
	s_or_b32 s0, vcc_lo, s0
	s_waitcnt vmcnt(0)
	v_mul_f64 v[13:14], v[7:8], -v[3:4]
	v_mul_f64 v[7:8], v[7:8], v[1:2]
	s_delay_alu instid0(VALU_DEP_2) | instskip(NEXT) | instid1(VALU_DEP_2)
	v_fma_f64 v[16:17], v[1:2], v[5:6], v[13:14]
	v_fma_f64 v[14:15], v[3:4], v[5:6], v[7:8]
	s_and_saveexec_b32 s24, s0
	s_delay_alu instid0(SALU_CYCLE_1)
	s_xor_b32 s0, exec_lo, s24
	s_cbranch_execz .LBB101_124
; %bb.119:
	v_ashrrev_i32_e32 v13, 31, v12
	s_mov_b32 s24, 0
	s_delay_alu instid0(VALU_DEP_1) | instskip(NEXT) | instid1(VALU_DEP_1)
	v_lshlrev_b64 v[5:6], 4, v[12:13]
	v_add_co_u32 v18, vcc_lo, s16, v5
	s_delay_alu instid0(VALU_DEP_2)
	v_add_co_ci_u32_e32 v19, vcc_lo, s17, v6, vcc_lo
	global_load_b64 v[7:8], v[18:19], off
.LBB101_120:                            ; =>This Inner Loop Header: Depth=1
	s_waitcnt vmcnt(0)
	v_add_f64 v[5:6], v[7:8], v[16:17]
	global_atomic_cmpswap_b64 v[5:6], v[18:19], v[5:8], off glc
	s_waitcnt vmcnt(0)
	v_cmp_eq_u64_e32 vcc_lo, v[5:6], v[7:8]
	v_dual_mov_b32 v8, v6 :: v_dual_mov_b32 v7, v5
	s_or_b32 s24, vcc_lo, s24
	s_delay_alu instid0(SALU_CYCLE_1)
	s_and_not1_b32 exec_lo, exec_lo, s24
	s_cbranch_execnz .LBB101_120
; %bb.121:
	s_or_b32 exec_lo, exec_lo, s24
	global_load_b64 v[7:8], v[18:19], off offset:8
	s_mov_b32 s24, 0
.LBB101_122:                            ; =>This Inner Loop Header: Depth=1
	s_waitcnt vmcnt(0)
	v_add_f64 v[5:6], v[7:8], v[14:15]
	global_atomic_cmpswap_b64 v[5:6], v[18:19], v[5:8], off offset:8 glc
	s_waitcnt vmcnt(0)
	v_cmp_eq_u64_e32 vcc_lo, v[5:6], v[7:8]
	v_dual_mov_b32 v8, v6 :: v_dual_mov_b32 v7, v5
	s_or_b32 s24, vcc_lo, s24
	s_delay_alu instid0(SALU_CYCLE_1)
	s_and_not1_b32 exec_lo, exec_lo, s24
	s_cbranch_execnz .LBB101_122
; %bb.123:
	s_or_b32 exec_lo, exec_lo, s24
                                        ; implicit-def: $vgpr14_vgpr15
                                        ; implicit-def: $vgpr16_vgpr17
.LBB101_124:
	s_and_not1_saveexec_b32 s0, s0
	s_cbranch_execz .LBB101_130
; %bb.125:
	v_subrev_nc_u32_e32 v5, s12, v12
	s_mov_b32 s24, 0
	s_delay_alu instid0(VALU_DEP_1)
	v_lshl_add_u32 v7, v5, 4, 0x4000
	ds_load_b64 v[5:6], v7
.LBB101_126:                            ; =>This Inner Loop Header: Depth=1
	s_waitcnt lgkmcnt(0)
	v_add_f64 v[18:19], v[5:6], v[16:17]
	ds_cmpstore_rtn_b64 v[18:19], v7, v[18:19], v[5:6]
	s_waitcnt lgkmcnt(0)
	v_cmp_eq_u64_e32 vcc_lo, v[18:19], v[5:6]
	v_dual_mov_b32 v5, v18 :: v_dual_mov_b32 v6, v19
	s_or_b32 s24, vcc_lo, s24
	s_delay_alu instid0(SALU_CYCLE_1)
	s_and_not1_b32 exec_lo, exec_lo, s24
	s_cbranch_execnz .LBB101_126
; %bb.127:
	s_or_b32 exec_lo, exec_lo, s24
	ds_load_b64 v[5:6], v7 offset:8
	s_mov_b32 s24, 0
.LBB101_128:                            ; =>This Inner Loop Header: Depth=1
	s_waitcnt lgkmcnt(0)
	v_add_f64 v[16:17], v[5:6], v[14:15]
	ds_cmpstore_rtn_b64 v[16:17], v7, v[16:17], v[5:6] offset:8
	s_waitcnt lgkmcnt(0)
	v_cmp_eq_u64_e32 vcc_lo, v[16:17], v[5:6]
	v_dual_mov_b32 v5, v16 :: v_dual_mov_b32 v6, v17
	s_or_b32 s24, vcc_lo, s24
	s_delay_alu instid0(SALU_CYCLE_1)
	s_and_not1_b32 exec_lo, exec_lo, s24
	s_cbranch_execnz .LBB101_128
; %bb.129:
	s_or_b32 exec_lo, exec_lo, s24
.LBB101_130:
	s_delay_alu instid0(SALU_CYCLE_1)
	s_or_b32 exec_lo, exec_lo, s0
.LBB101_131:
	s_delay_alu instid0(SALU_CYCLE_1)
	s_or_b32 exec_lo, exec_lo, s11
.LBB101_132:
	s_and_not1_saveexec_b32 s0, s10
	s_cbranch_execz .LBB101_134
; %bb.133:
	ds_load_b128 v[1:4], v27 offset:4096
.LBB101_134:
	s_or_b32 exec_lo, exec_lo, s0
	v_ashrrev_i32_e32 v13, 31, v12
	s_delay_alu instid0(VALU_DEP_1) | instskip(NEXT) | instid1(VALU_DEP_1)
	v_lshlrev_b64 v[5:6], 4, v[12:13]
	v_add_co_u32 v5, vcc_lo, s14, v5
	s_delay_alu instid0(VALU_DEP_2)
	v_add_co_ci_u32_e32 v6, vcc_lo, s15, v6, vcc_lo
	v_cmp_ne_u32_e32 vcc_lo, 1, v21
	global_load_b128 v[5:8], v[5:6], off
	s_and_b32 vcc_lo, exec_lo, vcc_lo
	s_waitcnt vmcnt(0) lgkmcnt(0)
	v_mul_f64 v[12:13], v[7:8], -v[3:4]
	v_mul_f64 v[7:8], v[7:8], v[1:2]
	s_delay_alu instid0(VALU_DEP_2) | instskip(NEXT) | instid1(VALU_DEP_2)
	v_fma_f64 v[12:13], v[1:2], v[5:6], v[12:13]
	v_fma_f64 v[14:15], v[3:4], v[5:6], v[7:8]
	v_dual_mov_b32 v3, s18 :: v_dual_add_nc_u32 v6, 0x200, v9
	v_mov_b32_e32 v1, s23
	ds_store_b128 v27, v[12:15] offset:4096
	s_cbranch_vccnz .LBB101_138
; %bb.135:
	v_mov_b32_e32 v3, s18
	v_mov_b32_e32 v1, s23
	s_mov_b32 s10, 0
	.p2align	6
.LBB101_136:                            ; =>This Inner Loop Header: Depth=1
	s_delay_alu instid0(VALU_DEP_1) | instskip(NEXT) | instid1(VALU_DEP_1)
	v_add_nc_u32_e32 v2, v1, v3
	v_lshrrev_b32_e32 v4, 31, v2
	s_delay_alu instid0(VALU_DEP_1) | instskip(NEXT) | instid1(VALU_DEP_1)
	v_add_nc_u32_e32 v2, v2, v4
	v_ashrrev_i32_e32 v4, 1, v2
	s_delay_alu instid0(VALU_DEP_1) | instskip(NEXT) | instid1(VALU_DEP_1)
	v_ashrrev_i32_e32 v5, 31, v4
	v_lshlrev_b64 v[7:8], 2, v[4:5]
	s_delay_alu instid0(VALU_DEP_1) | instskip(NEXT) | instid1(VALU_DEP_2)
	v_add_co_u32 v7, vcc_lo, s8, v7
	v_add_co_ci_u32_e32 v8, vcc_lo, s9, v8, vcc_lo
	global_load_b32 v2, v[7:8], off
	s_waitcnt vmcnt(0)
	v_subrev_nc_u32_e32 v2, s20, v2
	s_delay_alu instid0(VALU_DEP_1) | instskip(SKIP_2) | instid1(VALU_DEP_1)
	v_cmp_gt_i32_e32 vcc_lo, v2, v6
	v_cndmask_b32_e32 v3, v4, v3, vcc_lo
	v_cndmask_b32_e32 v1, v1, v4, vcc_lo
	v_add_nc_u32_e32 v2, -1, v1
	s_delay_alu instid0(VALU_DEP_3) | instskip(NEXT) | instid1(VALU_DEP_2)
	v_cmp_ge_i32_e32 vcc_lo, v3, v1
	v_cmp_eq_u32_e64 s0, v3, v2
	s_delay_alu instid0(VALU_DEP_1) | instskip(NEXT) | instid1(SALU_CYCLE_1)
	s_or_b32 s0, vcc_lo, s0
	s_and_b32 s0, exec_lo, s0
	s_delay_alu instid0(SALU_CYCLE_1) | instskip(NEXT) | instid1(SALU_CYCLE_1)
	s_or_b32 s10, s0, s10
	s_and_not1_b32 exec_lo, exec_lo, s10
	s_cbranch_execnz .LBB101_136
; %bb.137:
	s_or_b32 exec_lo, exec_lo, s10
.LBB101_138:
	v_ashrrev_i32_e32 v2, 31, v1
	s_mov_b32 s0, exec_lo
	s_delay_alu instid0(VALU_DEP_1) | instskip(NEXT) | instid1(VALU_DEP_1)
	v_lshlrev_b64 v[4:5], 2, v[1:2]
	v_add_co_u32 v4, vcc_lo, s8, v4
	s_delay_alu instid0(VALU_DEP_2)
	v_add_co_ci_u32_e32 v5, vcc_lo, s9, v5, vcc_lo
	global_load_b32 v2, v[4:5], off
	global_load_b32 v4, v[10:11], off offset:2048
	s_waitcnt vmcnt(1)
	v_subrev_nc_u32_e32 v2, s20, v2
	s_waitcnt vmcnt(0)
	v_subrev_nc_u32_e32 v12, s20, v4
	s_delay_alu instid0(VALU_DEP_2) | instskip(SKIP_1) | instid1(VALU_DEP_1)
	v_cmp_gt_i32_e32 vcc_lo, v2, v6
	v_cndmask_b32_e32 v5, v1, v3, vcc_lo
                                        ; implicit-def: $vgpr1_vgpr2
	v_cmpx_ne_u32_e64 v12, v5
	s_xor_b32 s10, exec_lo, s0
	s_cbranch_execz .LBB101_154
; %bb.139:
	s_load_b32 s0, s[6:7], 0x0
	ds_load_b128 v[1:4], v27 offset:8192
	s_mov_b32 s11, exec_lo
	s_waitcnt lgkmcnt(0)
	s_sub_i32 s0, s0, s20
	s_delay_alu instid0(SALU_CYCLE_1)
	v_cmpx_gt_i32_e64 s0, v6
	s_cbranch_execz .LBB101_153
; %bb.140:
	v_ashrrev_i32_e32 v6, 31, v5
	v_cmp_le_i32_e64 s0, s19, v12
	s_delay_alu instid0(VALU_DEP_2) | instskip(NEXT) | instid1(VALU_DEP_1)
	v_lshlrev_b64 v[5:6], 4, v[5:6]
	v_add_co_u32 v5, vcc_lo, s14, v5
	s_delay_alu instid0(VALU_DEP_2)
	v_add_co_ci_u32_e32 v6, vcc_lo, s15, v6, vcc_lo
	v_cmp_gt_i32_e32 vcc_lo, s12, v12
	global_load_b128 v[5:8], v[5:6], off
	s_or_b32 s0, vcc_lo, s0
	s_waitcnt vmcnt(0)
	v_mul_f64 v[13:14], v[7:8], -v[3:4]
	v_mul_f64 v[7:8], v[7:8], v[1:2]
	s_delay_alu instid0(VALU_DEP_2) | instskip(NEXT) | instid1(VALU_DEP_2)
	v_fma_f64 v[16:17], v[1:2], v[5:6], v[13:14]
	v_fma_f64 v[14:15], v[3:4], v[5:6], v[7:8]
	s_and_saveexec_b32 s24, s0
	s_delay_alu instid0(SALU_CYCLE_1)
	s_xor_b32 s0, exec_lo, s24
	s_cbranch_execz .LBB101_146
; %bb.141:
	v_ashrrev_i32_e32 v13, 31, v12
	s_mov_b32 s24, 0
	s_delay_alu instid0(VALU_DEP_1) | instskip(NEXT) | instid1(VALU_DEP_1)
	v_lshlrev_b64 v[5:6], 4, v[12:13]
	v_add_co_u32 v18, vcc_lo, s16, v5
	s_delay_alu instid0(VALU_DEP_2)
	v_add_co_ci_u32_e32 v19, vcc_lo, s17, v6, vcc_lo
	global_load_b64 v[7:8], v[18:19], off
.LBB101_142:                            ; =>This Inner Loop Header: Depth=1
	s_waitcnt vmcnt(0)
	v_add_f64 v[5:6], v[7:8], v[16:17]
	global_atomic_cmpswap_b64 v[5:6], v[18:19], v[5:8], off glc
	s_waitcnt vmcnt(0)
	v_cmp_eq_u64_e32 vcc_lo, v[5:6], v[7:8]
	v_dual_mov_b32 v8, v6 :: v_dual_mov_b32 v7, v5
	s_or_b32 s24, vcc_lo, s24
	s_delay_alu instid0(SALU_CYCLE_1)
	s_and_not1_b32 exec_lo, exec_lo, s24
	s_cbranch_execnz .LBB101_142
; %bb.143:
	s_or_b32 exec_lo, exec_lo, s24
	global_load_b64 v[7:8], v[18:19], off offset:8
	s_mov_b32 s24, 0
.LBB101_144:                            ; =>This Inner Loop Header: Depth=1
	s_waitcnt vmcnt(0)
	v_add_f64 v[5:6], v[7:8], v[14:15]
	global_atomic_cmpswap_b64 v[5:6], v[18:19], v[5:8], off offset:8 glc
	s_waitcnt vmcnt(0)
	v_cmp_eq_u64_e32 vcc_lo, v[5:6], v[7:8]
	v_dual_mov_b32 v8, v6 :: v_dual_mov_b32 v7, v5
	s_or_b32 s24, vcc_lo, s24
	s_delay_alu instid0(SALU_CYCLE_1)
	s_and_not1_b32 exec_lo, exec_lo, s24
	s_cbranch_execnz .LBB101_144
; %bb.145:
	s_or_b32 exec_lo, exec_lo, s24
                                        ; implicit-def: $vgpr14_vgpr15
                                        ; implicit-def: $vgpr16_vgpr17
.LBB101_146:
	s_and_not1_saveexec_b32 s0, s0
	s_cbranch_execz .LBB101_152
; %bb.147:
	v_subrev_nc_u32_e32 v5, s12, v12
	s_mov_b32 s24, 0
	s_delay_alu instid0(VALU_DEP_1)
	v_lshl_add_u32 v7, v5, 4, 0x4000
	ds_load_b64 v[5:6], v7
.LBB101_148:                            ; =>This Inner Loop Header: Depth=1
	s_waitcnt lgkmcnt(0)
	v_add_f64 v[8:9], v[5:6], v[16:17]
	ds_cmpstore_rtn_b64 v[8:9], v7, v[8:9], v[5:6]
	s_waitcnt lgkmcnt(0)
	v_cmp_eq_u64_e32 vcc_lo, v[8:9], v[5:6]
	v_dual_mov_b32 v5, v8 :: v_dual_mov_b32 v6, v9
	s_or_b32 s24, vcc_lo, s24
	s_delay_alu instid0(SALU_CYCLE_1)
	s_and_not1_b32 exec_lo, exec_lo, s24
	s_cbranch_execnz .LBB101_148
; %bb.149:
	s_or_b32 exec_lo, exec_lo, s24
	ds_load_b64 v[5:6], v7 offset:8
	s_mov_b32 s24, 0
.LBB101_150:                            ; =>This Inner Loop Header: Depth=1
	s_waitcnt lgkmcnt(0)
	v_add_f64 v[8:9], v[5:6], v[14:15]
	ds_cmpstore_rtn_b64 v[8:9], v7, v[8:9], v[5:6] offset:8
	s_waitcnt lgkmcnt(0)
	v_cmp_eq_u64_e32 vcc_lo, v[8:9], v[5:6]
	v_dual_mov_b32 v5, v8 :: v_dual_mov_b32 v6, v9
	s_or_b32 s24, vcc_lo, s24
	s_delay_alu instid0(SALU_CYCLE_1)
	s_and_not1_b32 exec_lo, exec_lo, s24
	s_cbranch_execnz .LBB101_150
; %bb.151:
	s_or_b32 exec_lo, exec_lo, s24
.LBB101_152:
	s_delay_alu instid0(SALU_CYCLE_1)
	s_or_b32 exec_lo, exec_lo, s0
.LBB101_153:
	s_delay_alu instid0(SALU_CYCLE_1)
	s_or_b32 exec_lo, exec_lo, s11
.LBB101_154:
	s_and_not1_saveexec_b32 s0, s10
	s_cbranch_execz .LBB101_156
; %bb.155:
	ds_load_b128 v[1:4], v27 offset:8192
.LBB101_156:
	s_or_b32 exec_lo, exec_lo, s0
	v_ashrrev_i32_e32 v13, 31, v12
	s_delay_alu instid0(VALU_DEP_1) | instskip(NEXT) | instid1(VALU_DEP_1)
	v_lshlrev_b64 v[5:6], 4, v[12:13]
	v_add_co_u32 v5, vcc_lo, s14, v5
	s_delay_alu instid0(VALU_DEP_2)
	v_add_co_ci_u32_e32 v6, vcc_lo, s15, v6, vcc_lo
	v_cmp_ne_u32_e32 vcc_lo, 1, v21
	global_load_b128 v[5:8], v[5:6], off
	s_and_b32 vcc_lo, exec_lo, vcc_lo
	s_waitcnt vmcnt(0) lgkmcnt(0)
	v_mul_f64 v[12:13], v[7:8], -v[3:4]
	v_mul_f64 v[7:8], v[7:8], v[1:2]
	s_delay_alu instid0(VALU_DEP_2) | instskip(NEXT) | instid1(VALU_DEP_2)
	v_fma_f64 v[12:13], v[1:2], v[5:6], v[12:13]
	v_fma_f64 v[14:15], v[3:4], v[5:6], v[7:8]
	v_mov_b32_e32 v3, s18
	v_mov_b32_e32 v1, s23
	ds_store_b128 v27, v[12:15] offset:8192
	s_cbranch_vccnz .LBB101_160
; %bb.157:
	v_mov_b32_e32 v3, s18
	v_mov_b32_e32 v1, s23
	s_mov_b32 s10, 0
	.p2align	6
.LBB101_158:                            ; =>This Inner Loop Header: Depth=1
	s_delay_alu instid0(VALU_DEP_1) | instskip(NEXT) | instid1(VALU_DEP_1)
	v_add_nc_u32_e32 v2, v1, v3
	v_lshrrev_b32_e32 v4, 31, v2
	s_delay_alu instid0(VALU_DEP_1) | instskip(NEXT) | instid1(VALU_DEP_1)
	v_add_nc_u32_e32 v2, v2, v4
	v_ashrrev_i32_e32 v4, 1, v2
	s_delay_alu instid0(VALU_DEP_1) | instskip(NEXT) | instid1(VALU_DEP_1)
	v_ashrrev_i32_e32 v5, 31, v4
	v_lshlrev_b64 v[5:6], 2, v[4:5]
	s_delay_alu instid0(VALU_DEP_1) | instskip(NEXT) | instid1(VALU_DEP_2)
	v_add_co_u32 v5, vcc_lo, s8, v5
	v_add_co_ci_u32_e32 v6, vcc_lo, s9, v6, vcc_lo
	global_load_b32 v2, v[5:6], off
	s_waitcnt vmcnt(0)
	v_subrev_nc_u32_e32 v2, s20, v2
	s_delay_alu instid0(VALU_DEP_1) | instskip(SKIP_2) | instid1(VALU_DEP_1)
	v_cmp_gt_i32_e32 vcc_lo, v2, v20
	v_cndmask_b32_e32 v3, v4, v3, vcc_lo
	v_cndmask_b32_e32 v1, v1, v4, vcc_lo
	v_add_nc_u32_e32 v2, -1, v1
	s_delay_alu instid0(VALU_DEP_3) | instskip(NEXT) | instid1(VALU_DEP_2)
	v_cmp_ge_i32_e32 vcc_lo, v3, v1
	v_cmp_eq_u32_e64 s0, v3, v2
	s_delay_alu instid0(VALU_DEP_1) | instskip(NEXT) | instid1(SALU_CYCLE_1)
	s_or_b32 s0, vcc_lo, s0
	s_and_b32 s0, exec_lo, s0
	s_delay_alu instid0(SALU_CYCLE_1) | instskip(NEXT) | instid1(SALU_CYCLE_1)
	s_or_b32 s10, s0, s10
	s_and_not1_b32 exec_lo, exec_lo, s10
	s_cbranch_execnz .LBB101_158
; %bb.159:
	s_or_b32 exec_lo, exec_lo, s10
.LBB101_160:
	v_ashrrev_i32_e32 v2, 31, v1
	s_mov_b32 s0, exec_lo
	s_delay_alu instid0(VALU_DEP_1) | instskip(NEXT) | instid1(VALU_DEP_1)
	v_lshlrev_b64 v[4:5], 2, v[1:2]
	v_add_co_u32 v4, vcc_lo, s8, v4
	s_delay_alu instid0(VALU_DEP_2)
	v_add_co_ci_u32_e32 v5, vcc_lo, s9, v5, vcc_lo
	global_load_b32 v2, v[4:5], off
	global_load_b32 v4, v[10:11], off offset:3072
	s_waitcnt vmcnt(1)
	v_subrev_nc_u32_e32 v2, s20, v2
	s_waitcnt vmcnt(0)
	v_subrev_nc_u32_e32 v9, s20, v4
	s_delay_alu instid0(VALU_DEP_2) | instskip(SKIP_1) | instid1(VALU_DEP_1)
	v_cmp_gt_i32_e32 vcc_lo, v2, v20
	v_cndmask_b32_e32 v5, v1, v3, vcc_lo
                                        ; implicit-def: $vgpr1_vgpr2
	v_cmpx_ne_u32_e64 v9, v5
	s_xor_b32 s10, exec_lo, s0
	s_cbranch_execz .LBB101_176
; %bb.161:
	s_load_b32 s0, s[6:7], 0x0
	ds_load_b128 v[1:4], v27 offset:12288
	s_mov_b32 s6, exec_lo
	s_waitcnt lgkmcnt(0)
	s_sub_i32 s0, s0, s20
	s_delay_alu instid0(SALU_CYCLE_1)
	v_cmpx_gt_i32_e64 s0, v20
	s_cbranch_execz .LBB101_175
; %bb.162:
	v_ashrrev_i32_e32 v6, 31, v5
	v_cmp_le_i32_e64 s0, s19, v9
	s_delay_alu instid0(VALU_DEP_2) | instskip(NEXT) | instid1(VALU_DEP_1)
	v_lshlrev_b64 v[5:6], 4, v[5:6]
	v_add_co_u32 v5, vcc_lo, s14, v5
	s_delay_alu instid0(VALU_DEP_2)
	v_add_co_ci_u32_e32 v6, vcc_lo, s15, v6, vcc_lo
	v_cmp_gt_i32_e32 vcc_lo, s12, v9
	global_load_b128 v[5:8], v[5:6], off
	s_or_b32 s0, vcc_lo, s0
	s_waitcnt vmcnt(0)
	v_mul_f64 v[10:11], v[7:8], -v[3:4]
	v_mul_f64 v[7:8], v[7:8], v[1:2]
	s_delay_alu instid0(VALU_DEP_2) | instskip(NEXT) | instid1(VALU_DEP_2)
	v_fma_f64 v[13:14], v[1:2], v[5:6], v[10:11]
	v_fma_f64 v[11:12], v[3:4], v[5:6], v[7:8]
	s_and_saveexec_b32 s7, s0
	s_delay_alu instid0(SALU_CYCLE_1)
	s_xor_b32 s0, exec_lo, s7
	s_cbranch_execz .LBB101_168
; %bb.163:
	v_ashrrev_i32_e32 v10, 31, v9
	s_mov_b32 s7, 0
	s_delay_alu instid0(VALU_DEP_1) | instskip(NEXT) | instid1(VALU_DEP_1)
	v_lshlrev_b64 v[5:6], 4, v[9:10]
	v_add_co_u32 v15, vcc_lo, s16, v5
	s_delay_alu instid0(VALU_DEP_2)
	v_add_co_ci_u32_e32 v16, vcc_lo, s17, v6, vcc_lo
	global_load_b64 v[7:8], v[15:16], off
.LBB101_164:                            ; =>This Inner Loop Header: Depth=1
	s_waitcnt vmcnt(0)
	v_add_f64 v[5:6], v[7:8], v[13:14]
	global_atomic_cmpswap_b64 v[5:6], v[15:16], v[5:8], off glc
	s_waitcnt vmcnt(0)
	v_cmp_eq_u64_e32 vcc_lo, v[5:6], v[7:8]
	v_dual_mov_b32 v8, v6 :: v_dual_mov_b32 v7, v5
	s_or_b32 s7, vcc_lo, s7
	s_delay_alu instid0(SALU_CYCLE_1)
	s_and_not1_b32 exec_lo, exec_lo, s7
	s_cbranch_execnz .LBB101_164
; %bb.165:
	s_or_b32 exec_lo, exec_lo, s7
	global_load_b64 v[7:8], v[15:16], off offset:8
	s_mov_b32 s7, 0
.LBB101_166:                            ; =>This Inner Loop Header: Depth=1
	s_waitcnt vmcnt(0)
	v_add_f64 v[5:6], v[7:8], v[11:12]
	global_atomic_cmpswap_b64 v[5:6], v[15:16], v[5:8], off offset:8 glc
	s_waitcnt vmcnt(0)
	v_cmp_eq_u64_e32 vcc_lo, v[5:6], v[7:8]
	v_dual_mov_b32 v8, v6 :: v_dual_mov_b32 v7, v5
	s_or_b32 s7, vcc_lo, s7
	s_delay_alu instid0(SALU_CYCLE_1)
	s_and_not1_b32 exec_lo, exec_lo, s7
	s_cbranch_execnz .LBB101_166
; %bb.167:
	s_or_b32 exec_lo, exec_lo, s7
                                        ; implicit-def: $vgpr11_vgpr12
                                        ; implicit-def: $vgpr13_vgpr14
.LBB101_168:
	s_and_not1_saveexec_b32 s0, s0
	s_cbranch_execz .LBB101_174
; %bb.169:
	v_subrev_nc_u32_e32 v5, s12, v9
	s_mov_b32 s7, 0
	s_delay_alu instid0(VALU_DEP_1)
	v_lshl_add_u32 v7, v5, 4, 0x4000
	ds_load_b64 v[5:6], v7
.LBB101_170:                            ; =>This Inner Loop Header: Depth=1
	s_waitcnt lgkmcnt(0)
	v_add_f64 v[15:16], v[5:6], v[13:14]
	ds_cmpstore_rtn_b64 v[15:16], v7, v[15:16], v[5:6]
	s_waitcnt lgkmcnt(0)
	v_cmp_eq_u64_e32 vcc_lo, v[15:16], v[5:6]
	v_dual_mov_b32 v5, v15 :: v_dual_mov_b32 v6, v16
	s_or_b32 s7, vcc_lo, s7
	s_delay_alu instid0(SALU_CYCLE_1)
	s_and_not1_b32 exec_lo, exec_lo, s7
	s_cbranch_execnz .LBB101_170
; %bb.171:
	s_or_b32 exec_lo, exec_lo, s7
	ds_load_b64 v[5:6], v7 offset:8
	s_mov_b32 s7, 0
.LBB101_172:                            ; =>This Inner Loop Header: Depth=1
	s_waitcnt lgkmcnt(0)
	v_add_f64 v[13:14], v[5:6], v[11:12]
	ds_cmpstore_rtn_b64 v[13:14], v7, v[13:14], v[5:6] offset:8
	s_waitcnt lgkmcnt(0)
	v_cmp_eq_u64_e32 vcc_lo, v[13:14], v[5:6]
	v_dual_mov_b32 v5, v13 :: v_dual_mov_b32 v6, v14
	s_or_b32 s7, vcc_lo, s7
	s_delay_alu instid0(SALU_CYCLE_1)
	s_and_not1_b32 exec_lo, exec_lo, s7
	s_cbranch_execnz .LBB101_172
; %bb.173:
	s_or_b32 exec_lo, exec_lo, s7
.LBB101_174:
	s_delay_alu instid0(SALU_CYCLE_1)
	s_or_b32 exec_lo, exec_lo, s0
.LBB101_175:
	s_delay_alu instid0(SALU_CYCLE_1)
	s_or_b32 exec_lo, exec_lo, s6
.LBB101_176:
	s_and_not1_saveexec_b32 s0, s10
	s_cbranch_execz .LBB101_178
; %bb.177:
	ds_load_b128 v[1:4], v27 offset:12288
.LBB101_178:
	s_or_b32 exec_lo, exec_lo, s0
	v_ashrrev_i32_e32 v10, 31, v9
	s_delay_alu instid0(VALU_DEP_1) | instskip(NEXT) | instid1(VALU_DEP_1)
	v_lshlrev_b64 v[5:6], 4, v[9:10]
	v_add_co_u32 v5, vcc_lo, s14, v5
	s_delay_alu instid0(VALU_DEP_2) | instskip(SKIP_4) | instid1(VALU_DEP_2)
	v_add_co_ci_u32_e32 v6, vcc_lo, s15, v6, vcc_lo
	global_load_b128 v[5:8], v[5:6], off
	s_waitcnt vmcnt(0) lgkmcnt(0)
	v_mul_f64 v[9:10], v[7:8], -v[3:4]
	v_mul_f64 v[7:8], v[7:8], v[1:2]
	v_fma_f64 v[1:2], v[1:2], v[5:6], v[9:10]
	s_delay_alu instid0(VALU_DEP_2)
	v_fma_f64 v[3:4], v[3:4], v[5:6], v[7:8]
	ds_store_b128 v27, v[1:4] offset:12288
.LBB101_179:
	s_or_b32 exec_lo, exec_lo, s13
	s_min_i32 s7, s19, s5
	s_mov_b32 s5, exec_lo
	s_sub_i32 s0, s7, s21
	s_waitcnt lgkmcnt(0)
	s_barrier
	buffer_gl0_inv
	v_cmpx_gt_i32_e64 s0, v0
	s_cbranch_execz .LBB101_186
; %bb.180:
	v_mov_b32_e32 v11, v0
	s_mov_b32 s6, 0
	s_set_inst_prefetch_distance 0x1
	.p2align	6
.LBB101_181:                            ; =>This Loop Header: Depth=1
                                        ;     Child Loop BB101_182 Depth 2
                                        ;     Child Loop BB101_184 Depth 2
	s_delay_alu instid0(VALU_DEP_1) | instskip(SKIP_1) | instid1(VALU_DEP_1)
	v_add_nc_u32_e32 v1, s12, v11
	s_mov_b32 s10, 0
	v_ashrrev_i32_e32 v2, 31, v1
	s_delay_alu instid0(VALU_DEP_1) | instskip(NEXT) | instid1(VALU_DEP_1)
	v_lshlrev_b64 v[1:2], 4, v[1:2]
	v_add_co_u32 v9, vcc_lo, s16, v1
	s_delay_alu instid0(VALU_DEP_2)
	v_add_co_ci_u32_e32 v10, vcc_lo, s17, v2, vcc_lo
	v_lshl_add_u32 v1, v11, 4, 0x4000
	global_load_b64 v[7:8], v[9:10], off
	ds_load_2addr_b64 v[1:4], v1 offset1:1
.LBB101_182:                            ;   Parent Loop BB101_181 Depth=1
                                        ; =>  This Inner Loop Header: Depth=2
	s_waitcnt vmcnt(0) lgkmcnt(0)
	v_add_f64 v[5:6], v[7:8], v[1:2]
	global_atomic_cmpswap_b64 v[5:6], v[9:10], v[5:8], off glc
	s_waitcnt vmcnt(0)
	v_cmp_eq_u64_e32 vcc_lo, v[5:6], v[7:8]
	v_dual_mov_b32 v8, v6 :: v_dual_mov_b32 v7, v5
	s_or_b32 s10, vcc_lo, s10
	s_delay_alu instid0(SALU_CYCLE_1)
	s_and_not1_b32 exec_lo, exec_lo, s10
	s_cbranch_execnz .LBB101_182
; %bb.183:                              ;   in Loop: Header=BB101_181 Depth=1
	s_or_b32 exec_lo, exec_lo, s10
	global_load_b64 v[7:8], v[9:10], off offset:8
	s_mov_b32 s10, 0
.LBB101_184:                            ;   Parent Loop BB101_181 Depth=1
                                        ; =>  This Inner Loop Header: Depth=2
	s_waitcnt vmcnt(0)
	v_add_f64 v[5:6], v[7:8], v[3:4]
	global_atomic_cmpswap_b64 v[1:2], v[9:10], v[5:8], off offset:8 glc
	s_waitcnt vmcnt(0)
	v_cmp_eq_u64_e32 vcc_lo, v[1:2], v[7:8]
	v_dual_mov_b32 v8, v2 :: v_dual_mov_b32 v7, v1
	s_or_b32 s10, vcc_lo, s10
	s_delay_alu instid0(SALU_CYCLE_1)
	s_and_not1_b32 exec_lo, exec_lo, s10
	s_cbranch_execnz .LBB101_184
; %bb.185:                              ;   in Loop: Header=BB101_181 Depth=1
	s_or_b32 exec_lo, exec_lo, s10
	v_add_nc_u32_e32 v11, 0x100, v11
	s_delay_alu instid0(VALU_DEP_1) | instskip(SKIP_1) | instid1(SALU_CYCLE_1)
	v_cmp_le_i32_e32 vcc_lo, s0, v11
	s_or_b32 s6, vcc_lo, s6
	s_and_not1_b32 exec_lo, exec_lo, s6
	s_cbranch_execnz .LBB101_181
.LBB101_186:
	s_set_inst_prefetch_distance 0x2
	s_or_b32 exec_lo, exec_lo, s5
	s_mul_i32 s5, s4, s21
	s_add_i32 s6, s4, 1
	s_sub_i32 s5, s1, s5
	v_add_nc_u32_e32 v9, s18, v0
	s_sub_i32 s10, s5, s21
	s_cmp_ge_u32 s5, s21
	s_cselect_b32 s4, s6, s4
	s_cselect_b32 s5, s10, s5
	s_add_i32 s6, s4, 1
	s_cmp_ge_u32 s5, s21
	s_barrier
	s_cselect_b32 s4, s6, s4
	s_mov_b32 s6, -1
	s_add_i32 s4, s4, -1
	buffer_gl0_inv
	s_ashr_i32 s5, s4, 1
	s_delay_alu instid0(SALU_CYCLE_1) | instskip(NEXT) | instid1(SALU_CYCLE_1)
	s_or_b32 s4, s5, s4
	s_ashr_i32 s5, s4, 2
	s_delay_alu instid0(SALU_CYCLE_1) | instskip(NEXT) | instid1(SALU_CYCLE_1)
	s_or_b32 s4, s5, s4
	;; [unrolled: 3-line block ×5, first 2 shown]
	s_add_i32 s4, s4, 1
	s_delay_alu instid0(SALU_CYCLE_1) | instskip(NEXT) | instid1(SALU_CYCLE_1)
	s_ashr_i32 s5, s4, 1
	s_cmp_gt_i32 s5, 1
	s_cbranch_scc1 .LBB101_199
; %bb.187:
	s_mov_b32 s6, exec_lo
	v_cmpx_gt_i32_e64 s19, v9
	s_cbranch_execz .LBB101_198
; %bb.188:
	s_sub_i32 s7, s7, s19
	v_mov_b32_e32 v10, v9
	s_lshl_b32 s11, s22, 4
	s_lshl_b32 s7, s7, 4
	s_mov_b32 s10, 0
	s_addk_i32 s7, 0x4000
	s_sub_i32 s11, 0, s11
.LBB101_189:                            ; =>This Loop Header: Depth=1
                                        ;     Child Loop BB101_191 Depth 2
                                        ;     Child Loop BB101_194 Depth 2
	;; [unrolled: 1-line block ×3, first 2 shown]
	v_ashrrev_i32_e32 v11, 31, v10
	v_mov_b32_e32 v12, 0
	v_mov_b32_e32 v13, 0
	s_delay_alu instid0(VALU_DEP_2) | instskip(SKIP_2) | instid1(VALU_DEP_3)
	v_mov_b32_e32 v5, v12
	s_mov_b32 s12, exec_lo
	v_lshlrev_b64 v[1:2], 2, v[10:11]
	v_mov_b32_e32 v6, v13
	s_delay_alu instid0(VALU_DEP_2) | instskip(NEXT) | instid1(VALU_DEP_3)
	v_add_co_u32 v1, vcc_lo, s8, v1
	v_add_co_ci_u32_e32 v2, vcc_lo, s9, v2, vcc_lo
	global_load_b64 v[1:2], v[1:2], off
	s_waitcnt vmcnt(0)
	v_cmpx_lt_i32_e64 v1, v2
	s_cbranch_execz .LBB101_193
; %bb.190:                              ;   in Loop: Header=BB101_189 Depth=1
	v_mov_b32_e32 v12, 0
	v_mov_b32_e32 v13, 0
	v_subrev_nc_u32_e32 v2, s22, v2
	v_subrev_nc_u32_e32 v3, s22, v1
	v_lshl_add_u32 v1, v1, 4, s11
	s_delay_alu instid0(VALU_DEP_4)
	v_dual_mov_b32 v5, v12 :: v_dual_mov_b32 v6, v13
	s_mov_b32 s13, 0
.LBB101_191:                            ;   Parent Loop BB101_189 Depth=1
                                        ; =>  This Inner Loop Header: Depth=2
	ds_load_b128 v[14:17], v1
	v_add_nc_u32_e32 v3, 1, v3
	v_add_nc_u32_e32 v1, 16, v1
	s_delay_alu instid0(VALU_DEP_2)
	v_cmp_ge_i32_e32 vcc_lo, v3, v2
	s_or_b32 s13, vcc_lo, s13
	s_waitcnt lgkmcnt(0)
	v_add_f64 v[5:6], v[5:6], v[14:15]
	v_add_f64 v[12:13], v[12:13], v[16:17]
	s_and_not1_b32 exec_lo, exec_lo, s13
	s_cbranch_execnz .LBB101_191
; %bb.192:                              ;   in Loop: Header=BB101_189 Depth=1
	s_or_b32 exec_lo, exec_lo, s13
.LBB101_193:                            ;   in Loop: Header=BB101_189 Depth=1
	s_delay_alu instid0(SALU_CYCLE_1) | instskip(SKIP_2) | instid1(VALU_DEP_1)
	s_or_b32 exec_lo, exec_lo, s12
	v_lshlrev_b64 v[1:2], 4, v[10:11]
	s_mov_b32 s12, 0
	v_add_co_u32 v14, vcc_lo, s16, v1
	s_delay_alu instid0(VALU_DEP_2)
	v_add_co_ci_u32_e32 v15, vcc_lo, s17, v2, vcc_lo
	v_lshl_add_u32 v1, v10, 4, s7
	global_load_b64 v[7:8], v[14:15], off
	ds_load_2addr_b64 v[1:4], v1 offset1:1
	s_waitcnt lgkmcnt(0)
	v_add_f64 v[1:2], v[5:6], v[1:2]
.LBB101_194:                            ;   Parent Loop BB101_189 Depth=1
                                        ; =>  This Inner Loop Header: Depth=2
	s_waitcnt vmcnt(0)
	s_delay_alu instid0(VALU_DEP_1)
	v_add_f64 v[5:6], v[7:8], v[1:2]
	global_atomic_cmpswap_b64 v[5:6], v[14:15], v[5:8], off glc
	s_waitcnt vmcnt(0)
	v_cmp_eq_u64_e32 vcc_lo, v[5:6], v[7:8]
	v_dual_mov_b32 v8, v6 :: v_dual_mov_b32 v7, v5
	s_or_b32 s12, vcc_lo, s12
	s_delay_alu instid0(SALU_CYCLE_1)
	s_and_not1_b32 exec_lo, exec_lo, s12
	s_cbranch_execnz .LBB101_194
; %bb.195:                              ;   in Loop: Header=BB101_189 Depth=1
	s_or_b32 exec_lo, exec_lo, s12
	global_load_b64 v[5:6], v[14:15], off offset:8
	v_add_f64 v[1:2], v[12:13], v[3:4]
	s_mov_b32 s12, 0
.LBB101_196:                            ;   Parent Loop BB101_189 Depth=1
                                        ; =>  This Inner Loop Header: Depth=2
	s_waitcnt vmcnt(0)
	s_delay_alu instid0(VALU_DEP_1)
	v_add_f64 v[3:4], v[5:6], v[1:2]
	global_atomic_cmpswap_b64 v[3:4], v[14:15], v[3:6], off offset:8 glc
	s_waitcnt vmcnt(0)
	v_cmp_eq_u64_e32 vcc_lo, v[3:4], v[5:6]
	v_dual_mov_b32 v6, v4 :: v_dual_mov_b32 v5, v3
	s_or_b32 s12, vcc_lo, s12
	s_delay_alu instid0(SALU_CYCLE_1)
	s_and_not1_b32 exec_lo, exec_lo, s12
	s_cbranch_execnz .LBB101_196
; %bb.197:                              ;   in Loop: Header=BB101_189 Depth=1
	s_or_b32 exec_lo, exec_lo, s12
	v_add_nc_u32_e32 v10, s1, v10
	s_delay_alu instid0(VALU_DEP_1) | instskip(SKIP_1) | instid1(SALU_CYCLE_1)
	v_cmp_le_i32_e32 vcc_lo, s19, v10
	s_or_b32 s10, vcc_lo, s10
	s_and_not1_b32 exec_lo, exec_lo, s10
	s_cbranch_execnz .LBB101_189
.LBB101_198:
	s_or_b32 exec_lo, exec_lo, s6
	s_mov_b32 s6, 0
.LBB101_199:
	s_delay_alu instid0(SALU_CYCLE_1)
	s_and_not1_b32 vcc_lo, exec_lo, s6
	s_cbranch_vccnz .LBB101_226
; %bb.200:
	v_cvt_f32_u32_e32 v1, s5
	s_sub_i32 s1, 0, s5
	s_delay_alu instid0(VALU_DEP_1) | instskip(SKIP_2) | instid1(VALU_DEP_1)
	v_rcp_iflag_f32_e32 v1, v1
	s_waitcnt_depctr 0xfff
	v_mul_f32_e32 v1, 0x4f7ffffe, v1
	v_cvt_u32_f32_e32 v1, v1
	s_delay_alu instid0(VALU_DEP_1) | instskip(NEXT) | instid1(VALU_DEP_1)
	v_mul_lo_u32 v2, s1, v1
	v_mul_hi_u32 v2, v1, v2
	s_delay_alu instid0(VALU_DEP_1) | instskip(NEXT) | instid1(VALU_DEP_1)
	v_add_nc_u32_e32 v1, v1, v2
	v_mul_hi_u32 v1, v0, v1
	s_delay_alu instid0(VALU_DEP_1) | instskip(SKIP_1) | instid1(VALU_DEP_2)
	v_mul_lo_u32 v2, v1, s5
	v_add_nc_u32_e32 v3, 1, v1
	v_sub_nc_u32_e32 v2, v0, v2
	s_delay_alu instid0(VALU_DEP_1) | instskip(SKIP_1) | instid1(VALU_DEP_2)
	v_subrev_nc_u32_e32 v4, s5, v2
	v_cmp_le_u32_e32 vcc_lo, s5, v2
	v_dual_cndmask_b32 v1, v1, v3 :: v_dual_cndmask_b32 v2, v2, v4
	s_delay_alu instid0(VALU_DEP_1) | instskip(NEXT) | instid1(VALU_DEP_2)
	v_add_nc_u32_e32 v3, 1, v1
	v_cmp_le_u32_e32 vcc_lo, s5, v2
	s_delay_alu instid0(VALU_DEP_2) | instskip(SKIP_2) | instid1(VALU_DEP_3)
	v_cndmask_b32_e32 v1, v1, v3, vcc_lo
	v_mov_b32_e32 v3, 0
	v_mov_b32_e32 v4, 0
	v_lshlrev_b32_e32 v2, 2, v1
	v_cmp_gt_i32_e32 vcc_lo, s21, v1
	global_load_b64 v[6:7], v2, s[2:3]
	v_dual_mov_b32 v1, v3 :: v_dual_mov_b32 v2, v4
	s_and_saveexec_b32 s1, vcc_lo
	s_cbranch_execz .LBB101_214
; %bb.201:
	s_abs_i32 s2, s5
	s_waitcnt vmcnt(0)
	v_subrev_nc_u32_e32 v5, s22, v6
	v_cvt_f32_u32_e32 v1, s2
	s_sub_i32 s3, 0, s2
	v_subrev_nc_u32_e32 v8, s22, v7
	s_delay_alu instid0(VALU_DEP_2) | instskip(NEXT) | instid1(VALU_DEP_1)
	v_rcp_iflag_f32_e32 v1, v1
	v_sub_nc_u32_e32 v3, v8, v5
	s_delay_alu instid0(VALU_DEP_1) | instskip(SKIP_4) | instid1(VALU_DEP_3)
	v_sub_nc_u32_e32 v4, 0, v3
	s_waitcnt_depctr 0xfff
	v_mul_f32_e32 v1, 0x4f7ffffe, v1
	v_max_i32_e32 v4, v3, v4
	v_ashrrev_i32_e32 v3, 31, v3
	v_cvt_u32_f32_e32 v1, v1
	s_delay_alu instid0(VALU_DEP_1) | instskip(SKIP_1) | instid1(VALU_DEP_1)
	v_mul_lo_u32 v2, s3, v1
	s_ashr_i32 s3, s5, 31
	v_mul_hi_u32 v2, v1, v2
	s_delay_alu instid0(VALU_DEP_1) | instskip(NEXT) | instid1(VALU_DEP_1)
	v_add_nc_u32_e32 v7, v1, v2
	v_mad_u64_u32 v[1:2], null, v4, v7, 0
	s_delay_alu instid0(VALU_DEP_1) | instskip(NEXT) | instid1(VALU_DEP_1)
	v_mul_lo_u32 v1, v2, s2
	v_sub_nc_u32_e32 v1, v4, v1
	v_add_nc_u32_e32 v4, 1, v2
	s_delay_alu instid0(VALU_DEP_2) | instskip(SKIP_1) | instid1(VALU_DEP_2)
	v_subrev_nc_u32_e32 v7, s2, v1
	v_cmp_le_u32_e32 vcc_lo, s2, v1
	v_dual_cndmask_b32 v2, v2, v4 :: v_dual_cndmask_b32 v1, v1, v7
	v_xor_b32_e32 v7, s3, v3
	s_delay_alu instid0(VALU_DEP_2) | instskip(NEXT) | instid1(VALU_DEP_3)
	v_add_nc_u32_e32 v4, 1, v2
	v_cmp_le_u32_e32 vcc_lo, s2, v1
	s_add_i32 s2, s5, -1
	s_delay_alu instid0(SALU_CYCLE_1) | instskip(SKIP_4) | instid1(VALU_DEP_3)
	v_and_b32_e32 v10, s2, v0
	s_mov_b32 s2, exec_lo
	v_cndmask_b32_e32 v1, v2, v4, vcc_lo
	v_mov_b32_e32 v3, 0
	v_mov_b32_e32 v4, 0
	v_xor_b32_e32 v1, v1, v7
	s_delay_alu instid0(VALU_DEP_1) | instskip(NEXT) | instid1(VALU_DEP_3)
	v_sub_nc_u32_e32 v11, v1, v7
	v_dual_mov_b32 v1, v3 :: v_dual_mov_b32 v2, v4
	s_delay_alu instid0(VALU_DEP_2)
	v_cmpx_lt_i32_e32 0, v11
	s_cbranch_execz .LBB101_211
; %bb.202:
	v_mov_b32_e32 v1, 0
	v_dual_mov_b32 v2, 0 :: v_dual_mov_b32 v7, 0
	s_mov_b32 s3, exec_lo
	s_delay_alu instid0(VALU_DEP_1)
	v_dual_mov_b32 v4, v2 :: v_dual_mov_b32 v3, v1
	v_cmpx_lt_u32_e32 7, v11
	s_cbranch_execz .LBB101_206
; %bb.203:
	v_add_nc_u32_e32 v1, v6, v10
	v_mov_b32_e32 v3, 0
	v_dual_mov_b32 v4, 0 :: v_dual_and_b32 v7, 0x7ffffff8, v11
	s_lshl_b32 s6, s5, 7
	s_delay_alu instid0(VALU_DEP_3) | instskip(SKIP_3) | instid1(VALU_DEP_1)
	v_subrev_nc_u32_e32 v1, s22, v1
	s_lshl_b32 s8, s5, 4
	s_mov_b32 s7, 0
	s_mov_b32 s9, 0
	v_dual_mov_b32 v1, v3 :: v_dual_lshlrev_b32 v12, 4, v1
	v_mov_b32_e32 v2, v4
.LBB101_204:                            ; =>This Inner Loop Header: Depth=1
	ds_load_b128 v[13:16], v12
	s_add_i32 s9, s9, 8
	s_delay_alu instid0(SALU_CYCLE_1)
	v_cmp_eq_u32_e32 vcc_lo, s9, v7
	s_or_b32 s7, vcc_lo, s7
	s_waitcnt lgkmcnt(0)
	v_add_f64 v[17:18], v[1:2], v[13:14]
	v_add_f64 v[19:20], v[3:4], v[15:16]
	v_add_nc_u32_e32 v13, s8, v12
	v_add_nc_u32_e32 v12, s6, v12
	ds_load_b128 v[1:4], v13
	v_add_nc_u32_e32 v21, s8, v13
	ds_load_b128 v[13:16], v21
	s_waitcnt lgkmcnt(1)
	v_add_f64 v[1:2], v[17:18], v[1:2]
	v_add_f64 v[3:4], v[19:20], v[3:4]
	s_waitcnt lgkmcnt(0)
	s_delay_alu instid0(VALU_DEP_2) | instskip(NEXT) | instid1(VALU_DEP_2)
	v_add_f64 v[17:18], v[1:2], v[13:14]
	v_add_f64 v[19:20], v[3:4], v[15:16]
	v_add_nc_u32_e32 v13, s8, v21
	ds_load_b128 v[1:4], v13
	v_add_nc_u32_e32 v21, s8, v13
	ds_load_b128 v[13:16], v21
	s_waitcnt lgkmcnt(1)
	v_add_f64 v[1:2], v[17:18], v[1:2]
	v_add_f64 v[3:4], v[19:20], v[3:4]
	v_add_nc_u32_e32 v17, s8, v21
	s_waitcnt lgkmcnt(0)
	s_delay_alu instid0(VALU_DEP_3) | instskip(NEXT) | instid1(VALU_DEP_3)
	v_add_f64 v[13:14], v[1:2], v[13:14]
	v_add_f64 v[15:16], v[3:4], v[15:16]
	ds_load_b128 v[1:4], v17
	v_add_nc_u32_e32 v17, s8, v17
	s_waitcnt lgkmcnt(0)
	v_add_f64 v[13:14], v[13:14], v[1:2]
	v_add_f64 v[15:16], v[15:16], v[3:4]
	ds_load_2addr_b64 v[1:4], v17 offset1:1
	s_waitcnt lgkmcnt(0)
	v_add_f64 v[13:14], v[13:14], v[1:2]
	v_add_f64 v[15:16], v[15:16], v[3:4]
	v_add_nc_u32_e32 v1, s8, v17
	ds_load_2addr_b64 v[1:4], v1 offset1:1
	s_waitcnt lgkmcnt(0)
	v_add_f64 v[1:2], v[13:14], v[1:2]
	v_add_f64 v[3:4], v[15:16], v[3:4]
	s_and_not1_b32 exec_lo, exec_lo, s7
	s_cbranch_execnz .LBB101_204
; %bb.205:
	s_or_b32 exec_lo, exec_lo, s7
.LBB101_206:
	s_delay_alu instid0(SALU_CYCLE_1) | instskip(SKIP_3) | instid1(VALU_DEP_1)
	s_or_b32 exec_lo, exec_lo, s3
	v_and_b32_e32 v12, 7, v11
	s_mov_b32 s6, 0
	s_mov_b32 s3, exec_lo
	v_cmpx_ne_u32_e32 0, v12
	s_cbranch_execz .LBB101_210
; %bb.207:
	v_mul_lo_u32 v7, v7, s5
	s_lshl_b32 s7, s5, 4
	s_delay_alu instid0(VALU_DEP_1) | instskip(NEXT) | instid1(VALU_DEP_1)
	v_add3_u32 v6, v6, v10, v7
	v_subrev_nc_u32_e32 v6, s22, v6
	s_delay_alu instid0(VALU_DEP_1)
	v_lshlrev_b32_e32 v6, 4, v6
.LBB101_208:                            ; =>This Inner Loop Header: Depth=1
	ds_load_b128 v[13:16], v6
	v_add_nc_u32_e32 v12, -1, v12
	v_add_nc_u32_e32 v6, s7, v6
	s_delay_alu instid0(VALU_DEP_2)
	v_cmp_eq_u32_e32 vcc_lo, 0, v12
	s_or_b32 s6, vcc_lo, s6
	s_waitcnt lgkmcnt(0)
	v_add_f64 v[1:2], v[1:2], v[13:14]
	v_add_f64 v[3:4], v[3:4], v[15:16]
	s_and_not1_b32 exec_lo, exec_lo, s6
	s_cbranch_execnz .LBB101_208
; %bb.209:
	s_or_b32 exec_lo, exec_lo, s6
.LBB101_210:
	s_delay_alu instid0(SALU_CYCLE_1)
	s_or_b32 exec_lo, exec_lo, s3
.LBB101_211:
	s_delay_alu instid0(SALU_CYCLE_1) | instskip(SKIP_2) | instid1(VALU_DEP_1)
	s_or_b32 exec_lo, exec_lo, s2
	v_mad_u64_u32 v[6:7], null, v11, s5, v[5:6]
	s_mov_b32 s2, exec_lo
	v_sub_nc_u32_e32 v5, v8, v6
	s_delay_alu instid0(VALU_DEP_1)
	v_cmpx_lt_i32_e64 v10, v5
	s_cbranch_execz .LBB101_213
; %bb.212:
	v_add_lshl_u32 v5, v6, v10, 4
	ds_load_b128 v[5:8], v5
	s_waitcnt lgkmcnt(0)
	v_add_f64 v[1:2], v[1:2], v[5:6]
	v_add_f64 v[3:4], v[3:4], v[7:8]
.LBB101_213:
	s_or_b32 exec_lo, exec_lo, s2
.LBB101_214:
	s_delay_alu instid0(SALU_CYCLE_1)
	s_or_b32 exec_lo, exec_lo, s1
	v_cmp_gt_i32_e32 vcc_lo, s21, v0
	s_waitcnt vmcnt(0)
	s_barrier
	buffer_gl0_inv
	ds_store_b128 v27, v[1:4]
	s_waitcnt lgkmcnt(0)
	s_barrier
	buffer_gl0_inv
	s_and_b32 exec_lo, exec_lo, vcc_lo
	s_cbranch_execz .LBB101_226
; %bb.215:
	v_mul_lo_u32 v1, s5, v0
	v_mov_b32_e32 v4, 0
	v_mov_b32_e32 v5, 0
	s_cmp_lt_u32 s5, 8
	s_cbranch_scc1 .LBB101_218
; %bb.216:
	s_delay_alu instid0(VALU_DEP_3) | instskip(SKIP_1) | instid1(VALU_DEP_2)
	v_dual_mov_b32 v11, 0 :: v_dual_lshlrev_b32 v2, 4, v1
	v_mov_b32_e32 v12, 0
	v_mov_b32_e32 v4, v11
	s_and_b32 s1, s5, 0x7ffffff8
	s_mov_b32 s2, 0
	s_delay_alu instid0(VALU_DEP_2)
	v_mov_b32_e32 v5, v12
.LBB101_217:                            ; =>This Inner Loop Header: Depth=1
	ds_load_b128 v[13:16], v2
	ds_load_b128 v[17:20], v2 offset:16
	s_add_i32 s2, s2, 8
	s_delay_alu instid0(SALU_CYCLE_1) | instskip(SKIP_4) | instid1(VALU_DEP_2)
	s_cmp_eq_u32 s1, s2
	s_waitcnt lgkmcnt(1)
	v_add_f64 v[3:4], v[4:5], v[13:14]
	v_add_f64 v[5:6], v[11:12], v[15:16]
	s_waitcnt lgkmcnt(0)
	v_add_f64 v[7:8], v[3:4], v[17:18]
	s_delay_alu instid0(VALU_DEP_2)
	v_add_f64 v[14:15], v[5:6], v[19:20]
	ds_load_b128 v[3:6], v2 offset:32
	ds_load_b128 v[10:13], v2 offset:48
	s_waitcnt lgkmcnt(1)
	v_add_f64 v[3:4], v[7:8], v[3:4]
	v_add_f64 v[5:6], v[14:15], v[5:6]
	s_waitcnt lgkmcnt(0)
	s_delay_alu instid0(VALU_DEP_2) | instskip(NEXT) | instid1(VALU_DEP_2)
	v_add_f64 v[7:8], v[3:4], v[10:11]
	v_add_f64 v[14:15], v[5:6], v[12:13]
	ds_load_b128 v[3:6], v2 offset:64
	ds_load_b128 v[10:13], v2 offset:80
	s_waitcnt lgkmcnt(1)
	v_add_f64 v[3:4], v[7:8], v[3:4]
	v_add_f64 v[5:6], v[14:15], v[5:6]
	s_waitcnt lgkmcnt(0)
	s_delay_alu instid0(VALU_DEP_2) | instskip(NEXT) | instid1(VALU_DEP_2)
	v_add_f64 v[7:8], v[3:4], v[10:11]
	v_add_f64 v[14:15], v[5:6], v[12:13]
	ds_load_b128 v[3:6], v2 offset:96
	ds_load_b128 v[10:13], v2 offset:112
	v_add_nc_u32_e32 v2, 0x80, v2
	s_waitcnt lgkmcnt(1)
	v_add_f64 v[3:4], v[7:8], v[3:4]
	v_add_f64 v[6:7], v[14:15], v[5:6]
	s_waitcnt lgkmcnt(0)
	s_delay_alu instid0(VALU_DEP_2) | instskip(NEXT) | instid1(VALU_DEP_2)
	v_add_f64 v[4:5], v[3:4], v[10:11]
	v_add_f64 v[11:12], v[6:7], v[12:13]
	s_cbranch_scc0 .LBB101_217
	s_branch .LBB101_219
.LBB101_218:
	s_delay_alu instid0(VALU_DEP_1)
	v_dual_mov_b32 v12, v5 :: v_dual_mov_b32 v11, v4
	s_mov_b32 s1, 0
.LBB101_219:
	s_bfe_u32 s2, s4, 0x30001
	s_delay_alu instid0(SALU_CYCLE_1)
	s_cmp_eq_u32 s2, 0
	s_cbranch_scc1 .LBB101_222
; %bb.220:
	v_add_lshl_u32 v1, s1, v1, 4
.LBB101_221:                            ; =>This Inner Loop Header: Depth=1
	ds_load_b128 v[13:16], v1
	v_add_nc_u32_e32 v1, 16, v1
	s_add_i32 s2, s2, -1
	s_delay_alu instid0(SALU_CYCLE_1)
	s_cmp_lg_u32 s2, 0
	s_waitcnt lgkmcnt(0)
	v_add_f64 v[4:5], v[4:5], v[13:14]
	v_add_f64 v[11:12], v[11:12], v[15:16]
	s_cbranch_scc1 .LBB101_221
.LBB101_222:
	v_ashrrev_i32_e32 v10, 31, v9
	v_lshlrev_b32_e32 v0, 4, v0
	s_lshl_b32 s0, s0, 4
	s_delay_alu instid0(VALU_DEP_2) | instskip(NEXT) | instid1(VALU_DEP_2)
	v_lshlrev_b64 v[1:2], 4, v[9:10]
	v_add3_u32 v0, 0x4000, s0, v0
	s_mov_b32 s0, 0
	s_delay_alu instid0(VALU_DEP_2) | instskip(NEXT) | instid1(VALU_DEP_3)
	v_add_co_u32 v8, vcc_lo, s16, v1
	v_add_co_ci_u32_e32 v9, vcc_lo, s17, v2, vcc_lo
	ds_load_2addr_b64 v[0:3], v0 offset1:1
	global_load_b64 v[6:7], v[8:9], off
	s_waitcnt lgkmcnt(0)
	v_add_f64 v[0:1], v[4:5], v[0:1]
.LBB101_223:                            ; =>This Inner Loop Header: Depth=1
	s_waitcnt vmcnt(0)
	s_delay_alu instid0(VALU_DEP_1)
	v_add_f64 v[4:5], v[6:7], v[0:1]
	global_atomic_cmpswap_b64 v[4:5], v[8:9], v[4:7], off glc
	s_waitcnt vmcnt(0)
	v_cmp_eq_u64_e32 vcc_lo, v[4:5], v[6:7]
	v_dual_mov_b32 v7, v5 :: v_dual_mov_b32 v6, v4
	s_or_b32 s0, vcc_lo, s0
	s_delay_alu instid0(SALU_CYCLE_1)
	s_and_not1_b32 exec_lo, exec_lo, s0
	s_cbranch_execnz .LBB101_223
; %bb.224:
	s_or_b32 exec_lo, exec_lo, s0
	global_load_b64 v[4:5], v[8:9], off offset:8
	v_add_f64 v[0:1], v[11:12], v[2:3]
	s_mov_b32 s0, 0
.LBB101_225:                            ; =>This Inner Loop Header: Depth=1
	s_waitcnt vmcnt(0)
	s_delay_alu instid0(VALU_DEP_1)
	v_add_f64 v[2:3], v[4:5], v[0:1]
	global_atomic_cmpswap_b64 v[2:3], v[8:9], v[2:5], off offset:8 glc
	s_waitcnt vmcnt(0)
	v_cmp_eq_u64_e32 vcc_lo, v[2:3], v[4:5]
	v_dual_mov_b32 v5, v3 :: v_dual_mov_b32 v4, v2
	s_or_b32 s0, vcc_lo, s0
	s_delay_alu instid0(SALU_CYCLE_1)
	s_and_not1_b32 exec_lo, exec_lo, s0
	s_cbranch_execnz .LBB101_225
.LBB101_226:
	s_endpgm
	.section	.rodata,"a",@progbits
	.p2align	6, 0x0
	.amdhsa_kernel _ZN9rocsparseL27csrmvn_symm_adaptive_kernelIiid21rocsparse_complex_numIdES2_S2_EEvbT_S3_PKS3_NS_24const_host_device_scalarIT4_EES5_PKT0_PKT1_PKT2_S8_PT3_21rocsparse_index_base_b
		.amdhsa_group_segment_fixed_size 16384
		.amdhsa_private_segment_fixed_size 24
		.amdhsa_kernarg_size 360
		.amdhsa_user_sgpr_count 15
		.amdhsa_user_sgpr_dispatch_ptr 0
		.amdhsa_user_sgpr_queue_ptr 0
		.amdhsa_user_sgpr_kernarg_segment_ptr 1
		.amdhsa_user_sgpr_dispatch_id 0
		.amdhsa_user_sgpr_private_segment_size 0
		.amdhsa_wavefront_size32 1
		.amdhsa_uses_dynamic_stack 0
		.amdhsa_enable_private_segment 1
		.amdhsa_system_sgpr_workgroup_id_x 1
		.amdhsa_system_sgpr_workgroup_id_y 0
		.amdhsa_system_sgpr_workgroup_id_z 0
		.amdhsa_system_sgpr_workgroup_info 0
		.amdhsa_system_vgpr_workitem_id 0
		.amdhsa_next_free_vgpr 29
		.amdhsa_next_free_sgpr 32
		.amdhsa_reserve_vcc 1
		.amdhsa_float_round_mode_32 0
		.amdhsa_float_round_mode_16_64 0
		.amdhsa_float_denorm_mode_32 3
		.amdhsa_float_denorm_mode_16_64 3
		.amdhsa_dx10_clamp 1
		.amdhsa_ieee_mode 1
		.amdhsa_fp16_overflow 0
		.amdhsa_workgroup_processor_mode 1
		.amdhsa_memory_ordered 1
		.amdhsa_forward_progress 0
		.amdhsa_shared_vgpr_count 0
		.amdhsa_exception_fp_ieee_invalid_op 0
		.amdhsa_exception_fp_denorm_src 0
		.amdhsa_exception_fp_ieee_div_zero 0
		.amdhsa_exception_fp_ieee_overflow 0
		.amdhsa_exception_fp_ieee_underflow 0
		.amdhsa_exception_fp_ieee_inexact 0
		.amdhsa_exception_int_div_zero 0
	.end_amdhsa_kernel
	.section	.text._ZN9rocsparseL27csrmvn_symm_adaptive_kernelIiid21rocsparse_complex_numIdES2_S2_EEvbT_S3_PKS3_NS_24const_host_device_scalarIT4_EES5_PKT0_PKT1_PKT2_S8_PT3_21rocsparse_index_base_b,"axG",@progbits,_ZN9rocsparseL27csrmvn_symm_adaptive_kernelIiid21rocsparse_complex_numIdES2_S2_EEvbT_S3_PKS3_NS_24const_host_device_scalarIT4_EES5_PKT0_PKT1_PKT2_S8_PT3_21rocsparse_index_base_b,comdat
.Lfunc_end101:
	.size	_ZN9rocsparseL27csrmvn_symm_adaptive_kernelIiid21rocsparse_complex_numIdES2_S2_EEvbT_S3_PKS3_NS_24const_host_device_scalarIT4_EES5_PKT0_PKT1_PKT2_S8_PT3_21rocsparse_index_base_b, .Lfunc_end101-_ZN9rocsparseL27csrmvn_symm_adaptive_kernelIiid21rocsparse_complex_numIdES2_S2_EEvbT_S3_PKS3_NS_24const_host_device_scalarIT4_EES5_PKT0_PKT1_PKT2_S8_PT3_21rocsparse_index_base_b
                                        ; -- End function
	.section	.AMDGPU.csdata,"",@progbits
; Kernel info:
; codeLenInByte = 10944
; NumSgprs: 34
; NumVgprs: 29
; ScratchSize: 24
; MemoryBound: 0
; FloatMode: 240
; IeeeMode: 1
; LDSByteSize: 16384 bytes/workgroup (compile time only)
; SGPRBlocks: 4
; VGPRBlocks: 3
; NumSGPRsForWavesPerEU: 34
; NumVGPRsForWavesPerEU: 29
; Occupancy: 16
; WaveLimiterHint : 1
; COMPUTE_PGM_RSRC2:SCRATCH_EN: 1
; COMPUTE_PGM_RSRC2:USER_SGPR: 15
; COMPUTE_PGM_RSRC2:TRAP_HANDLER: 0
; COMPUTE_PGM_RSRC2:TGID_X_EN: 1
; COMPUTE_PGM_RSRC2:TGID_Y_EN: 0
; COMPUTE_PGM_RSRC2:TGID_Z_EN: 0
; COMPUTE_PGM_RSRC2:TIDIG_COMP_CNT: 0
	.section	.text._ZL33csrmvn_symm_large_adaptive_kernelIiid21rocsparse_complex_numIdES1_S1_EvbT_PKS2_N9rocsparse24const_host_device_scalarIT4_EES4_PKT0_PKT1_PKT2_S8_PT3_21rocsparse_index_base_b,"axG",@progbits,_ZL33csrmvn_symm_large_adaptive_kernelIiid21rocsparse_complex_numIdES1_S1_EvbT_PKS2_N9rocsparse24const_host_device_scalarIT4_EES4_PKT0_PKT1_PKT2_S8_PT3_21rocsparse_index_base_b,comdat
	.globl	_ZL33csrmvn_symm_large_adaptive_kernelIiid21rocsparse_complex_numIdES1_S1_EvbT_PKS2_N9rocsparse24const_host_device_scalarIT4_EES4_PKT0_PKT1_PKT2_S8_PT3_21rocsparse_index_base_b ; -- Begin function _ZL33csrmvn_symm_large_adaptive_kernelIiid21rocsparse_complex_numIdES1_S1_EvbT_PKS2_N9rocsparse24const_host_device_scalarIT4_EES4_PKT0_PKT1_PKT2_S8_PT3_21rocsparse_index_base_b
	.p2align	8
	.type	_ZL33csrmvn_symm_large_adaptive_kernelIiid21rocsparse_complex_numIdES1_S1_EvbT_PKS2_N9rocsparse24const_host_device_scalarIT4_EES4_PKT0_PKT1_PKT2_S8_PT3_21rocsparse_index_base_b,@function
_ZL33csrmvn_symm_large_adaptive_kernelIiid21rocsparse_complex_numIdES1_S1_EvbT_PKS2_N9rocsparse24const_host_device_scalarIT4_EES4_PKT0_PKT1_PKT2_S8_PT3_21rocsparse_index_base_b: ; @_ZL33csrmvn_symm_large_adaptive_kernelIiid21rocsparse_complex_numIdES1_S1_EvbT_PKS2_N9rocsparse24const_host_device_scalarIT4_EES4_PKT0_PKT1_PKT2_S8_PT3_21rocsparse_index_base_b
; %bb.0:
	s_clause 0x2
	s_load_b64 s[16:17], s[0:1], 0x58
	s_load_b128 s[8:11], s[0:1], 0x10
	s_load_b128 s[4:7], s[0:1], 0x40
	s_mov_b64 s[2:3], src_private_base
	v_mov_b32_e32 v1, 0
	s_mov_b32 s12, s15
	s_waitcnt lgkmcnt(0)
	s_bitcmp1_b32 s17, 0
	v_dual_mov_b32 v3, s8 :: v_dual_mov_b32 v6, s5
	s_cselect_b32 s2, -1, 0
	v_mov_b32_e32 v4, s9
	s_and_b32 vcc_lo, s2, exec_lo
	s_cselect_b32 s13, s3, s9
	v_cndmask_b32_e64 v1, s8, v1, s2
	v_dual_mov_b32 v5, s4 :: v_dual_mov_b32 v2, s13
	s_clause 0x1
	scratch_store_b64 off, v[3:4], off
	scratch_store_b64 off, v[5:6], off offset:8
	v_dual_mov_b32 v10, s10 :: v_dual_mov_b32 v11, s11
	flat_load_b64 v[8:9], v[1:2]
	s_xor_b32 s10, s2, -1
	s_cbranch_vccnz .LBB102_2
; %bb.1:
	v_dual_mov_b32 v1, s8 :: v_dual_mov_b32 v2, s9
	flat_load_b64 v[10:11], v[1:2] offset:8
.LBB102_2:
	s_and_b32 s8, s2, exec_lo
	s_cselect_b32 s3, s3, s5
	s_delay_alu instid0(SALU_CYCLE_1) | instskip(SKIP_2) | instid1(VALU_DEP_2)
	v_dual_mov_b32 v1, 8 :: v_dual_mov_b32 v2, s3
	v_dual_mov_b32 v3, s6 :: v_dual_mov_b32 v4, s7
	s_and_not1_b32 vcc_lo, exec_lo, s10
	v_cndmask_b32_e64 v1, s4, v1, s2
	flat_load_b64 v[1:2], v[1:2]
	s_cbranch_vccnz .LBB102_4
; %bb.3:
	v_dual_mov_b32 v3, s4 :: v_dual_mov_b32 v4, s5
	flat_load_b64 v[3:4], v[3:4] offset:8
.LBB102_4:
	s_waitcnt vmcnt(1) lgkmcnt(1)
	v_cmp_eq_f64_e32 vcc_lo, 0, v[8:9]
	v_cmp_eq_f64_e64 s2, 0, v[10:11]
	s_delay_alu instid0(VALU_DEP_1)
	s_and_b32 s4, vcc_lo, s2
	s_mov_b32 s2, -1
	s_and_saveexec_b32 s3, s4
	s_cbranch_execz .LBB102_6
; %bb.5:
	s_waitcnt vmcnt(0) lgkmcnt(0)
	v_cmp_neq_f64_e32 vcc_lo, 1.0, v[1:2]
	v_cmp_neq_f64_e64 s2, 0, v[3:4]
	s_delay_alu instid0(VALU_DEP_1) | instskip(NEXT) | instid1(SALU_CYCLE_1)
	s_or_b32 s2, vcc_lo, s2
	s_or_not1_b32 s2, s2, exec_lo
.LBB102_6:
	s_or_b32 exec_lo, exec_lo, s3
	s_and_saveexec_b32 s3, s2
	s_cbranch_execz .LBB102_51
; %bb.7:
	s_load_b64 s[2:3], s[0:1], 0x8
	s_mov_b32 s4, 0
	s_ashr_i32 s13, s12, 31
	s_mov_b32 s5, s4
	s_mov_b32 s6, s4
	;; [unrolled: 1-line block ×3, first 2 shown]
	s_waitcnt vmcnt(0) lgkmcnt(0)
	v_dual_mov_b32 v1, s4 :: v_dual_lshlrev_b32 v14, 4, v0
	v_dual_mov_b32 v2, s5 :: v_dual_mov_b32 v3, s6
	v_mov_b32_e32 v4, s7
	s_lshl_b64 s[6:7], s[12:13], 2
	ds_store_b128 v14, v[1:4]
	ds_store_b128 v14, v[1:4] offset:4096
	ds_store_b128 v14, v[1:4] offset:8192
	;; [unrolled: 1-line block ×3, first 2 shown]
	s_waitcnt lgkmcnt(0)
	s_waitcnt_vscnt null, 0x0
	s_barrier
	buffer_gl0_inv
	s_add_u32 s2, s2, s6
	s_addc_u32 s3, s3, s7
	s_load_b64 s[6:7], s[2:3], 0x0
	s_clause 0x1
	s_load_b64 s[18:19], s[0:1], 0x50
	s_load_b256 s[8:15], s[0:1], 0x20
	s_waitcnt lgkmcnt(0)
	s_cmp_lt_i32 s6, s7
	s_cbranch_scc1 .LBB102_9
; %bb.8:
	s_ashr_i32 s1, s6, 31
	s_mov_b32 s0, s6
	s_delay_alu instid0(SALU_CYCLE_1) | instskip(NEXT) | instid1(SALU_CYCLE_1)
	s_lshl_b64 s[0:1], s[0:1], 2
	s_add_u32 s0, s8, s0
	s_addc_u32 s1, s9, s1
	s_load_b32 s17, s[0:1], 0x0
	v_subrev_nc_u32_e32 v15, s16, v0
	s_and_not1_b32 vcc_lo, exec_lo, s4
	s_cbranch_vccz .LBB102_10
	s_branch .LBB102_39
.LBB102_9:
                                        ; implicit-def: $sgpr17
	v_subrev_nc_u32_e32 v15, s16, v0
.LBB102_10:
	s_ashr_i32 s1, s6, 31
	s_mov_b32 s0, s6
	v_cmp_gt_u32_e32 vcc_lo, 0x100, v0
	s_lshl_b64 s[0:1], s[0:1], 2
	v_cmp_gt_u32_e64 s2, 4, v0
	s_add_u32 s0, s8, s0
	s_addc_u32 s1, s9, s1
	v_cmp_eq_u32_e64 s3, 0, v0
	s_waitcnt lgkmcnt(0)
	s_load_b32 s17, s[0:1], 0x0
	v_cmp_gt_u32_e64 s0, 64, v0
	v_cmp_gt_u32_e64 s1, 16, v0
	v_mov_b32_e32 v16, 0
	s_add_u32 s24, s8, 4
	s_addc_u32 s25, s9, 0
	s_mov_b32 s20, s6
	s_waitcnt lgkmcnt(0)
	s_mov_b32 s26, s17
	s_branch .LBB102_12
.LBB102_11:                             ;   in Loop: Header=BB102_12 Depth=1
	s_or_b32 exec_lo, exec_lo, s5
	s_add_i32 s20, s20, 1
	s_delay_alu instid0(SALU_CYCLE_1)
	s_cmp_ge_i32 s20, s7
	s_cbranch_scc1 .LBB102_39
.LBB102_12:                             ; =>This Loop Header: Depth=1
                                        ;     Child Loop BB102_14 Depth 2
                                        ;     Child Loop BB102_28 Depth 2
	;; [unrolled: 1-line block ×5, first 2 shown]
	s_ashr_i32 s21, s20, 31
	s_mov_b32 s22, s26
	s_lshl_b64 s[4:5], s[20:21], 2
	v_mov_b32_e32 v2, 0
	s_add_u32 s4, s24, s4
	s_addc_u32 s5, s25, s5
	v_dual_mov_b32 v3, 0 :: v_dual_add_nc_u32 v4, s22, v15
	s_load_b32 s26, s[4:5], 0x0
	v_mov_b32_e32 v0, v2
	s_mov_b32 s22, exec_lo
	s_delay_alu instid0(VALU_DEP_2) | instskip(SKIP_2) | instid1(SALU_CYCLE_1)
	v_mov_b32_e32 v1, v3
	s_waitcnt lgkmcnt(0)
	s_sub_i32 s23, s26, s16
	v_cmpx_gt_i32_e64 s23, v4
	s_cbranch_execz .LBB102_16
; %bb.13:                               ;   in Loop: Header=BB102_12 Depth=1
	v_ashrrev_i32_e32 v5, 31, v4
	v_mov_b32_e32 v2, 0
	v_mov_b32_e32 v3, 0
	s_mov_b32 s27, 0
	s_delay_alu instid0(VALU_DEP_3) | instskip(SKIP_1) | instid1(VALU_DEP_2)
	v_lshlrev_b64 v[0:1], 2, v[4:5]
	v_lshlrev_b64 v[12:13], 3, v[4:5]
	v_add_co_u32 v5, s4, s10, v0
	s_delay_alu instid0(VALU_DEP_1) | instskip(NEXT) | instid1(VALU_DEP_3)
	v_add_co_ci_u32_e64 v6, s4, s11, v1, s4
	v_add_co_u32 v12, s4, s12, v12
	s_delay_alu instid0(VALU_DEP_1)
	v_add_co_ci_u32_e64 v13, s4, s13, v13, s4
	v_dual_mov_b32 v0, v2 :: v_dual_mov_b32 v1, v3
	s_set_inst_prefetch_distance 0x1
	.p2align	6
.LBB102_14:                             ;   Parent Loop BB102_12 Depth=1
                                        ; =>  This Inner Loop Header: Depth=2
	global_load_b32 v7, v[5:6], off
	v_add_nc_u32_e32 v4, 0x100, v4
	s_waitcnt vmcnt(0)
	v_subrev_nc_u32_e32 v17, s16, v7
	s_delay_alu instid0(VALU_DEP_1) | instskip(NEXT) | instid1(VALU_DEP_1)
	v_ashrrev_i32_e32 v18, 31, v17
	v_lshlrev_b64 v[17:18], 4, v[17:18]
	s_delay_alu instid0(VALU_DEP_1) | instskip(NEXT) | instid1(VALU_DEP_1)
	v_add_co_u32 v17, s4, s14, v17
	v_add_co_ci_u32_e64 v18, s4, s15, v18, s4
	v_add_co_u32 v5, s4, 0x400, v5
	global_load_b64 v[21:22], v[12:13], off
	global_load_b128 v[17:20], v[17:18], off
	v_add_co_ci_u32_e64 v6, s4, 0, v6, s4
	v_cmp_le_i32_e64 s4, s23, v4
	v_add_co_u32 v12, s5, 0x800, v12
	s_delay_alu instid0(VALU_DEP_1) | instskip(NEXT) | instid1(VALU_DEP_3)
	v_add_co_ci_u32_e64 v13, s5, 0, v13, s5
	s_or_b32 s27, s4, s27
	s_waitcnt vmcnt(0)
	v_fma_f64 v[0:1], v[21:22], v[17:18], v[0:1]
	v_fma_f64 v[2:3], v[17:18], 0, v[2:3]
	s_delay_alu instid0(VALU_DEP_2) | instskip(NEXT) | instid1(VALU_DEP_2)
	v_fma_f64 v[0:1], 0x80000000, v[19:20], v[0:1]
	v_fma_f64 v[2:3], v[21:22], v[19:20], v[2:3]
	s_and_not1_b32 exec_lo, exec_lo, s27
	s_cbranch_execnz .LBB102_14
; %bb.15:                               ;   in Loop: Header=BB102_12 Depth=1
	s_set_inst_prefetch_distance 0x2
	s_or_b32 exec_lo, exec_lo, s27
.LBB102_16:                             ;   in Loop: Header=BB102_12 Depth=1
	s_delay_alu instid0(SALU_CYCLE_1)
	s_or_b32 exec_lo, exec_lo, s22
	ds_store_b128 v14, v[0:3]
	s_waitcnt lgkmcnt(0)
	s_barrier
	buffer_gl0_inv
	s_and_saveexec_b32 s4, vcc_lo
	s_cbranch_execz .LBB102_18
; %bb.17:                               ;   in Loop: Header=BB102_12 Depth=1
	ds_load_b128 v[0:3], v14 offset:4096
	ds_load_b128 v[4:7], v14 offset:8192
	ds_load_b128 v[17:20], v14 offset:12288
	ds_load_b128 v[21:24], v14
	s_waitcnt lgkmcnt(2)
	v_add_f64 v[0:1], v[4:5], v[0:1]
	v_add_f64 v[2:3], v[6:7], v[2:3]
	s_waitcnt lgkmcnt(1)
	s_delay_alu instid0(VALU_DEP_2) | instskip(NEXT) | instid1(VALU_DEP_2)
	v_add_f64 v[0:1], v[0:1], v[17:18]
	v_add_f64 v[2:3], v[2:3], v[19:20]
	s_waitcnt lgkmcnt(0)
	s_delay_alu instid0(VALU_DEP_2) | instskip(NEXT) | instid1(VALU_DEP_2)
	v_add_f64 v[0:1], v[0:1], v[21:22]
	v_add_f64 v[2:3], v[2:3], v[23:24]
	ds_store_b128 v14, v[0:3]
.LBB102_18:                             ;   in Loop: Header=BB102_12 Depth=1
	s_or_b32 exec_lo, exec_lo, s4
	s_waitcnt lgkmcnt(0)
	s_barrier
	buffer_gl0_inv
	s_and_saveexec_b32 s4, s0
	s_cbranch_execz .LBB102_20
; %bb.19:                               ;   in Loop: Header=BB102_12 Depth=1
	ds_load_b128 v[0:3], v14 offset:1024
	ds_load_b128 v[4:7], v14 offset:2048
	ds_load_b128 v[17:20], v14 offset:3072
	ds_load_b128 v[21:24], v14
	s_waitcnt lgkmcnt(2)
	v_add_f64 v[0:1], v[4:5], v[0:1]
	v_add_f64 v[2:3], v[6:7], v[2:3]
	s_waitcnt lgkmcnt(1)
	s_delay_alu instid0(VALU_DEP_2) | instskip(NEXT) | instid1(VALU_DEP_2)
	v_add_f64 v[0:1], v[0:1], v[17:18]
	v_add_f64 v[2:3], v[2:3], v[19:20]
	s_waitcnt lgkmcnt(0)
	s_delay_alu instid0(VALU_DEP_2) | instskip(NEXT) | instid1(VALU_DEP_2)
	v_add_f64 v[0:1], v[0:1], v[21:22]
	v_add_f64 v[2:3], v[2:3], v[23:24]
	ds_store_b128 v14, v[0:3]
.LBB102_20:                             ;   in Loop: Header=BB102_12 Depth=1
	s_or_b32 exec_lo, exec_lo, s4
	s_waitcnt lgkmcnt(0)
	s_barrier
	buffer_gl0_inv
	s_and_saveexec_b32 s4, s1
	;; [unrolled: 24-line block ×5, first 2 shown]
	s_cbranch_execz .LBB102_11
; %bb.27:                               ;   in Loop: Header=BB102_12 Depth=1
	ds_load_b128 v[0:3], v16
	v_mov_b32_e32 v12, 0
	v_bfrev_b32_e32 v13, 1
	s_mov_b32 s4, exec_lo
	s_waitcnt lgkmcnt(0)
	v_mul_f64 v[4:5], v[2:3], -v[10:11]
	s_delay_alu instid0(VALU_DEP_1)
	v_fma_f64 v[4:5], v[8:9], v[0:1], v[4:5]
.LBB102_28:                             ;   Parent Loop BB102_12 Depth=1
                                        ; =>  This Inner Loop Header: Depth=2
	s_ctz_i32_b32 s27, s4
	s_delay_alu instid0(VALU_DEP_1) | instid1(SALU_CYCLE_1)
	v_readlane_b32 s23, v5, s27
	s_delay_alu instid0(VALU_DEP_2) | instskip(NEXT) | instid1(VALU_DEP_1)
	v_readlane_b32 s22, v4, s27
	v_add_f64 v[12:13], v[12:13], s[22:23]
	s_lshl_b32 s22, 1, s27
	s_delay_alu instid0(SALU_CYCLE_1) | instskip(NEXT) | instid1(SALU_CYCLE_1)
	s_and_not1_b32 s4, s4, s22
	s_cmp_lg_u32 s4, 0
	s_cbranch_scc1 .LBB102_28
; %bb.29:                               ;   in Loop: Header=BB102_12 Depth=1
	v_mbcnt_lo_u32_b32 v4, exec_lo, 0
	s_lshl_b64 s[22:23], s[20:21], 4
	s_mov_b32 s21, exec_lo
	s_add_u32 s22, s18, s22
	s_addc_u32 s23, s19, s23
	v_cmpx_eq_u32_e32 0, v4
	s_xor_b32 s21, exec_lo, s21
	s_cbranch_execz .LBB102_33
; %bb.30:                               ;   in Loop: Header=BB102_12 Depth=1
	global_load_b64 v[6:7], v16, s[22:23]
	s_mov_b32 s27, 0
.LBB102_31:                             ;   Parent Loop BB102_12 Depth=1
                                        ; =>  This Inner Loop Header: Depth=2
	s_waitcnt vmcnt(0)
	v_add_f64 v[4:5], v[6:7], v[12:13]
	global_atomic_cmpswap_b64 v[4:5], v16, v[4:7], s[22:23] glc
	s_waitcnt vmcnt(0)
	v_cmp_eq_u64_e64 s4, v[4:5], v[6:7]
	v_dual_mov_b32 v7, v5 :: v_dual_mov_b32 v6, v4
	s_delay_alu instid0(VALU_DEP_2) | instskip(NEXT) | instid1(SALU_CYCLE_1)
	s_or_b32 s27, s4, s27
	s_and_not1_b32 exec_lo, exec_lo, s27
	s_cbranch_execnz .LBB102_31
; %bb.32:                               ;   in Loop: Header=BB102_12 Depth=1
	s_or_b32 exec_lo, exec_lo, s27
.LBB102_33:                             ;   in Loop: Header=BB102_12 Depth=1
	s_delay_alu instid0(SALU_CYCLE_1) | instskip(SKIP_4) | instid1(VALU_DEP_3)
	s_or_b32 exec_lo, exec_lo, s21
	v_mul_f64 v[2:3], v[8:9], v[2:3]
	v_mov_b32_e32 v4, 0
	v_bfrev_b32_e32 v5, 1
	s_mov_b32 s4, exec_lo
	v_fma_f64 v[0:1], v[10:11], v[0:1], v[2:3]
.LBB102_34:                             ;   Parent Loop BB102_12 Depth=1
                                        ; =>  This Inner Loop Header: Depth=2
	s_ctz_i32_b32 s21, s4
	s_delay_alu instid0(VALU_DEP_1) | instid1(SALU_CYCLE_1)
	v_readlane_b32 s29, v1, s21
	s_delay_alu instid0(VALU_DEP_2) | instskip(SKIP_1) | instid1(SALU_CYCLE_1)
	v_readlane_b32 s28, v0, s21
	s_lshl_b32 s21, 1, s21
	s_and_not1_b32 s4, s4, s21
	s_delay_alu instid0(VALU_DEP_1)
	v_add_f64 v[4:5], v[4:5], s[28:29]
	s_cmp_lg_u32 s4, 0
	s_cbranch_scc1 .LBB102_34
; %bb.35:                               ;   in Loop: Header=BB102_12 Depth=1
	v_mbcnt_lo_u32_b32 v0, exec_lo, 0
	s_mov_b32 s21, exec_lo
	s_delay_alu instid0(VALU_DEP_1)
	v_cmpx_eq_u32_e32 0, v0
	s_xor_b32 s21, exec_lo, s21
	s_cbranch_execz .LBB102_11
; %bb.36:                               ;   in Loop: Header=BB102_12 Depth=1
	global_load_b64 v[2:3], v16, s[22:23] offset:8
	s_mov_b32 s21, 0
.LBB102_37:                             ;   Parent Loop BB102_12 Depth=1
                                        ; =>  This Inner Loop Header: Depth=2
	s_waitcnt vmcnt(0)
	v_add_f64 v[0:1], v[2:3], v[4:5]
	global_atomic_cmpswap_b64 v[0:1], v16, v[0:3], s[22:23] offset:8 glc
	s_waitcnt vmcnt(0)
	v_cmp_eq_u64_e64 s4, v[0:1], v[2:3]
	v_dual_mov_b32 v3, v1 :: v_dual_mov_b32 v2, v0
	s_delay_alu instid0(VALU_DEP_2) | instskip(NEXT) | instid1(SALU_CYCLE_1)
	s_or_b32 s21, s4, s21
	s_and_not1_b32 exec_lo, exec_lo, s21
	s_cbranch_execnz .LBB102_37
; %bb.38:                               ;   in Loop: Header=BB102_12 Depth=1
	s_or_b32 exec_lo, exec_lo, s21
	s_branch .LBB102_11
.LBB102_39:
	s_ashr_i32 s1, s7, 31
	s_mov_b32 s0, s7
	s_waitcnt lgkmcnt(0)
	v_add_nc_u32_e32 v12, s17, v15
	s_lshl_b64 s[0:1], s[0:1], 2
	s_delay_alu instid0(SALU_CYCLE_1) | instskip(SKIP_4) | instid1(SALU_CYCLE_1)
	s_add_u32 s0, s8, s0
	s_addc_u32 s1, s9, s1
	s_load_b32 s0, s[0:1], 0x0
	s_waitcnt lgkmcnt(0)
	s_sub_i32 s1, s0, s16
	v_cmp_gt_i32_e32 vcc_lo, s1, v12
	s_and_b32 exec_lo, exec_lo, vcc_lo
	s_cbranch_execz .LBB102_51
; %bb.40:
	v_mul_f64 v[14:15], 0x80000000, v[10:11]
	v_mul_f64 v[16:17], v[8:9], 0
	s_add_i32 s2, s7, -1
	s_mov_b32 s4, 0
	s_cmp_gt_i32 s2, s6
	s_cselect_b32 s0, -1, 0
	s_add_i32 s3, s7, -2
	s_delay_alu instid0(SALU_CYCLE_1) | instskip(SKIP_1) | instid1(SALU_CYCLE_1)
	s_cmp_lg_u32 s3, s6
	s_cselect_b32 s3, -1, 0
	s_and_b32 s3, s0, s3
	s_branch .LBB102_42
.LBB102_41:                             ;   in Loop: Header=BB102_42 Depth=1
	s_or_b32 exec_lo, exec_lo, s0
	v_add_nc_u32_e32 v12, 0x100, v12
	s_delay_alu instid0(VALU_DEP_1) | instskip(SKIP_1) | instid1(SALU_CYCLE_1)
	v_cmp_le_i32_e32 vcc_lo, s1, v12
	s_or_b32 s4, vcc_lo, s4
	s_and_not1_b32 exec_lo, exec_lo, s4
	s_cbranch_execz .LBB102_51
.LBB102_42:                             ; =>This Loop Header: Depth=1
                                        ;     Child Loop BB102_44 Depth 2
                                        ;     Child Loop BB102_48 Depth 2
	;; [unrolled: 1-line block ×3, first 2 shown]
	v_mov_b32_e32 v2, s6
	v_mov_b32_e32 v0, s2
	s_and_not1_b32 vcc_lo, exec_lo, s3
	s_cbranch_vccnz .LBB102_46
; %bb.43:                               ;   in Loop: Header=BB102_42 Depth=1
	v_mov_b32_e32 v2, s6
	v_mov_b32_e32 v0, s2
	s_mov_b32 s5, 0
	.p2align	6
.LBB102_44:                             ;   Parent Loop BB102_42 Depth=1
                                        ; =>  This Inner Loop Header: Depth=2
	s_delay_alu instid0(VALU_DEP_1) | instskip(NEXT) | instid1(VALU_DEP_1)
	v_add_nc_u32_e32 v1, v0, v2
	v_lshrrev_b32_e32 v3, 31, v1
	s_delay_alu instid0(VALU_DEP_1) | instskip(NEXT) | instid1(VALU_DEP_1)
	v_add_nc_u32_e32 v1, v1, v3
	v_ashrrev_i32_e32 v3, 1, v1
	s_delay_alu instid0(VALU_DEP_1) | instskip(NEXT) | instid1(VALU_DEP_1)
	v_ashrrev_i32_e32 v4, 31, v3
	v_lshlrev_b64 v[4:5], 2, v[3:4]
	s_delay_alu instid0(VALU_DEP_1) | instskip(NEXT) | instid1(VALU_DEP_2)
	v_add_co_u32 v4, vcc_lo, s8, v4
	v_add_co_ci_u32_e32 v5, vcc_lo, s9, v5, vcc_lo
	global_load_b32 v1, v[4:5], off
	s_waitcnt vmcnt(0)
	v_subrev_nc_u32_e32 v1, s16, v1
	s_delay_alu instid0(VALU_DEP_1) | instskip(SKIP_2) | instid1(VALU_DEP_1)
	v_cmp_gt_i32_e32 vcc_lo, v1, v12
	v_cndmask_b32_e32 v2, v3, v2, vcc_lo
	v_cndmask_b32_e32 v0, v0, v3, vcc_lo
	v_add_nc_u32_e32 v1, -1, v0
	s_delay_alu instid0(VALU_DEP_3) | instskip(NEXT) | instid1(VALU_DEP_2)
	v_cmp_ge_i32_e32 vcc_lo, v2, v0
	v_cmp_eq_u32_e64 s0, v2, v1
	s_delay_alu instid0(VALU_DEP_1) | instskip(NEXT) | instid1(SALU_CYCLE_1)
	s_or_b32 s0, vcc_lo, s0
	s_and_b32 s0, exec_lo, s0
	s_delay_alu instid0(SALU_CYCLE_1) | instskip(NEXT) | instid1(SALU_CYCLE_1)
	s_or_b32 s5, s0, s5
	s_and_not1_b32 exec_lo, exec_lo, s5
	s_cbranch_execnz .LBB102_44
; %bb.45:                               ;   in Loop: Header=BB102_42 Depth=1
	s_or_b32 exec_lo, exec_lo, s5
.LBB102_46:                             ;   in Loop: Header=BB102_42 Depth=1
	s_delay_alu instid0(VALU_DEP_1) | instskip(SKIP_2) | instid1(VALU_DEP_2)
	v_ashrrev_i32_e32 v1, 31, v0
	v_ashrrev_i32_e32 v13, 31, v12
	s_mov_b32 s0, exec_lo
	v_lshlrev_b64 v[3:4], 2, v[0:1]
	s_delay_alu instid0(VALU_DEP_2) | instskip(NEXT) | instid1(VALU_DEP_2)
	v_lshlrev_b64 v[5:6], 2, v[12:13]
	v_add_co_u32 v3, vcc_lo, s8, v3
	s_delay_alu instid0(VALU_DEP_3)
	v_add_co_ci_u32_e32 v4, vcc_lo, s9, v4, vcc_lo
	global_load_b32 v1, v[3:4], off
	v_add_co_u32 v3, vcc_lo, s10, v5
	v_add_co_ci_u32_e32 v4, vcc_lo, s11, v6, vcc_lo
	global_load_b32 v3, v[3:4], off
	s_waitcnt vmcnt(1)
	v_subrev_nc_u32_e32 v1, s16, v1
	s_delay_alu instid0(VALU_DEP_1) | instskip(SKIP_3) | instid1(VALU_DEP_1)
	v_cmp_gt_i32_e32 vcc_lo, v1, v12
	s_waitcnt vmcnt(0)
	v_subrev_nc_u32_e32 v4, s16, v3
	v_cndmask_b32_e32 v0, v0, v2, vcc_lo
	v_cmpx_ne_u32_e64 v4, v0
	s_cbranch_execz .LBB102_41
; %bb.47:                               ;   in Loop: Header=BB102_42 Depth=1
	v_lshlrev_b64 v[1:2], 3, v[12:13]
	v_ashrrev_i32_e32 v5, 31, v4
	s_mov_b32 s5, 0
	s_delay_alu instid0(VALU_DEP_1) | instskip(NEXT) | instid1(VALU_DEP_3)
	v_lshlrev_b64 v[4:5], 4, v[4:5]
	v_add_co_u32 v1, vcc_lo, s12, v1
	s_delay_alu instid0(VALU_DEP_4) | instskip(SKIP_2) | instid1(VALU_DEP_1)
	v_add_co_ci_u32_e32 v2, vcc_lo, s13, v2, vcc_lo
	global_load_b64 v[22:23], v[1:2], off
	v_ashrrev_i32_e32 v1, 31, v0
	v_lshlrev_b64 v[0:1], 4, v[0:1]
	s_delay_alu instid0(VALU_DEP_1) | instskip(NEXT) | instid1(VALU_DEP_2)
	v_add_co_u32 v0, vcc_lo, s14, v0
	v_add_co_ci_u32_e32 v1, vcc_lo, s15, v1, vcc_lo
	v_add_co_u32 v18, vcc_lo, s18, v4
	v_add_co_ci_u32_e32 v19, vcc_lo, s19, v5, vcc_lo
	global_load_b128 v[0:3], v[0:1], off
	global_load_b64 v[6:7], v[18:19], off
	s_waitcnt vmcnt(2)
	v_fma_f64 v[20:21], v[10:11], v[22:23], v[16:17]
	v_fma_f64 v[22:23], v[8:9], v[22:23], v[14:15]
	s_waitcnt vmcnt(1)
	s_delay_alu instid0(VALU_DEP_2) | instskip(NEXT) | instid1(VALU_DEP_1)
	v_mul_f64 v[4:5], v[2:3], -v[20:21]
	v_fma_f64 v[24:25], v[22:23], v[0:1], v[4:5]
.LBB102_48:                             ;   Parent Loop BB102_42 Depth=1
                                        ; =>  This Inner Loop Header: Depth=2
	s_waitcnt vmcnt(0)
	s_delay_alu instid0(VALU_DEP_1)
	v_add_f64 v[4:5], v[6:7], v[24:25]
	global_atomic_cmpswap_b64 v[4:5], v[18:19], v[4:7], off glc
	s_waitcnt vmcnt(0)
	v_cmp_eq_u64_e32 vcc_lo, v[4:5], v[6:7]
	v_dual_mov_b32 v7, v5 :: v_dual_mov_b32 v6, v4
	s_or_b32 s5, vcc_lo, s5
	s_delay_alu instid0(SALU_CYCLE_1)
	s_and_not1_b32 exec_lo, exec_lo, s5
	s_cbranch_execnz .LBB102_48
; %bb.49:                               ;   in Loop: Header=BB102_42 Depth=1
	s_or_b32 exec_lo, exec_lo, s5
	global_load_b64 v[4:5], v[18:19], off offset:8
	v_mul_f64 v[2:3], v[22:23], v[2:3]
	s_mov_b32 s5, 0
	s_delay_alu instid0(VALU_DEP_1)
	v_fma_f64 v[0:1], v[20:21], v[0:1], v[2:3]
.LBB102_50:                             ;   Parent Loop BB102_42 Depth=1
                                        ; =>  This Inner Loop Header: Depth=2
	s_waitcnt vmcnt(0)
	s_delay_alu instid0(VALU_DEP_1)
	v_add_f64 v[2:3], v[4:5], v[0:1]
	global_atomic_cmpswap_b64 v[2:3], v[18:19], v[2:5], off offset:8 glc
	s_waitcnt vmcnt(0)
	v_cmp_eq_u64_e32 vcc_lo, v[2:3], v[4:5]
	v_dual_mov_b32 v5, v3 :: v_dual_mov_b32 v4, v2
	s_or_b32 s5, vcc_lo, s5
	s_delay_alu instid0(SALU_CYCLE_1)
	s_and_not1_b32 exec_lo, exec_lo, s5
	s_cbranch_execnz .LBB102_50
	s_branch .LBB102_41
.LBB102_51:
	s_endpgm
	.section	.rodata,"a",@progbits
	.p2align	6, 0x0
	.amdhsa_kernel _ZL33csrmvn_symm_large_adaptive_kernelIiid21rocsparse_complex_numIdES1_S1_EvbT_PKS2_N9rocsparse24const_host_device_scalarIT4_EES4_PKT0_PKT1_PKT2_S8_PT3_21rocsparse_index_base_b
		.amdhsa_group_segment_fixed_size 16384
		.amdhsa_private_segment_fixed_size 24
		.amdhsa_kernarg_size 96
		.amdhsa_user_sgpr_count 15
		.amdhsa_user_sgpr_dispatch_ptr 0
		.amdhsa_user_sgpr_queue_ptr 0
		.amdhsa_user_sgpr_kernarg_segment_ptr 1
		.amdhsa_user_sgpr_dispatch_id 0
		.amdhsa_user_sgpr_private_segment_size 0
		.amdhsa_wavefront_size32 1
		.amdhsa_uses_dynamic_stack 0
		.amdhsa_enable_private_segment 1
		.amdhsa_system_sgpr_workgroup_id_x 1
		.amdhsa_system_sgpr_workgroup_id_y 0
		.amdhsa_system_sgpr_workgroup_id_z 0
		.amdhsa_system_sgpr_workgroup_info 0
		.amdhsa_system_vgpr_workitem_id 0
		.amdhsa_next_free_vgpr 26
		.amdhsa_next_free_sgpr 30
		.amdhsa_reserve_vcc 1
		.amdhsa_float_round_mode_32 0
		.amdhsa_float_round_mode_16_64 0
		.amdhsa_float_denorm_mode_32 3
		.amdhsa_float_denorm_mode_16_64 3
		.amdhsa_dx10_clamp 1
		.amdhsa_ieee_mode 1
		.amdhsa_fp16_overflow 0
		.amdhsa_workgroup_processor_mode 1
		.amdhsa_memory_ordered 1
		.amdhsa_forward_progress 0
		.amdhsa_shared_vgpr_count 0
		.amdhsa_exception_fp_ieee_invalid_op 0
		.amdhsa_exception_fp_denorm_src 0
		.amdhsa_exception_fp_ieee_div_zero 0
		.amdhsa_exception_fp_ieee_overflow 0
		.amdhsa_exception_fp_ieee_underflow 0
		.amdhsa_exception_fp_ieee_inexact 0
		.amdhsa_exception_int_div_zero 0
	.end_amdhsa_kernel
	.section	.text._ZL33csrmvn_symm_large_adaptive_kernelIiid21rocsparse_complex_numIdES1_S1_EvbT_PKS2_N9rocsparse24const_host_device_scalarIT4_EES4_PKT0_PKT1_PKT2_S8_PT3_21rocsparse_index_base_b,"axG",@progbits,_ZL33csrmvn_symm_large_adaptive_kernelIiid21rocsparse_complex_numIdES1_S1_EvbT_PKS2_N9rocsparse24const_host_device_scalarIT4_EES4_PKT0_PKT1_PKT2_S8_PT3_21rocsparse_index_base_b,comdat
.Lfunc_end102:
	.size	_ZL33csrmvn_symm_large_adaptive_kernelIiid21rocsparse_complex_numIdES1_S1_EvbT_PKS2_N9rocsparse24const_host_device_scalarIT4_EES4_PKT0_PKT1_PKT2_S8_PT3_21rocsparse_index_base_b, .Lfunc_end102-_ZL33csrmvn_symm_large_adaptive_kernelIiid21rocsparse_complex_numIdES1_S1_EvbT_PKS2_N9rocsparse24const_host_device_scalarIT4_EES4_PKT0_PKT1_PKT2_S8_PT3_21rocsparse_index_base_b
                                        ; -- End function
	.section	.AMDGPU.csdata,"",@progbits
; Kernel info:
; codeLenInByte = 2848
; NumSgprs: 32
; NumVgprs: 26
; ScratchSize: 24
; MemoryBound: 0
; FloatMode: 240
; IeeeMode: 1
; LDSByteSize: 16384 bytes/workgroup (compile time only)
; SGPRBlocks: 3
; VGPRBlocks: 3
; NumSGPRsForWavesPerEU: 32
; NumVGPRsForWavesPerEU: 26
; Occupancy: 16
; WaveLimiterHint : 1
; COMPUTE_PGM_RSRC2:SCRATCH_EN: 1
; COMPUTE_PGM_RSRC2:USER_SGPR: 15
; COMPUTE_PGM_RSRC2:TRAP_HANDLER: 0
; COMPUTE_PGM_RSRC2:TGID_X_EN: 1
; COMPUTE_PGM_RSRC2:TGID_Y_EN: 0
; COMPUTE_PGM_RSRC2:TGID_Z_EN: 0
; COMPUTE_PGM_RSRC2:TIDIG_COMP_CNT: 0
	.section	.text._ZN9rocsparseL22csrmvn_adaptive_kernelIlid21rocsparse_complex_numIdES2_S2_EEvbT_PKS3_PjPKT0_NS_24const_host_device_scalarIT4_EES5_S9_PKT1_PKT2_SC_PT3_21rocsparse_index_base_b,"axG",@progbits,_ZN9rocsparseL22csrmvn_adaptive_kernelIlid21rocsparse_complex_numIdES2_S2_EEvbT_PKS3_PjPKT0_NS_24const_host_device_scalarIT4_EES5_S9_PKT1_PKT2_SC_PT3_21rocsparse_index_base_b,comdat
	.globl	_ZN9rocsparseL22csrmvn_adaptive_kernelIlid21rocsparse_complex_numIdES2_S2_EEvbT_PKS3_PjPKT0_NS_24const_host_device_scalarIT4_EES5_S9_PKT1_PKT2_SC_PT3_21rocsparse_index_base_b ; -- Begin function _ZN9rocsparseL22csrmvn_adaptive_kernelIlid21rocsparse_complex_numIdES2_S2_EEvbT_PKS3_PjPKT0_NS_24const_host_device_scalarIT4_EES5_S9_PKT1_PKT2_SC_PT3_21rocsparse_index_base_b
	.p2align	8
	.type	_ZN9rocsparseL22csrmvn_adaptive_kernelIlid21rocsparse_complex_numIdES2_S2_EEvbT_PKS3_PjPKT0_NS_24const_host_device_scalarIT4_EES5_S9_PKT1_PKT2_SC_PT3_21rocsparse_index_base_b,@function
_ZN9rocsparseL22csrmvn_adaptive_kernelIlid21rocsparse_complex_numIdES2_S2_EEvbT_PKS3_PjPKT0_NS_24const_host_device_scalarIT4_EES5_S9_PKT1_PKT2_SC_PT3_21rocsparse_index_base_b: ; @_ZN9rocsparseL22csrmvn_adaptive_kernelIlid21rocsparse_complex_numIdES2_S2_EEvbT_PKS3_PjPKT0_NS_24const_host_device_scalarIT4_EES5_S9_PKT1_PKT2_SC_PT3_21rocsparse_index_base_b
; %bb.0:
	s_clause 0x2
	s_load_b64 s[30:31], s[0:1], 0x70
	s_load_b128 s[8:11], s[0:1], 0x28
	s_load_b128 s[4:7], s[0:1], 0x58
	s_mov_b64 s[2:3], src_private_base
	v_mov_b32_e32 v1, 0
	s_mov_b32 s34, s15
	s_waitcnt lgkmcnt(0)
	s_bitcmp1_b32 s31, 0
	v_dual_mov_b32 v3, s8 :: v_dual_mov_b32 v6, s5
	s_cselect_b32 s2, -1, 0
	v_mov_b32_e32 v4, s9
	s_and_b32 vcc_lo, s2, exec_lo
	s_cselect_b32 s12, s3, s9
	v_cndmask_b32_e64 v1, s8, v1, s2
	v_dual_mov_b32 v5, s4 :: v_dual_mov_b32 v2, s12
	s_clause 0x1
	scratch_store_b64 off, v[3:4], off
	scratch_store_b64 off, v[5:6], off offset:8
	v_dual_mov_b32 v16, s11 :: v_dual_mov_b32 v15, s10
	flat_load_b64 v[13:14], v[1:2]
	s_xor_b32 s10, s2, -1
	s_cbranch_vccnz .LBB103_2
; %bb.1:
	v_dual_mov_b32 v1, s8 :: v_dual_mov_b32 v2, s9
	flat_load_b64 v[15:16], v[1:2] offset:8
.LBB103_2:
	s_and_b32 s8, s2, exec_lo
	s_cselect_b32 s3, s3, s5
	s_delay_alu instid0(SALU_CYCLE_1) | instskip(SKIP_2) | instid1(VALU_DEP_2)
	v_dual_mov_b32 v1, 8 :: v_dual_mov_b32 v2, s3
	v_dual_mov_b32 v12, s7 :: v_dual_mov_b32 v11, s6
	s_and_not1_b32 vcc_lo, exec_lo, s10
	v_cndmask_b32_e64 v1, s4, v1, s2
	flat_load_b64 v[9:10], v[1:2]
	s_cbranch_vccnz .LBB103_4
; %bb.3:
	v_dual_mov_b32 v1, s4 :: v_dual_mov_b32 v2, s5
	flat_load_b64 v[11:12], v[1:2] offset:8
.LBB103_4:
	s_waitcnt vmcnt(1) lgkmcnt(1)
	v_cmp_eq_f64_e32 vcc_lo, 0, v[13:14]
	v_cmp_eq_f64_e64 s2, 0, v[15:16]
	s_delay_alu instid0(VALU_DEP_1)
	s_and_b32 s4, vcc_lo, s2
	s_mov_b32 s2, -1
	s_and_saveexec_b32 s3, s4
	s_cbranch_execz .LBB103_6
; %bb.5:
	s_waitcnt vmcnt(0) lgkmcnt(0)
	v_cmp_neq_f64_e32 vcc_lo, 1.0, v[9:10]
	v_cmp_neq_f64_e64 s2, 0, v[11:12]
	s_delay_alu instid0(VALU_DEP_1) | instskip(NEXT) | instid1(SALU_CYCLE_1)
	s_or_b32 s2, vcc_lo, s2
	s_or_not1_b32 s2, s2, exec_lo
.LBB103_6:
	s_or_b32 exec_lo, exec_lo, s3
	s_and_saveexec_b32 s3, s2
	s_cbranch_execz .LBB103_121
; %bb.7:
	s_clause 0x2
	s_load_b64 s[2:3], s[0:1], 0x10
	s_load_b64 s[6:7], s[0:1], 0x20
	;; [unrolled: 1-line block ×3, first 2 shown]
	s_ashr_i32 s35, s34, 31
	s_delay_alu instid0(SALU_CYCLE_1)
	s_lshl_b64 s[4:5], s[34:35], 3
	s_waitcnt lgkmcnt(0)
	s_add_u32 s2, s2, s4
	s_addc_u32 s3, s3, s5
	s_lshl_b64 s[36:37], s[34:35], 2
	s_load_b128 s[20:23], s[2:3], 0x0
	s_load_b256 s[12:19], s[0:1], 0x38
	s_mov_b32 s3, -1
	s_waitcnt lgkmcnt(0)
	s_sub_i32 s2, s22, s20
	s_add_u32 s4, s6, s36
	s_addc_u32 s5, s7, s37
	s_lshl_b64 s[6:7], s[20:21], 3
	s_delay_alu instid0(SALU_CYCLE_1)
	s_add_u32 s26, s12, s6
	s_addc_u32 s27, s13, s7
	s_load_b32 s31, s[4:5], 0x0
	s_load_b64 s[28:29], s[26:27], 0x0
	s_cmp_lt_i32 s2, 2
	s_cbranch_scc0 .LBB103_77
; %bb.8:
	s_cmp_lg_u32 s2, 1
	s_cselect_b32 s2, -1, 0
	s_waitcnt lgkmcnt(0)
	s_cmp_lg_u32 s31, 0
	s_cselect_b32 s3, -1, 0
	s_delay_alu instid0(SALU_CYCLE_1) | instskip(NEXT) | instid1(SALU_CYCLE_1)
	s_or_b32 s2, s2, s3
	s_and_b32 vcc_lo, exec_lo, s2
	s_mov_b32 s2, -1
	s_cbranch_vccnz .LBB103_37
; %bb.9:
	v_cmp_le_i64_e64 s2, s[22:23], s[20:21]
	s_delay_alu instid0(VALU_DEP_1)
	s_and_b32 vcc_lo, exec_lo, s2
	s_cbranch_vccnz .LBB103_36
; %bb.10:
	s_waitcnt vmcnt(0)
	v_cmp_neq_f64_e32 vcc_lo, 0, v[9:10]
	v_cmp_neq_f64_e64 s10, 0, v[11:12]
	v_mul_f64 v[5:6], 0x80000000, v[15:16]
	v_mul_f64 v[7:8], v[13:14], 0
	v_sub_co_u32 v23, s2, v0, s30
	s_delay_alu instid0(VALU_DEP_1)
	v_sub_co_ci_u32_e64 v24, null, 0, 0, s2
	v_dual_mov_b32 v26, 0 :: v_dual_lshlrev_b32 v25, 4, v0
	v_cmp_gt_u32_e64 s2, 0x80, v0
	v_cmp_gt_u32_e64 s3, 64, v0
	;; [unrolled: 1-line block ×7, first 2 shown]
	v_cmp_eq_u32_e64 s9, 0, v0
	s_mov_b64 s[38:39], s[28:29]
	s_mov_b64 s[40:41], s[20:21]
	s_or_b32 s11, vcc_lo, s10
	s_add_u32 s33, s12, 8
	s_addc_u32 s35, s13, 0
	s_branch .LBB103_13
.LBB103_11:                             ;   in Loop: Header=BB103_13 Depth=1
	s_or_b32 exec_lo, exec_lo, s42
	s_lshl_b64 s[42:43], s[40:41], 4
	s_delay_alu instid0(SALU_CYCLE_1)
	s_add_u32 s42, s24, s42
	s_addc_u32 s43, s25, s43
	s_waitcnt lgkmcnt(0)
	global_store_b128 v26, v[1:4], s[42:43]
.LBB103_12:                             ;   in Loop: Header=BB103_13 Depth=1
	s_or_b32 exec_lo, exec_lo, s10
	s_add_u32 s40, s40, 1
	s_addc_u32 s41, s41, 0
	s_delay_alu instid0(SALU_CYCLE_1) | instskip(NEXT) | instid1(VALU_DEP_1)
	v_cmp_ge_i64_e64 s10, s[40:41], s[22:23]
	s_and_b32 vcc_lo, exec_lo, s10
	s_cbranch_vccnz .LBB103_36
.LBB103_13:                             ; =>This Loop Header: Depth=1
                                        ;     Child Loop BB103_15 Depth 2
	s_lshl_b64 s[42:43], s[40:41], 3
	s_mov_b64 s[44:45], s[38:39]
	s_add_u32 s42, s33, s42
	s_addc_u32 s43, s35, s43
	v_mov_b32_e32 v3, 0
	s_load_b64 s[38:39], s[42:43], 0x0
	v_mov_b32_e32 v4, 0
	v_add_co_u32 v17, vcc_lo, s44, v23
	v_add_co_ci_u32_e32 v18, vcc_lo, s45, v24, vcc_lo
	s_delay_alu instid0(VALU_DEP_3) | instskip(SKIP_4) | instid1(SALU_CYCLE_1)
	v_dual_mov_b32 v1, v3 :: v_dual_mov_b32 v2, v4
	s_mov_b32 s44, exec_lo
	s_waitcnt lgkmcnt(0)
	s_sub_u32 s42, s38, s30
	s_subb_u32 s43, s39, 0
	v_cmpx_gt_i64_e64 s[42:43], v[17:18]
	s_cbranch_execz .LBB103_17
; %bb.14:                               ;   in Loop: Header=BB103_13 Depth=1
	v_lshlrev_b64 v[1:2], 3, v[17:18]
	v_lshlrev_b64 v[21:22], 2, v[17:18]
	v_mov_b32_e32 v3, 0
	v_mov_b32_e32 v4, 0
	s_mov_b32 s45, 0
	s_delay_alu instid0(VALU_DEP_4)
	v_add_co_u32 v19, vcc_lo, s16, v1
	v_add_co_ci_u32_e32 v20, vcc_lo, s17, v2, vcc_lo
	v_add_co_u32 v21, vcc_lo, s14, v21
	v_add_co_ci_u32_e32 v22, vcc_lo, s15, v22, vcc_lo
	v_dual_mov_b32 v1, v3 :: v_dual_mov_b32 v2, v4
	s_set_inst_prefetch_distance 0x1
	.p2align	6
.LBB103_15:                             ;   Parent Loop BB103_13 Depth=1
                                        ; =>  This Inner Loop Header: Depth=2
	global_load_b32 v27, v[21:22], off
	global_load_b64 v[31:32], v[19:20], off
	v_add_co_u32 v21, s10, 0x400, v21
	s_delay_alu instid0(VALU_DEP_1)
	v_add_co_ci_u32_e64 v22, s10, 0, v22, s10
	s_waitcnt vmcnt(1)
	v_subrev_nc_u32_e32 v27, s30, v27
	s_waitcnt vmcnt(0)
	v_fma_f64 v[33:34], v[13:14], v[31:32], v[5:6]
	v_fma_f64 v[31:32], v[15:16], v[31:32], v[7:8]
	s_delay_alu instid0(VALU_DEP_3) | instskip(NEXT) | instid1(VALU_DEP_1)
	v_ashrrev_i32_e32 v28, 31, v27
	v_lshlrev_b64 v[27:28], 4, v[27:28]
	s_delay_alu instid0(VALU_DEP_1) | instskip(NEXT) | instid1(VALU_DEP_2)
	v_add_co_u32 v27, vcc_lo, s18, v27
	v_add_co_ci_u32_e32 v28, vcc_lo, s19, v28, vcc_lo
	v_add_co_u32 v17, vcc_lo, 0x100, v17
	v_add_co_ci_u32_e32 v18, vcc_lo, 0, v18, vcc_lo
	global_load_b128 v[27:30], v[27:28], off
	v_add_co_u32 v19, vcc_lo, 0x800, v19
	v_add_co_ci_u32_e32 v20, vcc_lo, 0, v20, vcc_lo
	v_cmp_le_i64_e32 vcc_lo, s[42:43], v[17:18]
	s_or_b32 s45, vcc_lo, s45
	s_waitcnt vmcnt(0)
	v_fma_f64 v[1:2], v[33:34], v[27:28], v[1:2]
	v_fma_f64 v[3:4], v[31:32], v[27:28], v[3:4]
	s_delay_alu instid0(VALU_DEP_2) | instskip(NEXT) | instid1(VALU_DEP_2)
	v_fma_f64 v[1:2], -v[31:32], v[29:30], v[1:2]
	v_fma_f64 v[3:4], v[33:34], v[29:30], v[3:4]
	s_and_not1_b32 exec_lo, exec_lo, s45
	s_cbranch_execnz .LBB103_15
; %bb.16:                               ;   in Loop: Header=BB103_13 Depth=1
	s_set_inst_prefetch_distance 0x2
	s_or_b32 exec_lo, exec_lo, s45
.LBB103_17:                             ;   in Loop: Header=BB103_13 Depth=1
	s_delay_alu instid0(SALU_CYCLE_1)
	s_or_b32 exec_lo, exec_lo, s44
	ds_store_b128 v25, v[1:4]
	s_waitcnt lgkmcnt(0)
	s_waitcnt_vscnt null, 0x0
	s_barrier
	buffer_gl0_inv
	s_and_saveexec_b32 s10, s2
	s_cbranch_execz .LBB103_19
; %bb.18:                               ;   in Loop: Header=BB103_13 Depth=1
	ds_load_b128 v[1:4], v25 offset:2048
	ds_load_b128 v[17:20], v25
	s_waitcnt lgkmcnt(0)
	v_add_f64 v[1:2], v[1:2], v[17:18]
	v_add_f64 v[3:4], v[3:4], v[19:20]
	ds_store_b128 v25, v[1:4]
.LBB103_19:                             ;   in Loop: Header=BB103_13 Depth=1
	s_or_b32 exec_lo, exec_lo, s10
	s_waitcnt lgkmcnt(0)
	s_barrier
	buffer_gl0_inv
	s_and_saveexec_b32 s10, s3
	s_cbranch_execz .LBB103_21
; %bb.20:                               ;   in Loop: Header=BB103_13 Depth=1
	ds_load_b128 v[1:4], v25 offset:1024
	ds_load_b128 v[17:20], v25
	s_waitcnt lgkmcnt(0)
	v_add_f64 v[1:2], v[1:2], v[17:18]
	v_add_f64 v[3:4], v[3:4], v[19:20]
	ds_store_b128 v25, v[1:4]
.LBB103_21:                             ;   in Loop: Header=BB103_13 Depth=1
	s_or_b32 exec_lo, exec_lo, s10
	s_waitcnt lgkmcnt(0)
	;; [unrolled: 14-line block ×6, first 2 shown]
	s_barrier
	buffer_gl0_inv
	s_and_saveexec_b32 s10, s8
	s_cbranch_execz .LBB103_31
; %bb.30:                               ;   in Loop: Header=BB103_13 Depth=1
	ds_load_b128 v[1:4], v25
	ds_load_b128 v[17:20], v25 offset:32
	s_waitcnt lgkmcnt(0)
	v_add_f64 v[1:2], v[17:18], v[1:2]
	v_add_f64 v[3:4], v[19:20], v[3:4]
	ds_store_b128 v25, v[1:4]
.LBB103_31:                             ;   in Loop: Header=BB103_13 Depth=1
	s_or_b32 exec_lo, exec_lo, s10
	s_waitcnt lgkmcnt(0)
	s_barrier
	buffer_gl0_inv
	s_and_saveexec_b32 s10, s9
	s_cbranch_execz .LBB103_33
; %bb.32:                               ;   in Loop: Header=BB103_13 Depth=1
	ds_load_b128 v[1:4], v26
	ds_load_b128 v[17:20], v26 offset:16
	s_waitcnt lgkmcnt(0)
	v_add_f64 v[1:2], v[17:18], v[1:2]
	v_add_f64 v[3:4], v[19:20], v[3:4]
	ds_store_b128 v26, v[1:4]
.LBB103_33:                             ;   in Loop: Header=BB103_13 Depth=1
	s_or_b32 exec_lo, exec_lo, s10
	s_waitcnt lgkmcnt(0)
	s_barrier
	buffer_gl0_inv
	s_and_saveexec_b32 s10, s9
	s_cbranch_execz .LBB103_12
; %bb.34:                               ;   in Loop: Header=BB103_13 Depth=1
	ds_load_b128 v[1:4], v26
	s_and_saveexec_b32 s42, s11
	s_cbranch_execz .LBB103_11
; %bb.35:                               ;   in Loop: Header=BB103_13 Depth=1
	s_lshl_b64 s[44:45], s[40:41], 4
	s_delay_alu instid0(SALU_CYCLE_1)
	s_add_u32 s44, s24, s44
	s_addc_u32 s45, s25, s45
	global_load_b128 v[17:20], v26, s[44:45]
	s_waitcnt vmcnt(0) lgkmcnt(0)
	v_fma_f64 v[1:2], v[9:10], v[17:18], v[1:2]
	v_fma_f64 v[3:4], v[11:12], v[17:18], v[3:4]
	s_delay_alu instid0(VALU_DEP_2) | instskip(NEXT) | instid1(VALU_DEP_2)
	v_fma_f64 v[1:2], -v[11:12], v[19:20], v[1:2]
	v_fma_f64 v[3:4], v[9:10], v[19:20], v[3:4]
	s_branch .LBB103_11
.LBB103_36:
	s_mov_b32 s2, 0
.LBB103_37:
	s_delay_alu instid0(SALU_CYCLE_1)
	s_and_not1_b32 vcc_lo, exec_lo, s2
	s_cbranch_vccnz .LBB103_76
; %bb.38:
	s_load_b64 s[6:7], s[0:1], 0x18
	s_sub_i32 s8, s34, s31
	v_mov_b32_e32 v1, 0
	v_or_b32_e32 v3, s31, v0
	v_mov_b32_e32 v2, 0
	s_delay_alu instid0(VALU_DEP_2) | instskip(NEXT) | instid1(VALU_DEP_2)
	v_cmp_eq_u32_e32 vcc_lo, 0, v3
	v_dual_mov_b32 v4, v2 :: v_dual_mov_b32 v3, v1
	s_waitcnt lgkmcnt(0)
	s_add_u32 s4, s6, s36
	s_addc_u32 s5, s7, s37
	s_load_b32 s33, s[4:5], 0x0
	s_and_saveexec_b32 s2, vcc_lo
	s_cbranch_execz .LBB103_42
; %bb.39:
	s_lshl_b64 s[10:11], s[20:21], 4
	v_mov_b32_e32 v17, 0
	s_add_u32 s10, s24, s10
	s_addc_u32 s11, s25, s11
	s_waitcnt vmcnt(0)
	v_add_f64 v[1:2], v[9:10], -1.0
	s_mov_b32 s3, exec_lo
	global_load_b128 v[3:6], v17, s[10:11]
	v_mbcnt_lo_u32_b32 v18, s3, 0
	s_mov_b32 s10, exec_lo
	s_waitcnt vmcnt(0) expcnt(0) lgkmcnt(0)
	s_waitcnt_vscnt null, 0x0
	v_mul_f64 v[7:8], v[5:6], -v[11:12]
	v_mul_f64 v[5:6], v[1:2], v[5:6]
	v_cmpx_eq_u32_e32 0, v18
	s_cbranch_execz .LBB103_41
; %bb.40:
	s_ashr_i32 s9, s8, 31
	s_delay_alu instid0(SALU_CYCLE_1) | instskip(NEXT) | instid1(SALU_CYCLE_1)
	s_lshl_b64 s[34:35], s[8:9], 2
	s_add_u32 s34, s6, s34
	s_addc_u32 s35, s7, s35
	s_bcnt1_i32_b32 s3, s3
	s_delay_alu instid0(SALU_CYCLE_1) | instskip(NEXT) | instid1(SALU_CYCLE_1)
	s_and_b32 s3, s3, 1
	v_mov_b32_e32 v18, s3
	global_atomic_xor_b32 v17, v18, s[34:35]
.LBB103_41:
	s_or_b32 exec_lo, exec_lo, s10
	s_delay_alu instid0(VALU_DEP_3) | instskip(NEXT) | instid1(VALU_DEP_3)
	v_fma_f64 v[1:2], v[1:2], v[3:4], v[7:8]
	v_fma_f64 v[3:4], v[11:12], v[3:4], v[5:6]
.LBB103_42:
	s_or_b32 exec_lo, exec_lo, s2
	s_load_b64 s[2:3], s[26:27], 0x8
	s_mul_i32 s10, s31, 0xc00
	s_sub_u32 s11, s28, s30
	s_subb_u32 s34, s29, 0
	s_mul_hi_i32 s9, s31, 0xc00
	s_add_u32 s10, s11, s10
	s_addc_u32 s11, s34, s9
	v_add_co_u32 v5, s9, s10, v0
	s_delay_alu instid0(VALU_DEP_1) | instskip(SKIP_4) | instid1(SALU_CYCLE_1)
	v_add_co_ci_u32_e64 v6, null, s11, 0, s9
	s_mov_b32 s9, exec_lo
	s_waitcnt lgkmcnt(0)
	s_sub_u32 s2, s2, s30
	s_subb_u32 s3, s3, 0
	v_cmpx_gt_i64_e64 s[2:3], v[5:6]
	s_cbranch_execz .LBB103_46
; %bb.43:
	v_mul_f64 v[7:8], 0x80000000, v[15:16]
	v_mul_f64 v[17:18], v[13:14], 0
	v_lshlrev_b64 v[19:20], 3, v[5:6]
	v_lshlrev_b64 v[21:22], 2, v[5:6]
	s_add_u32 s10, s10, 0xc00
	s_addc_u32 s11, s11, 0
	s_delay_alu instid0(SALU_CYCLE_1) | instskip(NEXT) | instid1(VALU_DEP_3)
	v_cmp_lt_i64_e64 s34, s[10:11], s[2:3]
	v_add_co_u32 v19, vcc_lo, s16, v19
	v_add_co_ci_u32_e32 v20, vcc_lo, s17, v20, vcc_lo
	v_add_co_u32 v21, vcc_lo, s14, v21
	v_add_co_ci_u32_e32 v22, vcc_lo, s15, v22, vcc_lo
	s_and_b32 s34, s34, exec_lo
	s_cselect_b32 s11, s11, s3
	s_cselect_b32 s10, s10, s2
	s_mov_b32 s3, 0
	s_set_inst_prefetch_distance 0x1
	.p2align	6
.LBB103_44:                             ; =>This Inner Loop Header: Depth=1
	global_load_b32 v23, v[21:22], off
	global_load_b64 v[27:28], v[19:20], off
	v_add_co_u32 v21, s2, 0x400, v21
	s_delay_alu instid0(VALU_DEP_1)
	v_add_co_ci_u32_e64 v22, s2, 0, v22, s2
	s_waitcnt vmcnt(1)
	v_subrev_nc_u32_e32 v23, s30, v23
	s_waitcnt vmcnt(0)
	v_fma_f64 v[29:30], v[13:14], v[27:28], v[7:8]
	v_fma_f64 v[27:28], v[15:16], v[27:28], v[17:18]
	s_delay_alu instid0(VALU_DEP_3) | instskip(NEXT) | instid1(VALU_DEP_1)
	v_ashrrev_i32_e32 v24, 31, v23
	v_lshlrev_b64 v[23:24], 4, v[23:24]
	s_delay_alu instid0(VALU_DEP_1) | instskip(NEXT) | instid1(VALU_DEP_2)
	v_add_co_u32 v23, vcc_lo, s18, v23
	v_add_co_ci_u32_e32 v24, vcc_lo, s19, v24, vcc_lo
	v_add_co_u32 v5, vcc_lo, 0x100, v5
	v_add_co_ci_u32_e32 v6, vcc_lo, 0, v6, vcc_lo
	global_load_b128 v[23:26], v[23:24], off
	v_add_co_u32 v19, vcc_lo, 0x800, v19
	v_add_co_ci_u32_e32 v20, vcc_lo, 0, v20, vcc_lo
	v_cmp_le_i64_e32 vcc_lo, s[10:11], v[5:6]
	s_or_b32 s3, vcc_lo, s3
	s_waitcnt vmcnt(0)
	v_fma_f64 v[1:2], v[29:30], v[23:24], v[1:2]
	v_fma_f64 v[3:4], v[27:28], v[23:24], v[3:4]
	s_delay_alu instid0(VALU_DEP_2) | instskip(NEXT) | instid1(VALU_DEP_2)
	v_fma_f64 v[1:2], -v[27:28], v[25:26], v[1:2]
	v_fma_f64 v[3:4], v[29:30], v[25:26], v[3:4]
	s_and_not1_b32 exec_lo, exec_lo, s3
	s_cbranch_execnz .LBB103_44
; %bb.45:
	s_set_inst_prefetch_distance 0x2
	s_or_b32 exec_lo, exec_lo, s3
.LBB103_46:
	s_delay_alu instid0(SALU_CYCLE_1)
	s_or_b32 exec_lo, exec_lo, s9
	v_lshlrev_b32_e32 v5, 4, v0
	s_mov_b32 s2, exec_lo
	ds_store_b128 v5, v[1:4]
	s_waitcnt vmcnt(0) lgkmcnt(0)
	s_waitcnt_vscnt null, 0x0
	s_barrier
	buffer_gl0_inv
	v_cmpx_gt_u32_e32 0x80, v0
	s_cbranch_execz .LBB103_48
; %bb.47:
	ds_load_b128 v[1:4], v5 offset:2048
	ds_load_b128 v[17:20], v5
	s_waitcnt lgkmcnt(0)
	v_add_f64 v[1:2], v[1:2], v[17:18]
	v_add_f64 v[3:4], v[3:4], v[19:20]
	ds_store_b128 v5, v[1:4]
.LBB103_48:
	s_or_b32 exec_lo, exec_lo, s2
	s_delay_alu instid0(SALU_CYCLE_1)
	s_mov_b32 s2, exec_lo
	s_waitcnt lgkmcnt(0)
	s_barrier
	buffer_gl0_inv
	v_cmpx_gt_u32_e32 64, v0
	s_cbranch_execz .LBB103_50
; %bb.49:
	ds_load_b128 v[1:4], v5 offset:1024
	ds_load_b128 v[17:20], v5
	s_waitcnt lgkmcnt(0)
	v_add_f64 v[1:2], v[1:2], v[17:18]
	v_add_f64 v[3:4], v[3:4], v[19:20]
	ds_store_b128 v5, v[1:4]
.LBB103_50:
	s_or_b32 exec_lo, exec_lo, s2
	s_delay_alu instid0(SALU_CYCLE_1)
	s_mov_b32 s2, exec_lo
	s_waitcnt lgkmcnt(0)
	;; [unrolled: 16-line block ×6, first 2 shown]
	s_barrier
	buffer_gl0_inv
	v_cmpx_gt_u32_e32 2, v0
	s_cbranch_execz .LBB103_60
; %bb.59:
	ds_load_b128 v[1:4], v5
	ds_load_b128 v[17:20], v5 offset:32
	s_waitcnt lgkmcnt(0)
	v_add_f64 v[1:2], v[17:18], v[1:2]
	v_add_f64 v[3:4], v[19:20], v[3:4]
	ds_store_b128 v5, v[1:4]
.LBB103_60:
	s_or_b32 exec_lo, exec_lo, s2
	v_cmp_eq_u32_e32 vcc_lo, 0, v0
	s_waitcnt lgkmcnt(0)
	s_barrier
	buffer_gl0_inv
	s_and_saveexec_b32 s2, vcc_lo
	s_cbranch_execz .LBB103_62
; %bb.61:
	v_mov_b32_e32 v17, 0
	ds_load_b128 v[1:4], v17
	ds_load_b128 v[5:8], v17 offset:16
	s_waitcnt lgkmcnt(0)
	v_add_f64 v[1:2], v[5:6], v[1:2]
	v_add_f64 v[3:4], v[7:8], v[3:4]
	ds_store_b128 v17, v[1:4]
.LBB103_62:
	s_or_b32 exec_lo, exec_lo, s2
	s_waitcnt lgkmcnt(0)
	s_barrier
	buffer_gl0_inv
	s_and_saveexec_b32 s10, vcc_lo
	s_cbranch_execz .LBB103_75
; %bb.63:
	s_cmp_eq_u32 s31, 0
	s_cbranch_scc1 .LBB103_69
; %bb.64:
	s_ashr_i32 s9, s8, 31
	v_mov_b32_e32 v1, 0
	s_lshl_b64 s[2:3], s[8:9], 2
	s_delay_alu instid0(SALU_CYCLE_1)
	s_add_u32 s2, s6, s2
	s_addc_u32 s3, s7, s3
	s_branch .LBB103_66
.LBB103_65:                             ;   in Loop: Header=BB103_66 Depth=1
	s_or_b32 exec_lo, exec_lo, s6
	s_waitcnt vmcnt(0)
	v_readfirstlane_b32 s6, v2
	s_delay_alu instid0(VALU_DEP_1)
	s_cmp_eq_u32 s6, s33
	s_cbranch_scc0 .LBB103_68
.LBB103_66:                             ; =>This Inner Loop Header: Depth=1
	v_mbcnt_lo_u32_b32 v2, exec_lo, 0
	s_delay_alu instid0(VALU_DEP_1)
	v_cmp_eq_u32_e32 vcc_lo, 0, v2
                                        ; implicit-def: $vgpr2
	s_and_saveexec_b32 s6, vcc_lo
	s_cbranch_execz .LBB103_65
; %bb.67:                               ;   in Loop: Header=BB103_66 Depth=1
	global_load_b32 v2, v1, s[2:3] glc
	s_branch .LBB103_65
.LBB103_68:
	v_mov_b32_e32 v1, 0
	global_load_b32 v2, v1, s[4:5]
	s_waitcnt vmcnt(0)
	v_xor_b32_e32 v2, 1, v2
	global_store_b32 v1, v2, s[4:5]
.LBB103_69:
	v_mov_b32_e32 v17, 0
	s_mov_b32 s5, exec_lo
	s_lshl_b64 s[2:3], s[20:21], 4
	v_mbcnt_lo_u32_b32 v5, s5, 0
	s_add_u32 s2, s24, s2
	ds_load_b128 v[1:4], v17
	s_addc_u32 s3, s25, s3
	s_mov_b32 s4, exec_lo
	v_cmpx_eq_u32_e32 0, v5
	s_cbranch_execz .LBB103_72
; %bb.70:
	global_load_b64 v[7:8], v17, s[2:3]
	s_bcnt1_i32_b32 s5, s5
	s_delay_alu instid0(SALU_CYCLE_1) | instskip(SKIP_2) | instid1(VALU_DEP_1)
	v_cvt_f64_u32_e32 v[5:6], s5
	s_mov_b32 s5, 0
	s_waitcnt lgkmcnt(0)
	v_mul_f64 v[1:2], v[1:2], v[5:6]
.LBB103_71:                             ; =>This Inner Loop Header: Depth=1
	s_waitcnt vmcnt(0)
	s_delay_alu instid0(VALU_DEP_1)
	v_add_f64 v[5:6], v[7:8], v[1:2]
	global_atomic_cmpswap_b64 v[5:6], v17, v[5:8], s[2:3] glc
	s_waitcnt vmcnt(0)
	v_cmp_eq_u64_e32 vcc_lo, v[5:6], v[7:8]
	v_dual_mov_b32 v8, v6 :: v_dual_mov_b32 v7, v5
	s_or_b32 s5, vcc_lo, s5
	s_delay_alu instid0(SALU_CYCLE_1)
	s_and_not1_b32 exec_lo, exec_lo, s5
	s_cbranch_execnz .LBB103_71
.LBB103_72:
	s_or_b32 exec_lo, exec_lo, s4
	s_delay_alu instid0(SALU_CYCLE_1) | instskip(SKIP_3) | instid1(VALU_DEP_1)
	s_mov_b32 s5, exec_lo
	s_mov_b32 s4, 0
	s_waitcnt lgkmcnt(0)
	v_mbcnt_lo_u32_b32 v1, s5, 0
	v_cmp_eq_u32_e32 vcc_lo, 0, v1
	s_and_b32 s6, exec_lo, vcc_lo
	s_delay_alu instid0(SALU_CYCLE_1)
	s_mov_b32 exec_lo, s6
	s_cbranch_execz .LBB103_75
; %bb.73:
	v_mov_b32_e32 v7, 0
	s_bcnt1_i32_b32 s5, s5
	s_delay_alu instid0(SALU_CYCLE_1)
	v_cvt_f64_u32_e32 v[1:2], s5
	global_load_b64 v[5:6], v7, s[2:3] offset:8
	v_mul_f64 v[1:2], v[3:4], v[1:2]
.LBB103_74:                             ; =>This Inner Loop Header: Depth=1
	s_waitcnt vmcnt(0)
	s_delay_alu instid0(VALU_DEP_1)
	v_add_f64 v[3:4], v[5:6], v[1:2]
	global_atomic_cmpswap_b64 v[3:4], v7, v[3:6], s[2:3] offset:8 glc
	s_waitcnt vmcnt(0)
	v_cmp_eq_u64_e32 vcc_lo, v[3:4], v[5:6]
	v_dual_mov_b32 v6, v4 :: v_dual_mov_b32 v5, v3
	s_or_b32 s4, vcc_lo, s4
	s_delay_alu instid0(SALU_CYCLE_1)
	s_and_not1_b32 exec_lo, exec_lo, s4
	s_cbranch_execnz .LBB103_74
.LBB103_75:
	s_or_b32 exec_lo, exec_lo, s10
.LBB103_76:
	s_mov_b32 s3, 0
.LBB103_77:
	s_delay_alu instid0(SALU_CYCLE_1)
	s_and_not1_b32 vcc_lo, exec_lo, s3
	s_cbranch_vccnz .LBB103_121
; %bb.78:
	s_load_b64 s[0:1], s[0:1], 0x8
	v_sub_co_u32 v1, s2, v0, s30
	s_delay_alu instid0(VALU_DEP_1) | instskip(SKIP_1) | instid1(VALU_DEP_2)
	v_sub_co_ci_u32_e64 v2, null, 0, 0, s2
	s_waitcnt lgkmcnt(0)
	v_add_co_u32 v1, vcc_lo, s28, v1
	s_delay_alu instid0(VALU_DEP_2) | instskip(NEXT) | instid1(VALU_DEP_2)
	v_add_co_ci_u32_e32 v2, vcc_lo, s29, v2, vcc_lo
	v_add_co_u32 v3, vcc_lo, 0x300, v1
	s_delay_alu instid0(VALU_DEP_2) | instskip(NEXT) | instid1(VALU_DEP_1)
	v_add_co_ci_u32_e32 v4, vcc_lo, 0, v2, vcc_lo
	v_cmp_le_i64_e32 vcc_lo, s[0:1], v[3:4]
	s_and_saveexec_b32 s0, vcc_lo
	s_delay_alu instid0(SALU_CYCLE_1)
	s_xor_b32 s1, exec_lo, s0
	s_cbranch_execz .LBB103_83
; %bb.79:
	s_lshl_b64 s[2:3], s[22:23], 3
	s_mov_b32 s4, exec_lo
	s_add_u32 s2, s12, s2
	s_addc_u32 s3, s13, s3
	s_load_b64 s[2:3], s[2:3], 0x0
	s_waitcnt lgkmcnt(0)
	s_sub_u32 s2, s2, s30
	s_subb_u32 s3, s3, 0
	s_delay_alu instid0(SALU_CYCLE_1)
	v_cmpx_gt_i64_e64 s[2:3], v[1:2]
	s_cbranch_execz .LBB103_82
; %bb.80:
	v_mul_f64 v[3:4], 0x80000000, v[15:16]
	v_mul_f64 v[5:6], v[13:14], 0
	v_lshlrev_b64 v[7:8], 3, v[1:2]
	v_lshlrev_b64 v[17:18], 2, v[1:2]
	v_lshlrev_b32_e32 v19, 4, v0
	s_mov_b32 s5, 0
	s_delay_alu instid0(VALU_DEP_3) | instskip(NEXT) | instid1(VALU_DEP_4)
	v_add_co_u32 v7, vcc_lo, s16, v7
	v_add_co_ci_u32_e32 v8, vcc_lo, s17, v8, vcc_lo
	s_delay_alu instid0(VALU_DEP_4)
	v_add_co_u32 v17, vcc_lo, s14, v17
	v_add_co_ci_u32_e32 v18, vcc_lo, s15, v18, vcc_lo
	s_set_inst_prefetch_distance 0x1
	.p2align	6
.LBB103_81:                             ; =>This Inner Loop Header: Depth=1
	global_load_b32 v20, v[17:18], off
	global_load_b64 v[24:25], v[7:8], off
	s_waitcnt vmcnt(1)
	v_subrev_nc_u32_e32 v20, s30, v20
	s_waitcnt vmcnt(0)
	v_fma_f64 v[26:27], v[15:16], v[24:25], v[5:6]
	v_fma_f64 v[24:25], v[13:14], v[24:25], v[3:4]
	s_delay_alu instid0(VALU_DEP_3) | instskip(NEXT) | instid1(VALU_DEP_1)
	v_ashrrev_i32_e32 v21, 31, v20
	v_lshlrev_b64 v[20:21], 4, v[20:21]
	s_delay_alu instid0(VALU_DEP_1) | instskip(NEXT) | instid1(VALU_DEP_2)
	v_add_co_u32 v20, vcc_lo, s18, v20
	v_add_co_ci_u32_e32 v21, vcc_lo, s19, v21, vcc_lo
	v_add_co_u32 v1, vcc_lo, 0x100, v1
	v_add_co_ci_u32_e32 v2, vcc_lo, 0, v2, vcc_lo
	global_load_b128 v[20:23], v[20:21], off
	v_add_co_u32 v7, vcc_lo, 0x800, v7
	v_add_co_ci_u32_e32 v8, vcc_lo, 0, v8, vcc_lo
	v_cmp_le_i64_e64 s0, s[2:3], v[1:2]
	v_add_co_u32 v17, vcc_lo, 0x400, v17
	v_add_co_ci_u32_e32 v18, vcc_lo, 0, v18, vcc_lo
	s_delay_alu instid0(VALU_DEP_3) | instskip(SKIP_3) | instid1(VALU_DEP_2)
	s_or_b32 s5, s0, s5
	s_waitcnt vmcnt(0)
	v_mul_f64 v[28:29], v[22:23], -v[26:27]
	v_mul_f64 v[30:31], v[24:25], v[22:23]
	v_fma_f64 v[22:23], v[24:25], v[20:21], v[28:29]
	s_delay_alu instid0(VALU_DEP_2)
	v_fma_f64 v[24:25], v[26:27], v[20:21], v[30:31]
	ds_store_b128 v19, v[22:25]
	v_add_nc_u32_e32 v19, 0x1000, v19
	s_and_not1_b32 exec_lo, exec_lo, s5
	s_cbranch_execnz .LBB103_81
.LBB103_82:
	s_set_inst_prefetch_distance 0x2
	s_or_b32 exec_lo, exec_lo, s4
                                        ; implicit-def: $vgpr15_vgpr16
                                        ; implicit-def: $vgpr13_vgpr14
                                        ; implicit-def: $vgpr1_vgpr2
.LBB103_83:
	s_or_saveexec_b32 s0, s1
	v_lshlrev_b32_e32 v17, 4, v0
	s_xor_b32 exec_lo, exec_lo, s0
	s_cbranch_execz .LBB103_85
; %bb.84:
	v_lshlrev_b64 v[3:4], 2, v[1:2]
	v_lshlrev_b64 v[1:2], 3, v[1:2]
	v_mul_f64 v[34:35], v[13:14], 0
	v_mul_f64 v[36:37], 0x80000000, v[15:16]
	s_delay_alu instid0(VALU_DEP_4)
	v_add_co_u32 v3, vcc_lo, s14, v3
	v_add_co_ci_u32_e32 v4, vcc_lo, s15, v4, vcc_lo
	v_add_co_u32 v1, vcc_lo, s16, v1
	v_add_co_ci_u32_e32 v2, vcc_lo, s17, v2, vcc_lo
	s_clause 0x3
	global_load_b32 v5, v[3:4], off
	global_load_b32 v6, v[3:4], off offset:1024
	global_load_b32 v7, v[3:4], off offset:2048
	;; [unrolled: 1-line block ×3, first 2 shown]
	v_add_co_u32 v3, vcc_lo, 0x1000, v1
	v_add_co_ci_u32_e32 v4, vcc_lo, 0, v2, vcc_lo
	s_clause 0x3
	global_load_b64 v[26:27], v[1:2], off
	global_load_b64 v[28:29], v[1:2], off offset:2048
	global_load_b64 v[30:31], v[3:4], off
	global_load_b64 v[32:33], v[3:4], off offset:2048
	s_waitcnt vmcnt(7)
	v_subrev_nc_u32_e32 v1, s30, v5
	s_waitcnt vmcnt(6)
	v_subrev_nc_u32_e32 v3, s30, v6
	;; [unrolled: 2-line block ×4, first 2 shown]
	v_ashrrev_i32_e32 v2, 31, v1
	v_ashrrev_i32_e32 v4, 31, v3
	;; [unrolled: 1-line block ×3, first 2 shown]
	s_delay_alu instid0(VALU_DEP_4)
	v_ashrrev_i32_e32 v8, 31, v7
	s_waitcnt vmcnt(3)
	v_fma_f64 v[38:39], v[15:16], v[26:27], v[34:35]
	v_lshlrev_b64 v[1:2], 4, v[1:2]
	v_lshlrev_b64 v[3:4], 4, v[3:4]
	;; [unrolled: 1-line block ×4, first 2 shown]
	v_fma_f64 v[26:27], v[13:14], v[26:27], v[36:37]
	s_waitcnt vmcnt(2)
	v_fma_f64 v[40:41], v[15:16], v[28:29], v[34:35]
	v_add_co_u32 v1, vcc_lo, s18, v1
	v_add_co_ci_u32_e32 v2, vcc_lo, s19, v2, vcc_lo
	v_add_co_u32 v18, vcc_lo, s18, v3
	v_add_co_ci_u32_e32 v19, vcc_lo, s19, v4, vcc_lo
	;; [unrolled: 2-line block ×3, first 2 shown]
	v_add_co_u32 v22, vcc_lo, s18, v7
	global_load_b128 v[1:4], v[1:2], off
	v_add_co_ci_u32_e32 v23, vcc_lo, s19, v8, vcc_lo
	s_clause 0x2
	global_load_b128 v[5:8], v[18:19], off
	global_load_b128 v[18:21], v[20:21], off
	;; [unrolled: 1-line block ×3, first 2 shown]
	v_fma_f64 v[28:29], v[13:14], v[28:29], v[36:37]
	s_waitcnt vmcnt(5)
	v_fma_f64 v[42:43], v[15:16], v[30:31], v[34:35]
	v_fma_f64 v[30:31], v[13:14], v[30:31], v[36:37]
	s_waitcnt vmcnt(4)
	v_fma_f64 v[34:35], v[15:16], v[32:33], v[34:35]
	v_fma_f64 v[32:33], v[13:14], v[32:33], v[36:37]
	s_waitcnt vmcnt(3)
	v_mul_f64 v[13:14], v[3:4], -v[38:39]
	v_mul_f64 v[3:4], v[26:27], v[3:4]
	s_waitcnt vmcnt(2)
	v_mul_f64 v[36:37], v[7:8], -v[40:41]
	v_mul_f64 v[7:8], v[28:29], v[7:8]
	;; [unrolled: 3-line block ×4, first 2 shown]
	v_fma_f64 v[13:14], v[26:27], v[1:2], v[13:14]
	v_fma_f64 v[15:16], v[38:39], v[1:2], v[3:4]
	;; [unrolled: 1-line block ×8, first 2 shown]
	ds_store_b128 v17, v[13:16]
	ds_store_b128 v17, v[1:4] offset:4096
	ds_store_b128 v17, v[5:8] offset:8192
	;; [unrolled: 1-line block ×3, first 2 shown]
.LBB103_85:
	s_or_b32 exec_lo, exec_lo, s0
	s_cmp_lt_i32 s31, 2
	s_mov_b32 s0, -1
	s_waitcnt vmcnt(0) lgkmcnt(0)
	s_waitcnt_vscnt null, 0x0
	s_barrier
	buffer_gl0_inv
	s_cbranch_scc0 .LBB103_96
; %bb.86:
	v_add_co_u32 v13, s0, s20, v0
	s_delay_alu instid0(VALU_DEP_1) | instskip(SKIP_1) | instid1(VALU_DEP_1)
	v_add_co_ci_u32_e64 v14, null, s21, 0, s0
	s_mov_b32 s1, exec_lo
	v_cmpx_gt_i64_e64 s[22:23], v[13:14]
	s_cbranch_execz .LBB103_95
; %bb.87:
	v_cmp_neq_f64_e32 vcc_lo, 0, v[9:10]
	v_cmp_neq_f64_e64 s0, 0, v[11:12]
	s_lshl_b32 s4, s28, 4
	s_mov_b32 s2, 0
	s_sub_i32 s4, 0, s4
	s_delay_alu instid0(VALU_DEP_1)
	s_or_b32 s3, vcc_lo, s0
	s_branch .LBB103_89
.LBB103_88:                             ;   in Loop: Header=BB103_89 Depth=1
	s_or_b32 exec_lo, exec_lo, s0
	v_add_co_u32 v13, vcc_lo, 0x100, v13
	v_add_co_ci_u32_e32 v14, vcc_lo, 0, v14, vcc_lo
	v_add_co_u32 v5, s0, s24, v5
	s_delay_alu instid0(VALU_DEP_1) | instskip(NEXT) | instid1(VALU_DEP_3)
	v_add_co_ci_u32_e64 v6, s0, s25, v6, s0
	v_cmp_le_i64_e32 vcc_lo, s[22:23], v[13:14]
	global_store_b128 v[5:6], v[1:4], off
	s_or_b32 s2, vcc_lo, s2
	s_delay_alu instid0(SALU_CYCLE_1)
	s_and_not1_b32 exec_lo, exec_lo, s2
	s_cbranch_execz .LBB103_95
.LBB103_89:                             ; =>This Loop Header: Depth=1
                                        ;     Child Loop BB103_91 Depth 2
	v_lshlrev_b64 v[1:2], 3, v[13:14]
	v_mov_b32_e32 v3, 0
	v_mov_b32_e32 v4, 0
	s_mov_b32 s0, exec_lo
	s_delay_alu instid0(VALU_DEP_3) | instskip(NEXT) | instid1(VALU_DEP_4)
	v_add_co_u32 v1, vcc_lo, s12, v1
	v_add_co_ci_u32_e32 v2, vcc_lo, s13, v2, vcc_lo
	global_load_b128 v[5:8], v[1:2], off
	v_dual_mov_b32 v1, v3 :: v_dual_mov_b32 v2, v4
	s_waitcnt vmcnt(0)
	v_subrev_nc_u32_e32 v6, s28, v5
	v_subrev_nc_u32_e32 v7, s28, v7
	s_delay_alu instid0(VALU_DEP_1)
	v_cmpx_lt_i32_e64 v6, v7
	s_cbranch_execz .LBB103_93
; %bb.90:                               ;   in Loop: Header=BB103_89 Depth=1
	v_mov_b32_e32 v3, 0
	v_mov_b32_e32 v4, 0
	v_lshl_add_u32 v5, v5, 4, s4
	s_delay_alu instid0(VALU_DEP_3) | instskip(SKIP_1) | instid1(VALU_DEP_3)
	v_mov_b32_e32 v1, v3
	s_mov_b32 s5, 0
	v_mov_b32_e32 v2, v4
.LBB103_91:                             ;   Parent Loop BB103_89 Depth=1
                                        ; =>  This Inner Loop Header: Depth=2
	ds_load_b128 v[18:21], v5
	v_add_nc_u32_e32 v6, 1, v6
	v_add_nc_u32_e32 v5, 16, v5
	s_delay_alu instid0(VALU_DEP_2)
	v_cmp_ge_i32_e32 vcc_lo, v6, v7
	s_or_b32 s5, vcc_lo, s5
	s_waitcnt lgkmcnt(0)
	v_add_f64 v[1:2], v[1:2], v[18:19]
	v_add_f64 v[3:4], v[3:4], v[20:21]
	s_and_not1_b32 exec_lo, exec_lo, s5
	s_cbranch_execnz .LBB103_91
; %bb.92:                               ;   in Loop: Header=BB103_89 Depth=1
	s_or_b32 exec_lo, exec_lo, s5
.LBB103_93:                             ;   in Loop: Header=BB103_89 Depth=1
	s_delay_alu instid0(SALU_CYCLE_1)
	s_or_b32 exec_lo, exec_lo, s0
	v_lshlrev_b64 v[5:6], 4, v[13:14]
	s_and_saveexec_b32 s0, s3
	s_cbranch_execz .LBB103_88
; %bb.94:                               ;   in Loop: Header=BB103_89 Depth=1
	s_delay_alu instid0(VALU_DEP_1) | instskip(NEXT) | instid1(VALU_DEP_2)
	v_add_co_u32 v7, vcc_lo, s24, v5
	v_add_co_ci_u32_e32 v8, vcc_lo, s25, v6, vcc_lo
	global_load_b128 v[18:21], v[7:8], off
	s_waitcnt vmcnt(0)
	v_fma_f64 v[1:2], v[9:10], v[18:19], v[1:2]
	v_fma_f64 v[3:4], v[11:12], v[18:19], v[3:4]
	s_delay_alu instid0(VALU_DEP_2) | instskip(NEXT) | instid1(VALU_DEP_2)
	v_fma_f64 v[1:2], -v[11:12], v[20:21], v[1:2]
	v_fma_f64 v[3:4], v[9:10], v[20:21], v[3:4]
	s_branch .LBB103_88
.LBB103_95:
	s_or_b32 exec_lo, exec_lo, s1
	s_mov_b32 s0, 0
.LBB103_96:
	s_delay_alu instid0(SALU_CYCLE_1)
	s_and_not1_b32 vcc_lo, exec_lo, s0
	s_cbranch_vccnz .LBB103_121
; %bb.97:
	s_clz_i32_u32 s0, s31
	v_mov_b32_e32 v1, 0
	s_xor_b32 s0, s0, 31
	s_mov_b32 s1, exec_lo
	v_lshrrev_b32_e32 v8, s0, v0
	s_delay_alu instid0(VALU_DEP_1) | instskip(NEXT) | instid1(VALU_DEP_1)
	v_add_co_u32 v5, s0, s20, v8
	v_add_co_ci_u32_e64 v6, null, s21, 0, s0
	s_add_i32 s0, s31, -1
	s_delay_alu instid0(SALU_CYCLE_1) | instskip(NEXT) | instid1(VALU_DEP_2)
	v_dual_mov_b32 v2, 0 :: v_dual_and_b32 v7, s0, v0
	v_cmp_le_i64_e32 vcc_lo, s[22:23], v[5:6]
	s_delay_alu instid0(VALU_DEP_2)
	v_dual_mov_b32 v4, v2 :: v_dual_mov_b32 v3, v1
	v_cmpx_gt_i64_e64 s[22:23], v[5:6]
	s_cbranch_execz .LBB103_103
; %bb.98:
	v_dual_mov_b32 v3, 0 :: v_dual_lshlrev_b32 v0, 3, v8
	v_mov_b32_e32 v4, 0
	s_mov_b32 s2, exec_lo
	s_clause 0x1
	global_load_b32 v1, v0, s[26:27]
	global_load_b32 v0, v0, s[26:27] offset:8
	s_waitcnt vmcnt(1)
	v_subrev_nc_u32_e32 v1, s28, v1
	s_waitcnt vmcnt(0)
	v_subrev_nc_u32_e32 v0, s28, v0
	s_delay_alu instid0(VALU_DEP_2) | instskip(SKIP_1) | instid1(VALU_DEP_2)
	v_add_nc_u32_e32 v8, v7, v1
	v_dual_mov_b32 v1, v3 :: v_dual_mov_b32 v2, v4
	v_cmpx_lt_i32_e64 v8, v0
	s_cbranch_execz .LBB103_102
; %bb.99:
	v_mov_b32_e32 v3, 0
	v_dual_mov_b32 v4, 0 :: v_dual_lshlrev_b32 v13, 4, v8
	s_delay_alu instid0(VALU_DEP_2) | instskip(SKIP_2) | instid1(VALU_DEP_2)
	v_mov_b32_e32 v1, v3
	s_lshl_b32 s4, s31, 4
	s_mov_b32 s3, 0
	v_mov_b32_e32 v2, v4
.LBB103_100:                            ; =>This Inner Loop Header: Depth=1
	ds_load_b128 v[18:21], v13
	v_add_nc_u32_e32 v8, s31, v8
	v_add_nc_u32_e32 v13, s4, v13
	s_delay_alu instid0(VALU_DEP_2) | instskip(NEXT) | instid1(VALU_DEP_1)
	v_cmp_ge_i32_e64 s0, v8, v0
	s_or_b32 s3, s0, s3
	s_waitcnt lgkmcnt(0)
	v_add_f64 v[1:2], v[1:2], v[18:19]
	v_add_f64 v[3:4], v[3:4], v[20:21]
	s_and_not1_b32 exec_lo, exec_lo, s3
	s_cbranch_execnz .LBB103_100
; %bb.101:
	s_or_b32 exec_lo, exec_lo, s3
.LBB103_102:
	s_delay_alu instid0(SALU_CYCLE_1)
	s_or_b32 exec_lo, exec_lo, s2
.LBB103_103:
	s_delay_alu instid0(SALU_CYCLE_1)
	s_or_b32 exec_lo, exec_lo, s1
	s_cmpk_lt_i32 s31, 0x81
	s_waitcnt_vscnt null, 0x0
	s_barrier
	buffer_gl0_inv
	ds_store_b128 v17, v[1:4]
	s_waitcnt lgkmcnt(0)
	s_barrier
	buffer_gl0_inv
	s_cbranch_scc1 .LBB103_105
; %bb.104:
	ds_load_b128 v[13:16], v17 offset:2048
	s_waitcnt lgkmcnt(0)
	s_barrier
	buffer_gl0_inv
	v_add_f64 v[1:2], v[1:2], v[13:14]
	v_add_f64 v[3:4], v[3:4], v[15:16]
	ds_store_b128 v17, v[1:4]
.LBB103_105:
	s_cmpk_lt_i32 s31, 0x41
	s_waitcnt lgkmcnt(0)
	s_barrier
	buffer_gl0_inv
	s_cbranch_scc1 .LBB103_107
; %bb.106:
	ds_load_b128 v[13:16], v17 offset:1024
	s_waitcnt lgkmcnt(0)
	s_barrier
	buffer_gl0_inv
	v_add_f64 v[1:2], v[1:2], v[13:14]
	v_add_f64 v[3:4], v[3:4], v[15:16]
	ds_store_b128 v17, v[1:4]
.LBB103_107:
	s_cmp_lt_i32 s31, 33
	s_waitcnt lgkmcnt(0)
	s_barrier
	buffer_gl0_inv
	s_cbranch_scc1 .LBB103_109
; %bb.108:
	ds_load_b128 v[13:16], v17 offset:512
	s_waitcnt lgkmcnt(0)
	s_barrier
	buffer_gl0_inv
	v_add_f64 v[1:2], v[1:2], v[13:14]
	v_add_f64 v[3:4], v[3:4], v[15:16]
	ds_store_b128 v17, v[1:4]
.LBB103_109:
	s_cmp_lt_i32 s31, 17
	;; [unrolled: 14-line block ×4, first 2 shown]
	s_waitcnt lgkmcnt(0)
	s_barrier
	buffer_gl0_inv
	s_cbranch_scc1 .LBB103_115
; %bb.114:
	ds_load_b128 v[13:16], v17 offset:64
	s_waitcnt lgkmcnt(0)
	s_barrier
	buffer_gl0_inv
	v_add_f64 v[1:2], v[1:2], v[13:14]
	v_add_f64 v[3:4], v[3:4], v[15:16]
	ds_store_b128 v17, v[1:4]
.LBB103_115:
	s_cmp_eq_u32 s31, 2
	s_waitcnt lgkmcnt(0)
	s_barrier
	buffer_gl0_inv
	s_cbranch_scc1 .LBB103_117
; %bb.116:
	ds_load_b128 v[13:16], v17 offset:32
	s_waitcnt lgkmcnt(0)
	s_barrier
	buffer_gl0_inv
	v_add_f64 v[1:2], v[1:2], v[13:14]
	v_add_f64 v[3:4], v[3:4], v[15:16]
	ds_store_b128 v17, v[1:4]
.LBB103_117:
	s_waitcnt lgkmcnt(0)
	s_barrier
	buffer_gl0_inv
	ds_load_b128 v[13:16], v17 offset:16
	v_cmp_eq_u32_e64 s0, 0, v7
	s_xor_b32 s1, vcc_lo, -1
	s_waitcnt lgkmcnt(0)
	s_barrier
	buffer_gl0_inv
	s_and_b32 s0, s0, s1
	v_add_f64 v[0:1], v[1:2], v[13:14]
	v_add_f64 v[2:3], v[3:4], v[15:16]
	ds_store_b128 v17, v[0:3]
	s_and_b32 exec_lo, exec_lo, s0
	s_cbranch_execz .LBB103_121
; %bb.118:
	v_cmp_neq_f64_e32 vcc_lo, 0, v[9:10]
	v_cmp_neq_f64_e64 s0, 0, v[11:12]
	v_lshlrev_b64 v[4:5], 4, v[5:6]
	s_delay_alu instid0(VALU_DEP_2) | instskip(NEXT) | instid1(SALU_CYCLE_1)
	s_or_b32 s1, vcc_lo, s0
	s_and_saveexec_b32 s0, s1
	s_cbranch_execz .LBB103_120
; %bb.119:
	s_delay_alu instid0(VALU_DEP_1) | instskip(NEXT) | instid1(VALU_DEP_2)
	v_add_co_u32 v6, vcc_lo, s24, v4
	v_add_co_ci_u32_e32 v7, vcc_lo, s25, v5, vcc_lo
	global_load_b128 v[13:16], v[6:7], off
	s_waitcnt vmcnt(0)
	v_fma_f64 v[0:1], v[9:10], v[13:14], v[0:1]
	v_fma_f64 v[2:3], v[11:12], v[13:14], v[2:3]
	s_delay_alu instid0(VALU_DEP_2) | instskip(NEXT) | instid1(VALU_DEP_2)
	v_fma_f64 v[0:1], -v[11:12], v[15:16], v[0:1]
	v_fma_f64 v[2:3], v[9:10], v[15:16], v[2:3]
.LBB103_120:
	s_or_b32 exec_lo, exec_lo, s0
	s_delay_alu instid0(VALU_DEP_1)
	v_add_co_u32 v4, vcc_lo, s24, v4
	v_add_co_ci_u32_e32 v5, vcc_lo, s25, v5, vcc_lo
	global_store_b128 v[4:5], v[0:3], off
.LBB103_121:
	s_endpgm
	.section	.rodata,"a",@progbits
	.p2align	6, 0x0
	.amdhsa_kernel _ZN9rocsparseL22csrmvn_adaptive_kernelIlid21rocsparse_complex_numIdES2_S2_EEvbT_PKS3_PjPKT0_NS_24const_host_device_scalarIT4_EES5_S9_PKT1_PKT2_SC_PT3_21rocsparse_index_base_b
		.amdhsa_group_segment_fixed_size 16384
		.amdhsa_private_segment_fixed_size 24
		.amdhsa_kernarg_size 120
		.amdhsa_user_sgpr_count 15
		.amdhsa_user_sgpr_dispatch_ptr 0
		.amdhsa_user_sgpr_queue_ptr 0
		.amdhsa_user_sgpr_kernarg_segment_ptr 1
		.amdhsa_user_sgpr_dispatch_id 0
		.amdhsa_user_sgpr_private_segment_size 0
		.amdhsa_wavefront_size32 1
		.amdhsa_uses_dynamic_stack 0
		.amdhsa_enable_private_segment 1
		.amdhsa_system_sgpr_workgroup_id_x 1
		.amdhsa_system_sgpr_workgroup_id_y 0
		.amdhsa_system_sgpr_workgroup_id_z 0
		.amdhsa_system_sgpr_workgroup_info 0
		.amdhsa_system_vgpr_workitem_id 0
		.amdhsa_next_free_vgpr 48
		.amdhsa_next_free_sgpr 46
		.amdhsa_reserve_vcc 1
		.amdhsa_float_round_mode_32 0
		.amdhsa_float_round_mode_16_64 0
		.amdhsa_float_denorm_mode_32 3
		.amdhsa_float_denorm_mode_16_64 3
		.amdhsa_dx10_clamp 1
		.amdhsa_ieee_mode 1
		.amdhsa_fp16_overflow 0
		.amdhsa_workgroup_processor_mode 1
		.amdhsa_memory_ordered 1
		.amdhsa_forward_progress 0
		.amdhsa_shared_vgpr_count 0
		.amdhsa_exception_fp_ieee_invalid_op 0
		.amdhsa_exception_fp_denorm_src 0
		.amdhsa_exception_fp_ieee_div_zero 0
		.amdhsa_exception_fp_ieee_overflow 0
		.amdhsa_exception_fp_ieee_underflow 0
		.amdhsa_exception_fp_ieee_inexact 0
		.amdhsa_exception_int_div_zero 0
	.end_amdhsa_kernel
	.section	.text._ZN9rocsparseL22csrmvn_adaptive_kernelIlid21rocsparse_complex_numIdES2_S2_EEvbT_PKS3_PjPKT0_NS_24const_host_device_scalarIT4_EES5_S9_PKT1_PKT2_SC_PT3_21rocsparse_index_base_b,"axG",@progbits,_ZN9rocsparseL22csrmvn_adaptive_kernelIlid21rocsparse_complex_numIdES2_S2_EEvbT_PKS3_PjPKT0_NS_24const_host_device_scalarIT4_EES5_S9_PKT1_PKT2_SC_PT3_21rocsparse_index_base_b,comdat
.Lfunc_end103:
	.size	_ZN9rocsparseL22csrmvn_adaptive_kernelIlid21rocsparse_complex_numIdES2_S2_EEvbT_PKS3_PjPKT0_NS_24const_host_device_scalarIT4_EES5_S9_PKT1_PKT2_SC_PT3_21rocsparse_index_base_b, .Lfunc_end103-_ZN9rocsparseL22csrmvn_adaptive_kernelIlid21rocsparse_complex_numIdES2_S2_EEvbT_PKS3_PjPKT0_NS_24const_host_device_scalarIT4_EES5_S9_PKT1_PKT2_SC_PT3_21rocsparse_index_base_b
                                        ; -- End function
	.section	.AMDGPU.csdata,"",@progbits
; Kernel info:
; codeLenInByte = 6024
; NumSgprs: 48
; NumVgprs: 48
; ScratchSize: 24
; MemoryBound: 0
; FloatMode: 240
; IeeeMode: 1
; LDSByteSize: 16384 bytes/workgroup (compile time only)
; SGPRBlocks: 5
; VGPRBlocks: 5
; NumSGPRsForWavesPerEU: 48
; NumVGPRsForWavesPerEU: 48
; Occupancy: 16
; WaveLimiterHint : 1
; COMPUTE_PGM_RSRC2:SCRATCH_EN: 1
; COMPUTE_PGM_RSRC2:USER_SGPR: 15
; COMPUTE_PGM_RSRC2:TRAP_HANDLER: 0
; COMPUTE_PGM_RSRC2:TGID_X_EN: 1
; COMPUTE_PGM_RSRC2:TGID_Y_EN: 0
; COMPUTE_PGM_RSRC2:TGID_Z_EN: 0
; COMPUTE_PGM_RSRC2:TIDIG_COMP_CNT: 0
	.section	.text._ZN9rocsparseL27csrmvn_symm_adaptive_kernelIlid21rocsparse_complex_numIdES2_S2_EEvbT_S3_PKS3_NS_24const_host_device_scalarIT4_EES5_PKT0_PKT1_PKT2_S8_PT3_21rocsparse_index_base_b,"axG",@progbits,_ZN9rocsparseL27csrmvn_symm_adaptive_kernelIlid21rocsparse_complex_numIdES2_S2_EEvbT_S3_PKS3_NS_24const_host_device_scalarIT4_EES5_PKT0_PKT1_PKT2_S8_PT3_21rocsparse_index_base_b,comdat
	.globl	_ZN9rocsparseL27csrmvn_symm_adaptive_kernelIlid21rocsparse_complex_numIdES2_S2_EEvbT_S3_PKS3_NS_24const_host_device_scalarIT4_EES5_PKT0_PKT1_PKT2_S8_PT3_21rocsparse_index_base_b ; -- Begin function _ZN9rocsparseL27csrmvn_symm_adaptive_kernelIlid21rocsparse_complex_numIdES2_S2_EEvbT_S3_PKS3_NS_24const_host_device_scalarIT4_EES5_PKT0_PKT1_PKT2_S8_PT3_21rocsparse_index_base_b
	.p2align	8
	.type	_ZN9rocsparseL27csrmvn_symm_adaptive_kernelIlid21rocsparse_complex_numIdES2_S2_EEvbT_S3_PKS3_NS_24const_host_device_scalarIT4_EES5_PKT0_PKT1_PKT2_S8_PT3_21rocsparse_index_base_b,@function
_ZN9rocsparseL27csrmvn_symm_adaptive_kernelIlid21rocsparse_complex_numIdES2_S2_EEvbT_S3_PKS3_NS_24const_host_device_scalarIT4_EES5_PKT0_PKT1_PKT2_S8_PT3_21rocsparse_index_base_b: ; @_ZN9rocsparseL27csrmvn_symm_adaptive_kernelIlid21rocsparse_complex_numIdES2_S2_EEvbT_S3_PKS3_NS_24const_host_device_scalarIT4_EES5_PKT0_PKT1_PKT2_S8_PT3_21rocsparse_index_base_b
; %bb.0:
	s_clause 0x2
	s_load_b64 s[24:25], s[0:1], 0x68
	s_load_b128 s[8:11], s[0:1], 0x20
	s_load_b128 s[4:7], s[0:1], 0x50
	s_mov_b64 s[2:3], src_private_base
	v_mov_b32_e32 v1, 0
	s_mov_b32 s12, s15
	s_waitcnt lgkmcnt(0)
	s_bitcmp1_b32 s25, 0
	v_dual_mov_b32 v3, s8 :: v_dual_mov_b32 v6, s5
	s_cselect_b32 s2, -1, 0
	v_mov_b32_e32 v4, s9
	s_and_b32 vcc_lo, s2, exec_lo
	s_cselect_b32 s13, s3, s9
	v_cndmask_b32_e64 v1, s8, v1, s2
	v_dual_mov_b32 v5, s4 :: v_dual_mov_b32 v2, s13
	s_clause 0x1
	scratch_store_b64 off, v[3:4], off
	scratch_store_b64 off, v[5:6], off offset:8
	v_dual_mov_b32 v12, s11 :: v_dual_mov_b32 v11, s10
	flat_load_b64 v[9:10], v[1:2]
	s_xor_b32 s10, s2, -1
	s_cbranch_vccnz .LBB104_2
; %bb.1:
	v_dual_mov_b32 v1, s8 :: v_dual_mov_b32 v2, s9
	flat_load_b64 v[11:12], v[1:2] offset:8
.LBB104_2:
	s_and_b32 s8, s2, exec_lo
	s_cselect_b32 s3, s3, s5
	s_delay_alu instid0(SALU_CYCLE_1) | instskip(SKIP_2) | instid1(VALU_DEP_2)
	v_dual_mov_b32 v1, 8 :: v_dual_mov_b32 v2, s3
	v_dual_mov_b32 v3, s6 :: v_dual_mov_b32 v4, s7
	s_and_not1_b32 vcc_lo, exec_lo, s10
	v_cndmask_b32_e64 v1, s4, v1, s2
	flat_load_b64 v[1:2], v[1:2]
	s_cbranch_vccnz .LBB104_4
; %bb.3:
	v_dual_mov_b32 v3, s4 :: v_dual_mov_b32 v4, s5
	flat_load_b64 v[3:4], v[3:4] offset:8
.LBB104_4:
	s_waitcnt vmcnt(1) lgkmcnt(1)
	v_cmp_eq_f64_e32 vcc_lo, 0, v[9:10]
	v_cmp_eq_f64_e64 s2, 0, v[11:12]
	s_delay_alu instid0(VALU_DEP_1)
	s_and_b32 s4, vcc_lo, s2
	s_mov_b32 s2, -1
	s_and_saveexec_b32 s3, s4
	s_cbranch_execz .LBB104_6
; %bb.5:
	s_waitcnt vmcnt(0) lgkmcnt(0)
	v_cmp_neq_f64_e32 vcc_lo, 1.0, v[1:2]
	v_cmp_neq_f64_e64 s2, 0, v[3:4]
	s_delay_alu instid0(VALU_DEP_1) | instskip(NEXT) | instid1(SALU_CYCLE_1)
	s_or_b32 s2, vcc_lo, s2
	s_or_not1_b32 s2, s2, exec_lo
.LBB104_6:
	s_or_b32 exec_lo, exec_lo, s3
	s_and_saveexec_b32 s3, s2
	s_cbranch_execz .LBB104_216
; %bb.7:
	s_load_b64 s[2:3], s[0:1], 0x18
	s_mov_b32 s4, 0
	s_ashr_i32 s13, s12, 31
	s_mov_b32 s5, s4
	s_mov_b32 s6, s4
	;; [unrolled: 1-line block ×3, first 2 shown]
	s_waitcnt vmcnt(0) lgkmcnt(0)
	v_dual_mov_b32 v1, s4 :: v_dual_mov_b32 v4, s7
	v_dual_mov_b32 v2, s5 :: v_dual_lshlrev_b32 v27, 4, v0
	v_mov_b32_e32 v3, s6
	s_lshl_b64 s[4:5], s[12:13], 3
	ds_store_b128 v27, v[1:4]
	ds_store_b128 v27, v[1:4] offset:4096
	ds_store_b128 v27, v[1:4] offset:8192
	;; [unrolled: 1-line block ×3, first 2 shown]
	s_waitcnt lgkmcnt(0)
	s_waitcnt_vscnt null, 0x0
	s_barrier
	buffer_gl0_inv
	s_add_u32 s2, s2, s4
	s_addc_u32 s3, s3, s5
	s_load_b128 s[16:19], s[2:3], 0x0
	s_clause 0x1
	s_load_b64 s[20:21], s[0:1], 0x60
	s_load_b256 s[8:15], s[0:1], 0x30
	s_waitcnt lgkmcnt(0)
	s_sub_u32 s22, s18, s16
	s_subb_u32 s23, s19, s17
	s_delay_alu instid0(SALU_CYCLE_1) | instskip(NEXT) | instid1(VALU_DEP_1)
	v_cmp_gt_i64_e64 s2, s[22:23], 2
	s_and_b32 vcc_lo, exec_lo, s2
	s_mov_b32 s2, -1
	s_cbranch_vccnz .LBB104_53
; %bb.8:
	v_cmp_gt_i64_e64 s2, s[18:19], s[16:17]
	v_sub_co_u32 v15, s3, v0, s24
	s_delay_alu instid0(VALU_DEP_1) | instskip(NEXT) | instid1(VALU_DEP_3)
	v_sub_co_ci_u32_e64 v16, null, 0, 0, s3
	s_and_b32 vcc_lo, exec_lo, s2
	s_cbranch_vccnz .LBB104_10
; %bb.9:
	s_lshl_b64 s[2:3], s[16:17], 3
	s_delay_alu instid0(SALU_CYCLE_1)
	s_add_u32 s2, s8, s2
	s_addc_u32 s3, s9, s3
	s_load_b64 s[26:27], s[2:3], 0x0
	s_cbranch_execz .LBB104_11
	s_branch .LBB104_40
.LBB104_10:
                                        ; implicit-def: $sgpr26_sgpr27
.LBB104_11:
	s_lshl_b64 s[2:3], s[16:17], 3
	v_cmp_gt_u32_e64 s4, 16, v0
	s_add_u32 s2, s8, s2
	s_addc_u32 s3, s9, s3
	v_cmp_gt_u32_e64 s5, 4, v0
	s_waitcnt lgkmcnt(0)
	s_load_b64 s[26:27], s[2:3], 0x0
	v_cmp_gt_u32_e64 s2, 0x100, v0
	v_cmp_gt_u32_e64 s3, 64, v0
	v_cmp_eq_u32_e64 s6, 0, v0
	v_mov_b32_e32 v17, 0
	s_add_u32 s25, s8, 8
	s_addc_u32 s33, s9, 0
	s_mov_b64 s[28:29], s[16:17]
	s_waitcnt lgkmcnt(0)
	s_mov_b64 s[30:31], s[26:27]
	s_branch .LBB104_13
.LBB104_12:                             ;   in Loop: Header=BB104_13 Depth=1
	s_or_b32 exec_lo, exec_lo, s7
	s_add_u32 s28, s28, 1
	s_addc_u32 s29, s29, 0
	s_delay_alu instid0(SALU_CYCLE_1) | instskip(NEXT) | instid1(VALU_DEP_1)
	v_cmp_ge_i64_e64 s7, s[28:29], s[18:19]
	s_and_b32 vcc_lo, exec_lo, s7
	s_cbranch_vccnz .LBB104_40
.LBB104_13:                             ; =>This Loop Header: Depth=1
                                        ;     Child Loop BB104_15 Depth 2
                                        ;     Child Loop BB104_29 Depth 2
	;; [unrolled: 1-line block ×5, first 2 shown]
	s_lshl_b64 s[34:35], s[28:29], 3
	s_mov_b64 s[36:37], s[30:31]
	s_add_u32 s34, s25, s34
	s_addc_u32 s35, s33, s35
	v_mov_b32_e32 v3, 0
	s_load_b64 s[30:31], s[34:35], 0x0
	v_mov_b32_e32 v4, 0
	v_add_co_u32 v5, vcc_lo, s36, v15
	v_add_co_ci_u32_e32 v6, vcc_lo, s37, v16, vcc_lo
	s_delay_alu instid0(VALU_DEP_3) | instskip(SKIP_4) | instid1(SALU_CYCLE_1)
	v_dual_mov_b32 v1, v3 :: v_dual_mov_b32 v2, v4
	s_mov_b32 s36, exec_lo
	s_waitcnt lgkmcnt(0)
	s_sub_u32 s34, s30, s24
	s_subb_u32 s35, s31, 0
	v_cmpx_gt_i64_e64 s[34:35], v[5:6]
	s_cbranch_execz .LBB104_17
; %bb.14:                               ;   in Loop: Header=BB104_13 Depth=1
	v_lshlrev_b64 v[1:2], 2, v[5:6]
	v_lshlrev_b64 v[13:14], 3, v[5:6]
	v_mov_b32_e32 v3, 0
	v_mov_b32_e32 v4, 0
	s_mov_b32 s37, 0
	s_delay_alu instid0(VALU_DEP_4)
	v_add_co_u32 v7, vcc_lo, s10, v1
	v_add_co_ci_u32_e32 v8, vcc_lo, s11, v2, vcc_lo
	v_add_co_u32 v13, vcc_lo, s12, v13
	v_add_co_ci_u32_e32 v14, vcc_lo, s13, v14, vcc_lo
	v_dual_mov_b32 v1, v3 :: v_dual_mov_b32 v2, v4
	s_set_inst_prefetch_distance 0x1
	.p2align	6
.LBB104_15:                             ;   Parent Loop BB104_13 Depth=1
                                        ; =>  This Inner Loop Header: Depth=2
	global_load_b32 v18, v[7:8], off
	s_waitcnt vmcnt(0)
	v_subrev_nc_u32_e32 v18, s24, v18
	s_delay_alu instid0(VALU_DEP_1) | instskip(NEXT) | instid1(VALU_DEP_1)
	v_ashrrev_i32_e32 v19, 31, v18
	v_lshlrev_b64 v[18:19], 4, v[18:19]
	s_delay_alu instid0(VALU_DEP_1) | instskip(NEXT) | instid1(VALU_DEP_2)
	v_add_co_u32 v18, vcc_lo, s14, v18
	v_add_co_ci_u32_e32 v19, vcc_lo, s15, v19, vcc_lo
	v_add_co_u32 v5, vcc_lo, 0x100, v5
	global_load_b64 v[22:23], v[13:14], off
	global_load_b128 v[18:21], v[18:19], off
	v_add_co_ci_u32_e32 v6, vcc_lo, 0, v6, vcc_lo
	v_add_co_u32 v7, vcc_lo, 0x400, v7
	v_add_co_ci_u32_e32 v8, vcc_lo, 0, v8, vcc_lo
	s_delay_alu instid0(VALU_DEP_3) | instskip(SKIP_1) | instid1(VALU_DEP_1)
	v_cmp_le_i64_e32 vcc_lo, s[34:35], v[5:6]
	v_add_co_u32 v13, s7, 0x800, v13
	v_add_co_ci_u32_e64 v14, s7, 0, v14, s7
	s_or_b32 s37, vcc_lo, s37
	s_waitcnt vmcnt(0)
	v_fma_f64 v[1:2], v[22:23], v[18:19], v[1:2]
	v_fma_f64 v[3:4], v[18:19], 0, v[3:4]
	s_delay_alu instid0(VALU_DEP_2) | instskip(NEXT) | instid1(VALU_DEP_2)
	v_fma_f64 v[1:2], 0x80000000, v[20:21], v[1:2]
	v_fma_f64 v[3:4], v[22:23], v[20:21], v[3:4]
	s_and_not1_b32 exec_lo, exec_lo, s37
	s_cbranch_execnz .LBB104_15
; %bb.16:                               ;   in Loop: Header=BB104_13 Depth=1
	s_set_inst_prefetch_distance 0x2
	s_or_b32 exec_lo, exec_lo, s37
.LBB104_17:                             ;   in Loop: Header=BB104_13 Depth=1
	s_delay_alu instid0(SALU_CYCLE_1)
	s_or_b32 exec_lo, exec_lo, s36
	ds_store_b128 v27, v[1:4]
	s_waitcnt lgkmcnt(0)
	s_barrier
	buffer_gl0_inv
	s_and_saveexec_b32 s7, s2
	s_cbranch_execz .LBB104_19
; %bb.18:                               ;   in Loop: Header=BB104_13 Depth=1
	ds_load_b128 v[1:4], v27 offset:4096
	ds_load_b128 v[5:8], v27 offset:8192
	ds_load_b128 v[18:21], v27 offset:12288
	ds_load_b128 v[22:25], v27
	s_waitcnt lgkmcnt(2)
	v_add_f64 v[1:2], v[5:6], v[1:2]
	v_add_f64 v[3:4], v[7:8], v[3:4]
	s_waitcnt lgkmcnt(1)
	s_delay_alu instid0(VALU_DEP_2) | instskip(NEXT) | instid1(VALU_DEP_2)
	v_add_f64 v[1:2], v[1:2], v[18:19]
	v_add_f64 v[3:4], v[3:4], v[20:21]
	s_waitcnt lgkmcnt(0)
	s_delay_alu instid0(VALU_DEP_2) | instskip(NEXT) | instid1(VALU_DEP_2)
	v_add_f64 v[1:2], v[1:2], v[22:23]
	v_add_f64 v[3:4], v[3:4], v[24:25]
	ds_store_b128 v27, v[1:4]
.LBB104_19:                             ;   in Loop: Header=BB104_13 Depth=1
	s_or_b32 exec_lo, exec_lo, s7
	s_waitcnt lgkmcnt(0)
	s_barrier
	buffer_gl0_inv
	s_and_saveexec_b32 s7, s3
	s_cbranch_execz .LBB104_21
; %bb.20:                               ;   in Loop: Header=BB104_13 Depth=1
	ds_load_b128 v[1:4], v27 offset:1024
	ds_load_b128 v[5:8], v27 offset:2048
	ds_load_b128 v[18:21], v27 offset:3072
	ds_load_b128 v[22:25], v27
	s_waitcnt lgkmcnt(2)
	v_add_f64 v[1:2], v[5:6], v[1:2]
	v_add_f64 v[3:4], v[7:8], v[3:4]
	s_waitcnt lgkmcnt(1)
	s_delay_alu instid0(VALU_DEP_2) | instskip(NEXT) | instid1(VALU_DEP_2)
	v_add_f64 v[1:2], v[1:2], v[18:19]
	v_add_f64 v[3:4], v[3:4], v[20:21]
	s_waitcnt lgkmcnt(0)
	s_delay_alu instid0(VALU_DEP_2) | instskip(NEXT) | instid1(VALU_DEP_2)
	v_add_f64 v[1:2], v[1:2], v[22:23]
	v_add_f64 v[3:4], v[3:4], v[24:25]
	ds_store_b128 v27, v[1:4]
.LBB104_21:                             ;   in Loop: Header=BB104_13 Depth=1
	s_or_b32 exec_lo, exec_lo, s7
	;; [unrolled: 24-line block ×5, first 2 shown]
	s_waitcnt lgkmcnt(0)
	s_barrier
	buffer_gl0_inv
	s_and_saveexec_b32 s7, s6
	s_cbranch_execz .LBB104_12
; %bb.28:                               ;   in Loop: Header=BB104_13 Depth=1
	ds_load_b128 v[1:4], v17
	v_mov_b32_e32 v13, 0
	v_bfrev_b32_e32 v14, 1
	s_mov_b32 s34, exec_lo
	s_waitcnt lgkmcnt(0)
	v_mul_f64 v[5:6], v[3:4], -v[11:12]
	s_delay_alu instid0(VALU_DEP_1)
	v_fma_f64 v[5:6], v[9:10], v[1:2], v[5:6]
.LBB104_29:                             ;   Parent Loop BB104_13 Depth=1
                                        ; =>  This Inner Loop Header: Depth=2
	s_ctz_i32_b32 s35, s34
	s_delay_alu instid0(VALU_DEP_1) | instid1(SALU_CYCLE_1)
	v_readlane_b32 s37, v6, s35
	s_delay_alu instid0(VALU_DEP_2) | instskip(SKIP_1) | instid1(SALU_CYCLE_1)
	v_readlane_b32 s36, v5, s35
	s_lshl_b32 s35, 1, s35
	s_and_not1_b32 s34, s34, s35
	s_delay_alu instid0(VALU_DEP_1)
	v_add_f64 v[13:14], v[13:14], s[36:37]
	s_cmp_lg_u32 s34, 0
	s_cbranch_scc1 .LBB104_29
; %bb.30:                               ;   in Loop: Header=BB104_13 Depth=1
	v_mbcnt_lo_u32_b32 v5, exec_lo, 0
	s_lshl_b64 s[34:35], s[28:29], 4
	s_mov_b32 s36, exec_lo
	s_add_u32 s34, s20, s34
	s_addc_u32 s35, s21, s35
	v_cmpx_eq_u32_e32 0, v5
	s_xor_b32 s36, exec_lo, s36
	s_cbranch_execz .LBB104_34
; %bb.31:                               ;   in Loop: Header=BB104_13 Depth=1
	global_load_b64 v[7:8], v17, s[34:35]
	s_mov_b32 s37, 0
.LBB104_32:                             ;   Parent Loop BB104_13 Depth=1
                                        ; =>  This Inner Loop Header: Depth=2
	s_waitcnt vmcnt(0)
	v_add_f64 v[5:6], v[7:8], v[13:14]
	global_atomic_cmpswap_b64 v[5:6], v17, v[5:8], s[34:35] glc
	s_waitcnt vmcnt(0)
	v_cmp_eq_u64_e32 vcc_lo, v[5:6], v[7:8]
	v_dual_mov_b32 v8, v6 :: v_dual_mov_b32 v7, v5
	s_or_b32 s37, vcc_lo, s37
	s_delay_alu instid0(SALU_CYCLE_1)
	s_and_not1_b32 exec_lo, exec_lo, s37
	s_cbranch_execnz .LBB104_32
; %bb.33:                               ;   in Loop: Header=BB104_13 Depth=1
	s_or_b32 exec_lo, exec_lo, s37
.LBB104_34:                             ;   in Loop: Header=BB104_13 Depth=1
	s_delay_alu instid0(SALU_CYCLE_1) | instskip(SKIP_4) | instid1(VALU_DEP_3)
	s_or_b32 exec_lo, exec_lo, s36
	v_mul_f64 v[3:4], v[9:10], v[3:4]
	v_mov_b32_e32 v5, 0
	v_bfrev_b32_e32 v6, 1
	s_mov_b32 s36, exec_lo
	v_fma_f64 v[1:2], v[11:12], v[1:2], v[3:4]
.LBB104_35:                             ;   Parent Loop BB104_13 Depth=1
                                        ; =>  This Inner Loop Header: Depth=2
	s_ctz_i32_b32 s37, s36
	s_delay_alu instid0(VALU_DEP_1) | instid1(SALU_CYCLE_1)
	v_readlane_b32 s39, v2, s37
	s_delay_alu instid0(VALU_DEP_2) | instskip(SKIP_1) | instid1(SALU_CYCLE_1)
	v_readlane_b32 s38, v1, s37
	s_lshl_b32 s37, 1, s37
	s_and_not1_b32 s36, s36, s37
	s_delay_alu instid0(VALU_DEP_1)
	v_add_f64 v[5:6], v[5:6], s[38:39]
	s_cmp_lg_u32 s36, 0
	s_cbranch_scc1 .LBB104_35
; %bb.36:                               ;   in Loop: Header=BB104_13 Depth=1
	v_mbcnt_lo_u32_b32 v1, exec_lo, 0
	s_mov_b32 s36, exec_lo
	s_delay_alu instid0(VALU_DEP_1)
	v_cmpx_eq_u32_e32 0, v1
	s_xor_b32 s36, exec_lo, s36
	s_cbranch_execz .LBB104_12
; %bb.37:                               ;   in Loop: Header=BB104_13 Depth=1
	global_load_b64 v[3:4], v17, s[34:35] offset:8
	s_mov_b32 s36, 0
.LBB104_38:                             ;   Parent Loop BB104_13 Depth=1
                                        ; =>  This Inner Loop Header: Depth=2
	s_waitcnt vmcnt(0)
	v_add_f64 v[1:2], v[3:4], v[5:6]
	global_atomic_cmpswap_b64 v[1:2], v17, v[1:4], s[34:35] offset:8 glc
	s_waitcnt vmcnt(0)
	v_cmp_eq_u64_e32 vcc_lo, v[1:2], v[3:4]
	v_dual_mov_b32 v4, v2 :: v_dual_mov_b32 v3, v1
	s_or_b32 s36, vcc_lo, s36
	s_delay_alu instid0(SALU_CYCLE_1)
	s_and_not1_b32 exec_lo, exec_lo, s36
	s_cbranch_execnz .LBB104_38
; %bb.39:                               ;   in Loop: Header=BB104_13 Depth=1
	s_or_b32 exec_lo, exec_lo, s36
	s_branch .LBB104_12
.LBB104_40:
	s_lshl_b64 s[2:3], s[18:19], 3
	s_waitcnt lgkmcnt(0)
	v_add_co_u32 v13, vcc_lo, s26, v15
	s_add_u32 s2, s8, s2
	s_addc_u32 s3, s9, s3
	v_add_co_ci_u32_e32 v14, vcc_lo, s27, v16, vcc_lo
	s_load_b64 s[2:3], s[2:3], 0x0
	s_waitcnt lgkmcnt(0)
	s_sub_u32 s4, s2, s24
	s_subb_u32 s5, s3, 0
	s_mov_b32 s3, exec_lo
	v_cmpx_gt_i64_e64 s[4:5], v[13:14]
	s_cbranch_execz .LBB104_52
; %bb.41:
	v_mul_f64 v[15:16], 0x80000000, v[11:12]
	v_mul_f64 v[17:18], v[9:10], 0
	s_add_u32 s6, s18, -1
	s_addc_u32 s7, s19, -1
	s_add_u32 s26, s18, -2
	v_cmp_gt_i64_e64 s2, s[6:7], s[16:17]
	s_addc_u32 s27, s19, -1
	s_delay_alu instid0(SALU_CYCLE_1)
	s_cmp_lg_u64 s[26:27], s[16:17]
	s_mov_b32 s26, 0
	s_cselect_b32 s25, -1, 0
	s_delay_alu instid0(VALU_DEP_1) | instid1(SALU_CYCLE_1)
	s_and_b32 s25, s2, s25
	s_branch .LBB104_43
.LBB104_42:                             ;   in Loop: Header=BB104_43 Depth=1
	s_or_b32 exec_lo, exec_lo, s2
	v_add_co_u32 v13, vcc_lo, 0x100, v13
	v_add_co_ci_u32_e32 v14, vcc_lo, 0, v14, vcc_lo
	s_delay_alu instid0(VALU_DEP_1) | instskip(SKIP_1) | instid1(SALU_CYCLE_1)
	v_cmp_le_i64_e32 vcc_lo, s[4:5], v[13:14]
	s_or_b32 s26, vcc_lo, s26
	s_and_not1_b32 exec_lo, exec_lo, s26
	s_cbranch_execz .LBB104_52
.LBB104_43:                             ; =>This Loop Header: Depth=1
                                        ;     Child Loop BB104_45 Depth 2
                                        ;     Child Loop BB104_49 Depth 2
	;; [unrolled: 1-line block ×3, first 2 shown]
	v_dual_mov_b32 v1, s16 :: v_dual_mov_b32 v2, s17
	v_dual_mov_b32 v3, s6 :: v_dual_mov_b32 v4, s7
	s_and_not1_b32 vcc_lo, exec_lo, s25
	s_cbranch_vccnz .LBB104_47
; %bb.44:                               ;   in Loop: Header=BB104_43 Depth=1
	v_dual_mov_b32 v1, s16 :: v_dual_mov_b32 v2, s17
	v_dual_mov_b32 v3, s6 :: v_dual_mov_b32 v4, s7
	s_mov_b32 s27, 0
	s_set_inst_prefetch_distance 0x1
	.p2align	6
.LBB104_45:                             ;   Parent Loop BB104_43 Depth=1
                                        ; =>  This Inner Loop Header: Depth=2
	s_delay_alu instid0(VALU_DEP_1) | instskip(NEXT) | instid1(VALU_DEP_2)
	v_add_co_u32 v5, vcc_lo, v3, v1
	v_add_co_ci_u32_e32 v6, vcc_lo, v4, v2, vcc_lo
	s_delay_alu instid0(VALU_DEP_1) | instskip(NEXT) | instid1(VALU_DEP_1)
	v_lshrrev_b32_e32 v7, 31, v6
	v_add_co_u32 v5, vcc_lo, v5, v7
	v_add_co_ci_u32_e32 v6, vcc_lo, 0, v6, vcc_lo
	s_delay_alu instid0(VALU_DEP_1) | instskip(NEXT) | instid1(VALU_DEP_1)
	v_ashrrev_i64 v[5:6], 1, v[5:6]
	v_lshlrev_b64 v[7:8], 3, v[5:6]
	s_delay_alu instid0(VALU_DEP_1) | instskip(NEXT) | instid1(VALU_DEP_2)
	v_add_co_u32 v7, vcc_lo, s8, v7
	v_add_co_ci_u32_e32 v8, vcc_lo, s9, v8, vcc_lo
	global_load_b64 v[7:8], v[7:8], off
	s_waitcnt vmcnt(0)
	v_sub_co_u32 v7, vcc_lo, v7, s24
	v_subrev_co_ci_u32_e32 v8, vcc_lo, 0, v8, vcc_lo
	s_delay_alu instid0(VALU_DEP_1) | instskip(SKIP_2) | instid1(VALU_DEP_2)
	v_cmp_gt_i64_e32 vcc_lo, v[7:8], v[13:14]
	v_dual_cndmask_b32 v4, v4, v6 :: v_dual_cndmask_b32 v3, v3, v5
	v_dual_cndmask_b32 v2, v6, v2 :: v_dual_cndmask_b32 v1, v5, v1
	v_add_co_u32 v5, vcc_lo, v3, -1
	s_delay_alu instid0(VALU_DEP_3) | instskip(NEXT) | instid1(VALU_DEP_3)
	v_add_co_ci_u32_e32 v6, vcc_lo, -1, v4, vcc_lo
	v_cmp_ge_i64_e32 vcc_lo, v[1:2], v[3:4]
	s_delay_alu instid0(VALU_DEP_2) | instskip(NEXT) | instid1(VALU_DEP_1)
	v_cmp_eq_u64_e64 s2, v[1:2], v[5:6]
	s_or_b32 s2, vcc_lo, s2
	s_delay_alu instid0(SALU_CYCLE_1) | instskip(NEXT) | instid1(SALU_CYCLE_1)
	s_and_b32 s2, exec_lo, s2
	s_or_b32 s27, s2, s27
	s_delay_alu instid0(SALU_CYCLE_1)
	s_and_not1_b32 exec_lo, exec_lo, s27
	s_cbranch_execnz .LBB104_45
; %bb.46:                               ;   in Loop: Header=BB104_43 Depth=1
	s_set_inst_prefetch_distance 0x2
	s_or_b32 exec_lo, exec_lo, s27
.LBB104_47:                             ;   in Loop: Header=BB104_43 Depth=1
	s_delay_alu instid0(VALU_DEP_1) | instskip(SKIP_2) | instid1(VALU_DEP_2)
	v_lshlrev_b64 v[5:6], 3, v[3:4]
	v_lshlrev_b64 v[7:8], 2, v[13:14]
	s_mov_b32 s2, exec_lo
	v_add_co_u32 v5, vcc_lo, s8, v5
	s_delay_alu instid0(VALU_DEP_3) | instskip(NEXT) | instid1(VALU_DEP_3)
	v_add_co_ci_u32_e32 v6, vcc_lo, s9, v6, vcc_lo
	v_add_co_u32 v7, vcc_lo, s10, v7
	s_delay_alu instid0(VALU_DEP_4)
	v_add_co_ci_u32_e32 v8, vcc_lo, s11, v8, vcc_lo
	global_load_b64 v[5:6], v[5:6], off
	global_load_b32 v7, v[7:8], off
	s_waitcnt vmcnt(1)
	v_sub_co_u32 v5, vcc_lo, v5, s24
	v_subrev_co_ci_u32_e32 v6, vcc_lo, 0, v6, vcc_lo
	s_delay_alu instid0(VALU_DEP_1) | instskip(SKIP_2) | instid1(VALU_DEP_1)
	v_cmp_gt_i64_e32 vcc_lo, v[5:6], v[13:14]
	s_waitcnt vmcnt(0)
	v_subrev_nc_u32_e32 v5, s24, v7
	v_ashrrev_i32_e32 v6, 31, v5
	v_dual_cndmask_b32 v2, v4, v2 :: v_dual_cndmask_b32 v1, v3, v1
	s_delay_alu instid0(VALU_DEP_1)
	v_cmpx_ne_u64_e64 v[1:2], v[5:6]
	s_cbranch_execz .LBB104_42
; %bb.48:                               ;   in Loop: Header=BB104_43 Depth=1
	v_lshlrev_b64 v[3:4], 3, v[13:14]
	v_lshlrev_b64 v[1:2], 4, v[1:2]
	;; [unrolled: 1-line block ×3, first 2 shown]
	s_mov_b32 s27, 0
	s_delay_alu instid0(VALU_DEP_3) | instskip(NEXT) | instid1(VALU_DEP_4)
	v_add_co_u32 v3, vcc_lo, s12, v3
	v_add_co_ci_u32_e32 v4, vcc_lo, s13, v4, vcc_lo
	s_delay_alu instid0(VALU_DEP_4)
	v_add_co_u32 v1, vcc_lo, s14, v1
	v_add_co_ci_u32_e32 v2, vcc_lo, s15, v2, vcc_lo
	global_load_b64 v[23:24], v[3:4], off
	v_add_co_u32 v19, vcc_lo, s20, v5
	global_load_b128 v[1:4], v[1:2], off
	v_add_co_ci_u32_e32 v20, vcc_lo, s21, v6, vcc_lo
	global_load_b64 v[7:8], v[19:20], off
	s_waitcnt vmcnt(2)
	v_fma_f64 v[21:22], v[11:12], v[23:24], v[17:18]
	v_fma_f64 v[23:24], v[9:10], v[23:24], v[15:16]
	s_waitcnt vmcnt(1)
	s_delay_alu instid0(VALU_DEP_2) | instskip(NEXT) | instid1(VALU_DEP_1)
	v_mul_f64 v[5:6], v[3:4], -v[21:22]
	v_fma_f64 v[25:26], v[23:24], v[1:2], v[5:6]
.LBB104_49:                             ;   Parent Loop BB104_43 Depth=1
                                        ; =>  This Inner Loop Header: Depth=2
	s_waitcnt vmcnt(0)
	s_delay_alu instid0(VALU_DEP_1)
	v_add_f64 v[5:6], v[7:8], v[25:26]
	global_atomic_cmpswap_b64 v[5:6], v[19:20], v[5:8], off glc
	s_waitcnt vmcnt(0)
	v_cmp_eq_u64_e32 vcc_lo, v[5:6], v[7:8]
	v_dual_mov_b32 v8, v6 :: v_dual_mov_b32 v7, v5
	s_or_b32 s27, vcc_lo, s27
	s_delay_alu instid0(SALU_CYCLE_1)
	s_and_not1_b32 exec_lo, exec_lo, s27
	s_cbranch_execnz .LBB104_49
; %bb.50:                               ;   in Loop: Header=BB104_43 Depth=1
	s_or_b32 exec_lo, exec_lo, s27
	global_load_b64 v[5:6], v[19:20], off offset:8
	v_mul_f64 v[3:4], v[23:24], v[3:4]
	s_mov_b32 s27, 0
	s_delay_alu instid0(VALU_DEP_1)
	v_fma_f64 v[1:2], v[21:22], v[1:2], v[3:4]
.LBB104_51:                             ;   Parent Loop BB104_43 Depth=1
                                        ; =>  This Inner Loop Header: Depth=2
	s_waitcnt vmcnt(0)
	s_delay_alu instid0(VALU_DEP_1)
	v_add_f64 v[3:4], v[5:6], v[1:2]
	global_atomic_cmpswap_b64 v[3:4], v[19:20], v[3:6], off offset:8 glc
	s_waitcnt vmcnt(0)
	v_cmp_eq_u64_e32 vcc_lo, v[3:4], v[5:6]
	v_dual_mov_b32 v6, v4 :: v_dual_mov_b32 v5, v3
	s_or_b32 s27, vcc_lo, s27
	s_delay_alu instid0(SALU_CYCLE_1)
	s_and_not1_b32 exec_lo, exec_lo, s27
	s_cbranch_execnz .LBB104_51
	s_branch .LBB104_42
.LBB104_52:
	s_or_b32 exec_lo, exec_lo, s3
	s_mov_b32 s2, 0
.LBB104_53:
	s_delay_alu instid0(SALU_CYCLE_1)
	s_and_b32 vcc_lo, exec_lo, s2
	s_cbranch_vccz .LBB104_216
; %bb.54:
	s_load_b32 s2, s[0:1], 0x7c
	s_mov_b32 s7, 0
	s_mov_b64 s[28:29], 0
	s_waitcnt lgkmcnt(0)
	s_and_b32 s6, s2, 0xffff
	s_delay_alu instid0(SALU_CYCLE_1) | instskip(NEXT) | instid1(VALU_DEP_1)
	v_cmp_lt_u64_e64 s2, s[6:7], s[22:23]
	s_and_b32 vcc_lo, exec_lo, s2
	s_cbranch_vccnz .LBB104_56
; %bb.55:
	v_cvt_f32_u32_e32 v1, s22
	s_sub_i32 s3, 0, s22
	s_delay_alu instid0(VALU_DEP_1) | instskip(SKIP_2) | instid1(VALU_DEP_1)
	v_rcp_iflag_f32_e32 v1, v1
	s_waitcnt_depctr 0xfff
	v_mul_f32_e32 v1, 0x4f7ffffe, v1
	v_cvt_u32_f32_e32 v1, v1
	s_delay_alu instid0(VALU_DEP_1) | instskip(NEXT) | instid1(VALU_DEP_1)
	v_readfirstlane_b32 s2, v1
	s_mul_i32 s3, s3, s2
	s_delay_alu instid0(SALU_CYCLE_1) | instskip(NEXT) | instid1(SALU_CYCLE_1)
	s_mul_hi_u32 s3, s2, s3
	s_add_i32 s2, s2, s3
	s_delay_alu instid0(SALU_CYCLE_1) | instskip(NEXT) | instid1(SALU_CYCLE_1)
	s_mul_hi_u32 s2, s6, s2
	s_mul_i32 s3, s2, s22
	s_add_i32 s4, s2, 1
	s_sub_i32 s3, s6, s3
	s_delay_alu instid0(SALU_CYCLE_1)
	s_sub_i32 s5, s3, s22
	s_cmp_ge_u32 s3, s22
	s_cselect_b32 s2, s4, s2
	s_cselect_b32 s3, s5, s3
	s_add_i32 s4, s2, 1
	s_cmp_ge_u32 s3, s22
	s_cselect_b32 s28, s4, s2
.LBB104_56:
	s_lshl_b64 s[2:3], s[16:17], 3
	v_sub_co_u32 v1, s7, v0, s24
	s_add_u32 s26, s8, s2
	s_addc_u32 s27, s9, s3
	s_load_b64 s[4:5], s[26:27], 0x0
	s_load_b128 s[0:3], s[0:1], 0x8
	v_sub_co_ci_u32_e64 v2, null, 0, 0, s7
	s_waitcnt lgkmcnt(0)
	v_add_co_u32 v14, vcc_lo, s4, v1
	s_delay_alu instid0(VALU_DEP_2) | instskip(SKIP_1) | instid1(VALU_DEP_3)
	v_add_co_ci_u32_e32 v15, vcc_lo, s5, v2, vcc_lo
	v_mov_b32_e32 v1, 0
	v_add_co_u32 v16, vcc_lo, 0x300, v14
	s_delay_alu instid0(VALU_DEP_3) | instskip(NEXT) | instid1(VALU_DEP_1)
	v_add_co_ci_u32_e32 v17, vcc_lo, 0, v15, vcc_lo
	v_cmp_le_i64_e32 vcc_lo, s[0:1], v[16:17]
	s_and_saveexec_b32 s0, vcc_lo
	s_delay_alu instid0(SALU_CYCLE_1)
	s_xor_b32 s7, exec_lo, s0
	s_cbranch_execnz .LBB104_59
; %bb.57:
	s_and_not1_saveexec_b32 s1, s7
	s_cbranch_execnz .LBB104_63
.LBB104_58:
	s_or_b32 exec_lo, exec_lo, s1
	s_delay_alu instid0(SALU_CYCLE_1)
	s_mov_b32 s1, exec_lo
	v_cmpx_gt_i64_e64 s[2:3], v[0:1]
	s_cbranch_execnz .LBB104_64
	s_branch .LBB104_66
.LBB104_59:
	s_lshl_b64 s[0:1], s[18:19], 3
	s_mov_b32 s25, exec_lo
	s_add_u32 s0, s8, s0
	s_addc_u32 s1, s9, s1
	s_load_b64 s[0:1], s[0:1], 0x0
	s_waitcnt lgkmcnt(0)
	s_sub_u32 s30, s0, s4
	s_subb_u32 s31, s1, s5
	s_delay_alu instid0(SALU_CYCLE_1)
	v_cmpx_gt_i64_e64 s[30:31], v[0:1]
	s_cbranch_execz .LBB104_62
; %bb.60:
	v_mul_f64 v[2:3], 0x80000000, v[11:12]
	v_mul_f64 v[4:5], v[9:10], 0
	v_lshlrev_b64 v[6:7], 3, v[14:15]
	v_dual_mov_b32 v8, v27 :: v_dual_mov_b32 v19, v1
	v_mov_b32_e32 v18, v0
	s_mov_b32 s29, 0
	s_delay_alu instid0(VALU_DEP_3) | instskip(NEXT) | instid1(VALU_DEP_1)
	v_add_co_u32 v6, s0, s12, v6
	v_add_co_ci_u32_e64 v7, s0, s13, v7, s0
	.p2align	6
.LBB104_61:                             ; =>This Inner Loop Header: Depth=1
	global_load_b64 v[22:23], v[6:7], off
	v_add_co_u32 v18, s0, 0x100, v18
	s_delay_alu instid0(VALU_DEP_1) | instskip(SKIP_1) | instid1(VALU_DEP_1)
	v_add_co_ci_u32_e64 v19, s0, 0, v19, s0
	v_add_co_u32 v6, s0, 0x800, v6
	v_add_co_ci_u32_e64 v7, s0, 0, v7, s0
	s_delay_alu instid0(VALU_DEP_3) | instskip(NEXT) | instid1(VALU_DEP_1)
	v_cmp_le_i64_e64 s1, s[30:31], v[18:19]
	s_or_b32 s29, s1, s29
	s_waitcnt vmcnt(0)
	v_fma_f64 v[20:21], v[9:10], v[22:23], v[2:3]
	v_fma_f64 v[22:23], v[11:12], v[22:23], v[4:5]
	ds_store_b128 v8, v[20:23]
	v_add_nc_u32_e32 v8, 0x1000, v8
	s_and_not1_b32 exec_lo, exec_lo, s29
	s_cbranch_execnz .LBB104_61
.LBB104_62:
	s_or_b32 exec_lo, exec_lo, s25
                                        ; implicit-def: $vgpr11_vgpr12
                                        ; implicit-def: $vgpr9_vgpr10
	s_and_not1_saveexec_b32 s1, s7
	s_cbranch_execz .LBB104_58
.LBB104_63:
	v_lshlrev_b64 v[2:3], 3, v[14:15]
	v_mul_f64 v[30:31], 0x80000000, v[11:12]
	v_mul_f64 v[32:33], v[9:10], 0
	s_delay_alu instid0(VALU_DEP_3) | instskip(NEXT) | instid1(VALU_DEP_1)
	v_add_co_u32 v2, s0, s12, v2
	v_add_co_ci_u32_e64 v3, s0, s13, v3, s0
	s_delay_alu instid0(VALU_DEP_2) | instskip(NEXT) | instid1(VALU_DEP_1)
	v_add_co_u32 v4, s0, 0x1000, v2
	v_add_co_ci_u32_e64 v5, s0, 0, v3, s0
	s_clause 0x3
	global_load_b64 v[6:7], v[2:3], off
	global_load_b64 v[20:21], v[2:3], off offset:2048
	global_load_b64 v[24:25], v[4:5], off
	global_load_b64 v[28:29], v[4:5], off offset:2048
	s_waitcnt vmcnt(3)
	v_fma_f64 v[2:3], v[9:10], v[6:7], v[30:31]
	v_fma_f64 v[4:5], v[11:12], v[6:7], v[32:33]
	s_waitcnt vmcnt(2)
	v_fma_f64 v[18:19], v[9:10], v[20:21], v[30:31]
	v_fma_f64 v[20:21], v[11:12], v[20:21], v[32:33]
	;; [unrolled: 3-line block ×4, first 2 shown]
	ds_store_b128 v27, v[2:5]
	ds_store_b128 v27, v[18:21] offset:4096
	ds_store_b128 v27, v[22:25] offset:8192
	ds_store_b128 v27, v[6:9] offset:12288
	s_or_b32 exec_lo, exec_lo, s1
	s_delay_alu instid0(SALU_CYCLE_1)
	s_mov_b32 s1, exec_lo
	v_cmpx_gt_i64_e64 s[2:3], v[0:1]
	s_cbranch_execz .LBB104_66
.LBB104_64:
	s_mov_b32 s12, 0
	v_lshl_add_u32 v8, v0, 4, 0x4000
	s_mov_b32 s13, s12
	s_mov_b32 s30, s12
	;; [unrolled: 1-line block ×3, first 2 shown]
	v_dual_mov_b32 v2, s12 :: v_dual_mov_b32 v3, s13
	v_dual_mov_b32 v4, s30 :: v_dual_mov_b32 v5, s31
	;; [unrolled: 1-line block ×3, first 2 shown]
.LBB104_65:                             ; =>This Inner Loop Header: Depth=1
	s_delay_alu instid0(VALU_DEP_1) | instskip(NEXT) | instid1(VALU_DEP_1)
	v_add_co_u32 v6, s0, 0x100, v6
	v_add_co_ci_u32_e64 v7, s0, 0, v7, s0
	ds_store_2addr_b64 v8, v[2:3], v[4:5] offset1:1
	v_add_nc_u32_e32 v8, 0x1000, v8
	v_cmp_le_i64_e64 s0, s[2:3], v[6:7]
	s_delay_alu instid0(VALU_DEP_1) | instskip(NEXT) | instid1(SALU_CYCLE_1)
	s_or_b32 s12, s0, s12
	s_and_not1_b32 exec_lo, exec_lo, s12
	s_cbranch_execnz .LBB104_65
.LBB104_66:
	s_or_b32 exec_lo, exec_lo, s1
	v_cmp_ge_i64_e64 s0, s[18:19], s[2:3]
	s_sub_u32 s1, s18, s2
	s_subb_u32 s7, s19, s3
	s_waitcnt lgkmcnt(0)
	s_barrier
	buffer_gl0_inv
	s_and_b32 s0, s0, exec_lo
	s_cselect_b32 s13, s7, 0
	s_cselect_b32 s12, s1, 0
	s_and_saveexec_b32 s0, vcc_lo
	s_delay_alu instid0(SALU_CYCLE_1)
	s_xor_b32 s7, exec_lo, s0
	s_cbranch_execz .LBB104_91
; %bb.67:
	s_lshl_b64 s[0:1], s[18:19], 3
	s_mov_b32 s25, exec_lo
	s_add_u32 s0, s8, s0
	s_addc_u32 s1, s9, s1
	s_load_b64 s[0:1], s[0:1], 0x0
	s_waitcnt lgkmcnt(0)
	s_sub_u32 s30, s0, s4
	s_subb_u32 s31, s1, s5
	s_delay_alu instid0(SALU_CYCLE_1)
	v_cmpx_gt_i64_e64 s[30:31], v[0:1]
	s_cbranch_execz .LBB104_90
; %bb.68:
	s_add_u32 s34, s18, -1
	s_addc_u32 s35, s19, -1
	s_add_u32 s36, s18, -2
	v_cmp_gt_i64_e64 s29, s[34:35], s[16:17]
	s_addc_u32 s37, s19, -1
	s_mov_b64 s[38:39], 0
	s_cmp_lg_u64 s[36:37], s[16:17]
	s_cselect_b32 s33, -1, 0
	s_delay_alu instid0(VALU_DEP_1) | instid1(SALU_CYCLE_1)
	s_and_b32 s29, s29, s33
	s_sub_u32 s36, s0, s24
	s_subb_u32 s37, s1, 0
	s_mov_b32 s1, 0
	s_branch .LBB104_71
.LBB104_69:                             ;   in Loop: Header=BB104_71 Depth=1
	s_or_b32 exec_lo, exec_lo, s0
.LBB104_70:                             ;   in Loop: Header=BB104_71 Depth=1
	s_delay_alu instid0(SALU_CYCLE_1) | instskip(SKIP_3) | instid1(VALU_DEP_1)
	s_or_b32 exec_lo, exec_lo, s33
	v_lshlrev_b64 v[6:7], 4, v[16:17]
	s_add_u32 s38, s38, 0x100
	s_addc_u32 s39, s39, 0
	v_add_co_u32 v6, vcc_lo, s14, v6
	s_delay_alu instid0(VALU_DEP_2) | instskip(SKIP_4) | instid1(VALU_DEP_2)
	v_add_co_ci_u32_e32 v7, vcc_lo, s15, v7, vcc_lo
	global_load_b128 v[6:9], v[6:7], off
	s_waitcnt vmcnt(0)
	v_mul_f64 v[10:11], v[8:9], v[18:19]
	v_mul_f64 v[8:9], v[8:9], v[2:3]
	v_fma_f64 v[2:3], v[2:3], v[6:7], v[10:11]
	s_delay_alu instid0(VALU_DEP_2) | instskip(SKIP_1) | instid1(VALU_DEP_1)
	v_fma_f64 v[4:5], v[4:5], v[6:7], v[8:9]
	v_add_co_u32 v6, s0, s38, v0
	v_add_co_ci_u32_e64 v7, null, s39, 0, s0
	s_delay_alu instid0(VALU_DEP_1)
	v_cmp_le_i64_e32 vcc_lo, s[30:31], v[6:7]
	v_lshlrev_b32_e32 v6, 4, v24
	s_or_b32 s1, vcc_lo, s1
	ds_store_b128 v6, v[2:5]
	s_and_not1_b32 exec_lo, exec_lo, s1
	s_cbranch_execz .LBB104_90
.LBB104_71:                             ; =>This Loop Header: Depth=1
                                        ;     Child Loop BB104_73 Depth 2
                                        ;     Child Loop BB104_80 Depth 2
	;; [unrolled: 1-line block ×5, first 2 shown]
	v_add_co_u32 v2, vcc_lo, s38, v14
	v_add_co_ci_u32_e32 v3, vcc_lo, s39, v15, vcc_lo
	v_dual_mov_b32 v4, s16 :: v_dual_mov_b32 v5, s17
	v_dual_mov_b32 v6, s34 :: v_dual_mov_b32 v7, s35
	s_and_not1_b32 vcc_lo, exec_lo, s29
	s_cbranch_vccnz .LBB104_75
; %bb.72:                               ;   in Loop: Header=BB104_71 Depth=1
	v_dual_mov_b32 v4, s16 :: v_dual_mov_b32 v5, s17
	v_dual_mov_b32 v6, s34 :: v_dual_mov_b32 v7, s35
	s_mov_b32 s33, 0
	s_set_inst_prefetch_distance 0x1
	.p2align	6
.LBB104_73:                             ;   Parent Loop BB104_71 Depth=1
                                        ; =>  This Inner Loop Header: Depth=2
	s_delay_alu instid0(VALU_DEP_1) | instskip(NEXT) | instid1(VALU_DEP_2)
	v_add_co_u32 v8, vcc_lo, v6, v4
	v_add_co_ci_u32_e32 v9, vcc_lo, v7, v5, vcc_lo
	s_delay_alu instid0(VALU_DEP_1) | instskip(NEXT) | instid1(VALU_DEP_1)
	v_lshrrev_b32_e32 v10, 31, v9
	v_add_co_u32 v8, vcc_lo, v8, v10
	v_add_co_ci_u32_e32 v9, vcc_lo, 0, v9, vcc_lo
	s_delay_alu instid0(VALU_DEP_1) | instskip(NEXT) | instid1(VALU_DEP_1)
	v_ashrrev_i64 v[8:9], 1, v[8:9]
	v_lshlrev_b64 v[10:11], 3, v[8:9]
	s_delay_alu instid0(VALU_DEP_1) | instskip(NEXT) | instid1(VALU_DEP_2)
	v_add_co_u32 v10, vcc_lo, s8, v10
	v_add_co_ci_u32_e32 v11, vcc_lo, s9, v11, vcc_lo
	global_load_b64 v[10:11], v[10:11], off
	s_waitcnt vmcnt(0)
	v_sub_co_u32 v10, vcc_lo, v10, s24
	v_subrev_co_ci_u32_e32 v11, vcc_lo, 0, v11, vcc_lo
	s_delay_alu instid0(VALU_DEP_1) | instskip(SKIP_2) | instid1(VALU_DEP_2)
	v_cmp_gt_i64_e32 vcc_lo, v[10:11], v[2:3]
	v_dual_cndmask_b32 v7, v7, v9 :: v_dual_cndmask_b32 v6, v6, v8
	v_dual_cndmask_b32 v5, v9, v5 :: v_dual_cndmask_b32 v4, v8, v4
	v_add_co_u32 v8, vcc_lo, v6, -1
	s_delay_alu instid0(VALU_DEP_3) | instskip(NEXT) | instid1(VALU_DEP_3)
	v_add_co_ci_u32_e32 v9, vcc_lo, -1, v7, vcc_lo
	v_cmp_ge_i64_e32 vcc_lo, v[4:5], v[6:7]
	s_delay_alu instid0(VALU_DEP_2) | instskip(NEXT) | instid1(VALU_DEP_1)
	v_cmp_eq_u64_e64 s0, v[4:5], v[8:9]
	s_or_b32 s0, vcc_lo, s0
	s_delay_alu instid0(SALU_CYCLE_1) | instskip(NEXT) | instid1(SALU_CYCLE_1)
	s_and_b32 s0, exec_lo, s0
	s_or_b32 s33, s0, s33
	s_delay_alu instid0(SALU_CYCLE_1)
	s_and_not1_b32 exec_lo, exec_lo, s33
	s_cbranch_execnz .LBB104_73
; %bb.74:                               ;   in Loop: Header=BB104_71 Depth=1
	s_set_inst_prefetch_distance 0x2
	s_or_b32 exec_lo, exec_lo, s33
.LBB104_75:                             ;   in Loop: Header=BB104_71 Depth=1
	s_delay_alu instid0(VALU_DEP_1) | instskip(SKIP_3) | instid1(VALU_DEP_4)
	v_lshlrev_b64 v[8:9], 3, v[6:7]
	v_lshlrev_b64 v[10:11], 2, v[2:3]
	v_add_co_u32 v24, null, s38, v0
	v_cmp_le_i64_e64 s0, s[36:37], v[2:3]
                                        ; implicit-def: $vgpr18_vgpr19
	v_add_co_u32 v8, vcc_lo, s8, v8
	v_add_co_ci_u32_e32 v9, vcc_lo, s9, v9, vcc_lo
	v_add_co_u32 v10, vcc_lo, s10, v10
	v_add_co_ci_u32_e32 v11, vcc_lo, s11, v11, vcc_lo
	global_load_b64 v[8:9], v[8:9], off
	global_load_b32 v10, v[10:11], off
	s_waitcnt vmcnt(1)
	v_sub_co_u32 v8, vcc_lo, v8, s24
	v_subrev_co_ci_u32_e32 v9, vcc_lo, 0, v9, vcc_lo
	s_waitcnt vmcnt(0)
	v_subrev_nc_u32_e32 v16, s24, v10
	v_lshlrev_b32_e32 v10, 4, v24
	s_delay_alu instid0(VALU_DEP_3) | instskip(NEXT) | instid1(VALU_DEP_3)
	v_cmp_gt_i64_e32 vcc_lo, v[8:9], v[2:3]
                                        ; implicit-def: $vgpr2_vgpr3
	v_ashrrev_i32_e32 v17, 31, v16
	v_dual_cndmask_b32 v7, v7, v5 :: v_dual_cndmask_b32 v6, v6, v4
	s_delay_alu instid0(VALU_DEP_1) | instskip(SKIP_1) | instid1(SALU_CYCLE_1)
	v_cmp_eq_u64_e32 vcc_lo, v[6:7], v[16:17]
	s_or_b32 s0, vcc_lo, s0
	s_and_saveexec_b32 s33, s0
	s_delay_alu instid0(SALU_CYCLE_1)
	s_xor_b32 s0, exec_lo, s33
	s_cbranch_execz .LBB104_77
; %bb.76:                               ;   in Loop: Header=BB104_71 Depth=1
	ds_load_b128 v[2:5], v10
                                        ; implicit-def: $vgpr6_vgpr7
                                        ; implicit-def: $vgpr10
	s_waitcnt lgkmcnt(0)
	v_xor_b32_e32 v19, 0x80000000, v5
	v_mov_b32_e32 v18, v4
.LBB104_77:                             ;   in Loop: Header=BB104_71 Depth=1
	s_and_not1_saveexec_b32 s33, s0
	s_cbranch_execz .LBB104_70
; %bb.78:                               ;   in Loop: Header=BB104_71 Depth=1
	v_cmp_gt_i64_e32 vcc_lo, s[12:13], v[16:17]
	v_cmp_le_i64_e64 s0, s[18:19], v[16:17]
	v_lshlrev_b64 v[6:7], 4, v[6:7]
                                        ; implicit-def: $vgpr2_vgpr3
                                        ; implicit-def: $vgpr18_vgpr19
	s_delay_alu instid0(VALU_DEP_2) | instskip(NEXT) | instid1(SALU_CYCLE_1)
	s_or_b32 s0, vcc_lo, s0
	s_and_saveexec_b32 s40, s0
	s_delay_alu instid0(SALU_CYCLE_1)
	s_xor_b32 s0, exec_lo, s40
	s_cbranch_execz .LBB104_84
; %bb.79:                               ;   in Loop: Header=BB104_71 Depth=1
	s_delay_alu instid0(VALU_DEP_1) | instskip(SKIP_4) | instid1(VALU_DEP_1)
	v_add_co_u32 v2, vcc_lo, s14, v6
	v_add_co_ci_u32_e32 v3, vcc_lo, s15, v7, vcc_lo
	s_mov_b32 s40, 0
	global_load_b128 v[6:9], v[2:3], off
	v_lshlrev_b64 v[2:3], 4, v[16:17]
	v_add_co_u32 v20, vcc_lo, s20, v2
	s_delay_alu instid0(VALU_DEP_2)
	v_add_co_ci_u32_e32 v21, vcc_lo, s21, v3, vcc_lo
	ds_load_b128 v[2:5], v10
	global_load_b64 v[12:13], v[20:21], off
	s_waitcnt lgkmcnt(0)
	v_xor_b32_e32 v19, 0x80000000, v5
	v_mov_b32_e32 v18, v4
	s_waitcnt vmcnt(1)
	v_mul_f64 v[10:11], v[8:9], -v[4:5]
	s_delay_alu instid0(VALU_DEP_1)
	v_fma_f64 v[22:23], v[2:3], v[6:7], v[10:11]
.LBB104_80:                             ;   Parent Loop BB104_71 Depth=1
                                        ; =>  This Inner Loop Header: Depth=2
	s_waitcnt vmcnt(0)
	s_delay_alu instid0(VALU_DEP_1)
	v_add_f64 v[10:11], v[12:13], v[22:23]
	global_atomic_cmpswap_b64 v[10:11], v[20:21], v[10:13], off glc
	s_waitcnt vmcnt(0)
	v_cmp_eq_u64_e32 vcc_lo, v[10:11], v[12:13]
	v_dual_mov_b32 v13, v11 :: v_dual_mov_b32 v12, v10
	s_or_b32 s40, vcc_lo, s40
	s_delay_alu instid0(SALU_CYCLE_1)
	s_and_not1_b32 exec_lo, exec_lo, s40
	s_cbranch_execnz .LBB104_80
; %bb.81:                               ;   in Loop: Header=BB104_71 Depth=1
	s_or_b32 exec_lo, exec_lo, s40
	global_load_b64 v[10:11], v[20:21], off offset:8
	v_mul_f64 v[8:9], v[8:9], v[2:3]
	s_mov_b32 s40, 0
	s_delay_alu instid0(VALU_DEP_1)
	v_fma_f64 v[6:7], v[4:5], v[6:7], v[8:9]
.LBB104_82:                             ;   Parent Loop BB104_71 Depth=1
                                        ; =>  This Inner Loop Header: Depth=2
	s_waitcnt vmcnt(0)
	s_delay_alu instid0(VALU_DEP_1)
	v_add_f64 v[8:9], v[10:11], v[6:7]
	global_atomic_cmpswap_b64 v[8:9], v[20:21], v[8:11], off offset:8 glc
	s_waitcnt vmcnt(0)
	v_cmp_eq_u64_e32 vcc_lo, v[8:9], v[10:11]
	v_dual_mov_b32 v11, v9 :: v_dual_mov_b32 v10, v8
	s_or_b32 s40, vcc_lo, s40
	s_delay_alu instid0(SALU_CYCLE_1)
	s_and_not1_b32 exec_lo, exec_lo, s40
	s_cbranch_execnz .LBB104_82
; %bb.83:                               ;   in Loop: Header=BB104_71 Depth=1
	s_or_b32 exec_lo, exec_lo, s40
                                        ; implicit-def: $vgpr6_vgpr7
                                        ; implicit-def: $vgpr10
.LBB104_84:                             ;   in Loop: Header=BB104_71 Depth=1
	s_and_not1_saveexec_b32 s0, s0
	s_cbranch_execz .LBB104_69
; %bb.85:                               ;   in Loop: Header=BB104_71 Depth=1
	v_add_co_u32 v2, vcc_lo, s14, v6
	v_add_co_ci_u32_e32 v3, vcc_lo, s15, v7, vcc_lo
	v_subrev_nc_u32_e32 v12, s12, v16
	s_mov_b32 s40, 0
	global_load_b128 v[6:9], v[2:3], off
	ds_load_b128 v[2:5], v10
	v_lshl_add_u32 v20, v12, 4, 0x4000
	ds_load_b64 v[12:13], v20
	s_waitcnt lgkmcnt(1)
	v_xor_b32_e32 v19, 0x80000000, v5
	v_mov_b32_e32 v18, v4
	s_waitcnt vmcnt(0)
	v_mul_f64 v[10:11], v[8:9], -v[4:5]
	s_delay_alu instid0(VALU_DEP_1)
	v_fma_f64 v[10:11], v[2:3], v[6:7], v[10:11]
.LBB104_86:                             ;   Parent Loop BB104_71 Depth=1
                                        ; =>  This Inner Loop Header: Depth=2
	s_waitcnt lgkmcnt(0)
	s_delay_alu instid0(VALU_DEP_1)
	v_add_f64 v[21:22], v[12:13], v[10:11]
	ds_cmpstore_rtn_b64 v[21:22], v20, v[21:22], v[12:13]
	s_waitcnt lgkmcnt(0)
	v_cmp_eq_u64_e32 vcc_lo, v[21:22], v[12:13]
	v_dual_mov_b32 v12, v21 :: v_dual_mov_b32 v13, v22
	s_or_b32 s40, vcc_lo, s40
	s_delay_alu instid0(SALU_CYCLE_1)
	s_and_not1_b32 exec_lo, exec_lo, s40
	s_cbranch_execnz .LBB104_86
; %bb.87:                               ;   in Loop: Header=BB104_71 Depth=1
	s_or_b32 exec_lo, exec_lo, s40
	v_mul_f64 v[8:9], v[8:9], v[2:3]
	s_mov_b32 s40, 0
	s_delay_alu instid0(VALU_DEP_1)
	v_fma_f64 v[6:7], v[4:5], v[6:7], v[8:9]
	ds_load_b64 v[8:9], v20 offset:8
.LBB104_88:                             ;   Parent Loop BB104_71 Depth=1
                                        ; =>  This Inner Loop Header: Depth=2
	s_waitcnt lgkmcnt(0)
	v_add_f64 v[10:11], v[8:9], v[6:7]
	ds_cmpstore_rtn_b64 v[10:11], v20, v[10:11], v[8:9] offset:8
	s_waitcnt lgkmcnt(0)
	v_cmp_eq_u64_e32 vcc_lo, v[10:11], v[8:9]
	v_dual_mov_b32 v8, v10 :: v_dual_mov_b32 v9, v11
	s_or_b32 s40, vcc_lo, s40
	s_delay_alu instid0(SALU_CYCLE_1)
	s_and_not1_b32 exec_lo, exec_lo, s40
	s_cbranch_execnz .LBB104_88
; %bb.89:                               ;   in Loop: Header=BB104_71 Depth=1
	s_or_b32 exec_lo, exec_lo, s40
	s_branch .LBB104_69
.LBB104_90:
	s_or_b32 exec_lo, exec_lo, s25
                                        ; implicit-def: $vgpr16_vgpr17
                                        ; implicit-def: $vgpr14
.LBB104_91:
	s_and_not1_saveexec_b32 s1, s7
	s_cbranch_execz .LBB104_165
; %bb.92:
	s_add_u32 s30, s18, -1
	s_addc_u32 s31, s19, -1
	s_add_u32 s34, s18, -2
	v_cmp_le_i64_e64 s0, s[30:31], s[16:17]
	s_addc_u32 s35, s19, -1
	v_dual_mov_b32 v2, s16 :: v_dual_mov_b32 v3, s17
	s_cmp_eq_u64 s[34:35], s[16:17]
	v_dual_mov_b32 v4, s30 :: v_dual_mov_b32 v5, s31
	s_cselect_b32 s7, -1, 0
	s_delay_alu instid0(SALU_CYCLE_1) | instskip(NEXT) | instid1(SALU_CYCLE_1)
	s_or_b32 s7, s0, s7
	s_and_b32 vcc_lo, exec_lo, s7
	s_cbranch_vccnz .LBB104_96
; %bb.93:
	v_dual_mov_b32 v2, s16 :: v_dual_mov_b32 v3, s17
	v_dual_mov_b32 v4, s30 :: v_dual_mov_b32 v5, s31
	s_mov_b32 s25, 0
	s_set_inst_prefetch_distance 0x1
	.p2align	6
.LBB104_94:                             ; =>This Inner Loop Header: Depth=1
	s_delay_alu instid0(VALU_DEP_1) | instskip(NEXT) | instid1(VALU_DEP_2)
	v_add_co_u32 v6, vcc_lo, v4, v2
	v_add_co_ci_u32_e32 v7, vcc_lo, v5, v3, vcc_lo
	s_delay_alu instid0(VALU_DEP_1) | instskip(NEXT) | instid1(VALU_DEP_1)
	v_lshrrev_b32_e32 v8, 31, v7
	v_add_co_u32 v6, vcc_lo, v6, v8
	v_add_co_ci_u32_e32 v7, vcc_lo, 0, v7, vcc_lo
	s_delay_alu instid0(VALU_DEP_1) | instskip(NEXT) | instid1(VALU_DEP_1)
	v_ashrrev_i64 v[6:7], 1, v[6:7]
	v_lshlrev_b64 v[8:9], 3, v[6:7]
	s_delay_alu instid0(VALU_DEP_1) | instskip(NEXT) | instid1(VALU_DEP_2)
	v_add_co_u32 v8, vcc_lo, s8, v8
	v_add_co_ci_u32_e32 v9, vcc_lo, s9, v9, vcc_lo
	global_load_b64 v[8:9], v[8:9], off
	s_waitcnt vmcnt(0)
	v_sub_co_u32 v8, vcc_lo, v8, s24
	v_subrev_co_ci_u32_e32 v9, vcc_lo, 0, v9, vcc_lo
	s_delay_alu instid0(VALU_DEP_1) | instskip(SKIP_2) | instid1(VALU_DEP_2)
	v_cmp_gt_i64_e32 vcc_lo, v[8:9], v[14:15]
	v_dual_cndmask_b32 v5, v5, v7 :: v_dual_cndmask_b32 v4, v4, v6
	v_dual_cndmask_b32 v3, v7, v3 :: v_dual_cndmask_b32 v2, v6, v2
	v_add_co_u32 v6, vcc_lo, v4, -1
	s_delay_alu instid0(VALU_DEP_3) | instskip(NEXT) | instid1(VALU_DEP_3)
	v_add_co_ci_u32_e32 v7, vcc_lo, -1, v5, vcc_lo
	v_cmp_ge_i64_e32 vcc_lo, v[2:3], v[4:5]
	s_delay_alu instid0(VALU_DEP_2) | instskip(NEXT) | instid1(VALU_DEP_1)
	v_cmp_eq_u64_e64 s0, v[2:3], v[6:7]
	s_or_b32 s0, vcc_lo, s0
	s_delay_alu instid0(SALU_CYCLE_1) | instskip(NEXT) | instid1(SALU_CYCLE_1)
	s_and_b32 s0, exec_lo, s0
	s_or_b32 s25, s0, s25
	s_delay_alu instid0(SALU_CYCLE_1)
	s_and_not1_b32 exec_lo, exec_lo, s25
	s_cbranch_execnz .LBB104_94
; %bb.95:
	s_set_inst_prefetch_distance 0x2
	s_or_b32 exec_lo, exec_lo, s25
.LBB104_96:
	v_lshlrev_b64 v[6:7], 3, v[4:5]
	v_lshlrev_b64 v[8:9], 2, v[14:15]
	s_xor_b32 s7, s7, -1
	s_mov_b32 s25, exec_lo
	s_delay_alu instid0(VALU_DEP_2) | instskip(NEXT) | instid1(VALU_DEP_3)
	v_add_co_u32 v6, vcc_lo, s8, v6
	v_add_co_ci_u32_e32 v7, vcc_lo, s9, v7, vcc_lo
	s_delay_alu instid0(VALU_DEP_3)
	v_add_co_u32 v18, vcc_lo, s10, v8
	v_add_co_ci_u32_e32 v19, vcc_lo, s11, v9, vcc_lo
	global_load_b64 v[6:7], v[6:7], off
	s_lshl_b64 s[10:11], s[18:19], 3
	global_load_b32 v8, v[18:19], off
	s_add_u32 s10, s8, s10
	s_addc_u32 s11, s9, s11
	s_waitcnt vmcnt(1)
	v_sub_co_u32 v6, vcc_lo, v6, s24
	v_subrev_co_ci_u32_e32 v7, vcc_lo, 0, v7, vcc_lo
	s_waitcnt vmcnt(0)
	v_subrev_nc_u32_e32 v20, s24, v8
	s_delay_alu instid0(VALU_DEP_2) | instskip(NEXT) | instid1(VALU_DEP_2)
	v_cmp_gt_i64_e32 vcc_lo, v[6:7], v[14:15]
	v_ashrrev_i32_e32 v21, 31, v20
	v_dual_cndmask_b32 v3, v5, v3 :: v_dual_cndmask_b32 v2, v4, v2
	s_delay_alu instid0(VALU_DEP_1)
	v_cmpx_ne_u64_e64 v[2:3], v[20:21]
	s_cbranch_execz .LBB104_110
; %bb.97:
	s_load_b64 s[34:35], s[10:11], 0x0
	s_waitcnt lgkmcnt(0)
	s_sub_u32 s34, s34, s24
	s_subb_u32 s35, s35, 0
	s_delay_alu instid0(SALU_CYCLE_1)
	v_cmp_gt_i64_e32 vcc_lo, s[34:35], v[14:15]
	s_and_b32 exec_lo, exec_lo, vcc_lo
	s_cbranch_execz .LBB104_110
; %bb.98:
	v_cmp_gt_i64_e32 vcc_lo, s[12:13], v[20:21]
	v_cmp_le_i64_e64 s0, s[18:19], v[20:21]
	v_lshlrev_b64 v[2:3], 4, v[2:3]
	s_delay_alu instid0(VALU_DEP_2) | instskip(NEXT) | instid1(SALU_CYCLE_1)
	s_or_b32 s0, vcc_lo, s0
	s_and_saveexec_b32 s29, s0
	s_delay_alu instid0(SALU_CYCLE_1)
	s_xor_b32 s0, exec_lo, s29
	s_cbranch_execz .LBB104_104
; %bb.99:
	s_delay_alu instid0(VALU_DEP_1)
	v_add_co_u32 v2, vcc_lo, s14, v2
	v_add_co_ci_u32_e32 v3, vcc_lo, s15, v3, vcc_lo
	v_lshlrev_b64 v[6:7], 4, v[20:21]
	s_mov_b32 s29, 0
	global_load_b128 v[2:5], v[2:3], off
	v_add_co_u32 v22, vcc_lo, s20, v6
	v_add_co_ci_u32_e32 v23, vcc_lo, s21, v7, vcc_lo
	ds_load_b128 v[6:9], v27
	global_load_b64 v[12:13], v[22:23], off
	s_waitcnt vmcnt(1) lgkmcnt(0)
	v_mul_f64 v[10:11], v[4:5], -v[8:9]
	s_delay_alu instid0(VALU_DEP_1)
	v_fma_f64 v[24:25], v[6:7], v[2:3], v[10:11]
.LBB104_100:                            ; =>This Inner Loop Header: Depth=1
	s_waitcnt vmcnt(0)
	s_delay_alu instid0(VALU_DEP_1)
	v_add_f64 v[10:11], v[12:13], v[24:25]
	global_atomic_cmpswap_b64 v[10:11], v[22:23], v[10:13], off glc
	s_waitcnt vmcnt(0)
	v_cmp_eq_u64_e32 vcc_lo, v[10:11], v[12:13]
	v_dual_mov_b32 v13, v11 :: v_dual_mov_b32 v12, v10
	s_or_b32 s29, vcc_lo, s29
	s_delay_alu instid0(SALU_CYCLE_1)
	s_and_not1_b32 exec_lo, exec_lo, s29
	s_cbranch_execnz .LBB104_100
; %bb.101:
	s_or_b32 exec_lo, exec_lo, s29
	global_load_b64 v[10:11], v[22:23], off offset:8
	v_mul_f64 v[4:5], v[4:5], v[6:7]
	s_mov_b32 s29, 0
	s_delay_alu instid0(VALU_DEP_1)
	v_fma_f64 v[2:3], v[8:9], v[2:3], v[4:5]
.LBB104_102:                            ; =>This Inner Loop Header: Depth=1
	s_waitcnt vmcnt(0)
	s_delay_alu instid0(VALU_DEP_1)
	v_add_f64 v[8:9], v[10:11], v[2:3]
	global_atomic_cmpswap_b64 v[4:5], v[22:23], v[8:11], off offset:8 glc
	s_waitcnt vmcnt(0)
	v_cmp_eq_u64_e32 vcc_lo, v[4:5], v[10:11]
	v_dual_mov_b32 v11, v5 :: v_dual_mov_b32 v10, v4
	s_or_b32 s29, vcc_lo, s29
	s_delay_alu instid0(SALU_CYCLE_1)
	s_and_not1_b32 exec_lo, exec_lo, s29
	s_cbranch_execnz .LBB104_102
; %bb.103:
	s_or_b32 exec_lo, exec_lo, s29
                                        ; implicit-def: $vgpr2_vgpr3
.LBB104_104:
	s_and_not1_saveexec_b32 s0, s0
	s_cbranch_execz .LBB104_110
; %bb.105:
	v_add_co_u32 v2, vcc_lo, s14, v2
	v_add_co_ci_u32_e32 v3, vcc_lo, s15, v3, vcc_lo
	ds_load_b128 v[6:9], v27
	v_subrev_nc_u32_e32 v12, s12, v20
	s_mov_b32 s0, 0
	global_load_b128 v[2:5], v[2:3], off
	v_lshl_add_u32 v22, v12, 4, 0x4000
	ds_load_b64 v[12:13], v22
	s_waitcnt vmcnt(0) lgkmcnt(1)
	v_mul_f64 v[10:11], v[4:5], -v[8:9]
	s_delay_alu instid0(VALU_DEP_1)
	v_fma_f64 v[10:11], v[6:7], v[2:3], v[10:11]
.LBB104_106:                            ; =>This Inner Loop Header: Depth=1
	s_waitcnt lgkmcnt(0)
	s_delay_alu instid0(VALU_DEP_1)
	v_add_f64 v[23:24], v[12:13], v[10:11]
	ds_cmpstore_rtn_b64 v[23:24], v22, v[23:24], v[12:13]
	s_waitcnt lgkmcnt(0)
	v_cmp_eq_u64_e32 vcc_lo, v[23:24], v[12:13]
	v_dual_mov_b32 v12, v23 :: v_dual_mov_b32 v13, v24
	s_or_b32 s0, vcc_lo, s0
	s_delay_alu instid0(SALU_CYCLE_1)
	s_and_not1_b32 exec_lo, exec_lo, s0
	s_cbranch_execnz .LBB104_106
; %bb.107:
	s_or_b32 exec_lo, exec_lo, s0
	v_mul_f64 v[4:5], v[4:5], v[6:7]
	s_mov_b32 s0, 0
	s_delay_alu instid0(VALU_DEP_1)
	v_fma_f64 v[2:3], v[8:9], v[2:3], v[4:5]
	ds_load_b64 v[4:5], v22 offset:8
.LBB104_108:                            ; =>This Inner Loop Header: Depth=1
	s_waitcnt lgkmcnt(0)
	v_add_f64 v[6:7], v[4:5], v[2:3]
	ds_cmpstore_rtn_b64 v[6:7], v22, v[6:7], v[4:5] offset:8
	s_waitcnt lgkmcnt(0)
	v_cmp_eq_u64_e32 vcc_lo, v[6:7], v[4:5]
	v_dual_mov_b32 v4, v6 :: v_dual_mov_b32 v5, v7
	s_or_b32 s0, vcc_lo, s0
	s_delay_alu instid0(SALU_CYCLE_1)
	s_and_not1_b32 exec_lo, exec_lo, s0
	s_cbranch_execnz .LBB104_108
; %bb.109:
	s_or_b32 exec_lo, exec_lo, s0
.LBB104_110:
	s_delay_alu instid0(SALU_CYCLE_1)
	s_or_b32 exec_lo, exec_lo, s25
	v_lshlrev_b64 v[2:3], 4, v[20:21]
	ds_load_b128 v[6:9], v27
	v_cndmask_b32_e64 v26, 0, 1, s7
	v_add_co_u32 v2, vcc_lo, s14, v2
	v_add_co_ci_u32_e32 v3, vcc_lo, s15, v3, vcc_lo
	global_load_b128 v[2:5], v[2:3], off
	s_waitcnt vmcnt(0) lgkmcnt(0)
	v_mul_f64 v[10:11], v[4:5], -v[8:9]
	v_mul_f64 v[4:5], v[4:5], v[6:7]
	s_delay_alu instid0(VALU_DEP_2) | instskip(NEXT) | instid1(VALU_DEP_2)
	v_fma_f64 v[10:11], v[6:7], v[2:3], v[10:11]
	v_fma_f64 v[12:13], v[8:9], v[2:3], v[4:5]
	v_add_co_u32 v2, vcc_lo, 0x100, v14
	v_add_co_ci_u32_e32 v3, vcc_lo, 0, v15, vcc_lo
	v_dual_mov_b32 v4, s16 :: v_dual_mov_b32 v5, s17
	v_dual_mov_b32 v6, s30 :: v_dual_mov_b32 v7, s31
	s_and_not1_b32 vcc_lo, exec_lo, s7
	ds_store_b128 v27, v[10:13]
	s_cbranch_vccnz .LBB104_114
; %bb.111:
	v_dual_mov_b32 v4, s16 :: v_dual_mov_b32 v5, s17
	v_dual_mov_b32 v6, s30 :: v_dual_mov_b32 v7, s31
	s_mov_b32 s7, 0
	s_set_inst_prefetch_distance 0x1
	.p2align	6
.LBB104_112:                            ; =>This Inner Loop Header: Depth=1
	s_delay_alu instid0(VALU_DEP_1) | instskip(NEXT) | instid1(VALU_DEP_2)
	v_add_co_u32 v8, vcc_lo, v6, v4
	v_add_co_ci_u32_e32 v9, vcc_lo, v7, v5, vcc_lo
	s_delay_alu instid0(VALU_DEP_1) | instskip(NEXT) | instid1(VALU_DEP_1)
	v_lshrrev_b32_e32 v10, 31, v9
	v_add_co_u32 v8, vcc_lo, v8, v10
	v_add_co_ci_u32_e32 v9, vcc_lo, 0, v9, vcc_lo
	s_delay_alu instid0(VALU_DEP_1) | instskip(NEXT) | instid1(VALU_DEP_1)
	v_ashrrev_i64 v[8:9], 1, v[8:9]
	v_lshlrev_b64 v[10:11], 3, v[8:9]
	s_delay_alu instid0(VALU_DEP_1) | instskip(NEXT) | instid1(VALU_DEP_2)
	v_add_co_u32 v10, vcc_lo, s8, v10
	v_add_co_ci_u32_e32 v11, vcc_lo, s9, v11, vcc_lo
	global_load_b64 v[10:11], v[10:11], off
	s_waitcnt vmcnt(0)
	v_sub_co_u32 v10, vcc_lo, v10, s24
	v_subrev_co_ci_u32_e32 v11, vcc_lo, 0, v11, vcc_lo
	s_delay_alu instid0(VALU_DEP_1) | instskip(SKIP_2) | instid1(VALU_DEP_2)
	v_cmp_gt_i64_e32 vcc_lo, v[10:11], v[2:3]
	v_dual_cndmask_b32 v7, v7, v9 :: v_dual_cndmask_b32 v6, v6, v8
	v_dual_cndmask_b32 v5, v9, v5 :: v_dual_cndmask_b32 v4, v8, v4
	v_add_co_u32 v8, vcc_lo, v6, -1
	s_delay_alu instid0(VALU_DEP_3) | instskip(NEXT) | instid1(VALU_DEP_3)
	v_add_co_ci_u32_e32 v9, vcc_lo, -1, v7, vcc_lo
	v_cmp_ge_i64_e32 vcc_lo, v[4:5], v[6:7]
	s_delay_alu instid0(VALU_DEP_2) | instskip(NEXT) | instid1(VALU_DEP_1)
	v_cmp_eq_u64_e64 s0, v[4:5], v[8:9]
	s_or_b32 s0, vcc_lo, s0
	s_delay_alu instid0(SALU_CYCLE_1) | instskip(NEXT) | instid1(SALU_CYCLE_1)
	s_and_b32 s0, exec_lo, s0
	s_or_b32 s7, s0, s7
	s_delay_alu instid0(SALU_CYCLE_1)
	s_and_not1_b32 exec_lo, exec_lo, s7
	s_cbranch_execnz .LBB104_112
; %bb.113:
	s_set_inst_prefetch_distance 0x2
	s_or_b32 exec_lo, exec_lo, s7
.LBB104_114:
	v_lshlrev_b64 v[8:9], 3, v[6:7]
	s_mov_b32 s7, exec_lo
	s_delay_alu instid0(VALU_DEP_1) | instskip(NEXT) | instid1(VALU_DEP_2)
	v_add_co_u32 v8, vcc_lo, s8, v8
	v_add_co_ci_u32_e32 v9, vcc_lo, s9, v9, vcc_lo
	global_load_b64 v[8:9], v[8:9], off
	global_load_b32 v10, v[18:19], off offset:1024
	s_waitcnt vmcnt(1)
	v_sub_co_u32 v8, vcc_lo, v8, s24
	v_subrev_co_ci_u32_e32 v9, vcc_lo, 0, v9, vcc_lo
	s_waitcnt vmcnt(0)
	v_subrev_nc_u32_e32 v20, s24, v10
	s_delay_alu instid0(VALU_DEP_2) | instskip(NEXT) | instid1(VALU_DEP_2)
	v_cmp_gt_i64_e32 vcc_lo, v[8:9], v[2:3]
	v_ashrrev_i32_e32 v21, 31, v20
	v_dual_cndmask_b32 v5, v7, v5 :: v_dual_cndmask_b32 v4, v6, v4
	s_delay_alu instid0(VALU_DEP_1)
	v_cmpx_ne_u64_e64 v[4:5], v[20:21]
	s_cbranch_execz .LBB104_128
; %bb.115:
	s_load_b64 s[34:35], s[10:11], 0x0
	s_waitcnt lgkmcnt(0)
	s_sub_u32 s34, s34, s24
	s_subb_u32 s35, s35, 0
	s_delay_alu instid0(SALU_CYCLE_1)
	v_cmp_gt_i64_e32 vcc_lo, s[34:35], v[2:3]
	s_and_b32 exec_lo, exec_lo, vcc_lo
	s_cbranch_execz .LBB104_128
; %bb.116:
	v_cmp_gt_i64_e32 vcc_lo, s[12:13], v[20:21]
	v_cmp_le_i64_e64 s0, s[18:19], v[20:21]
	v_lshlrev_b64 v[2:3], 4, v[4:5]
	s_delay_alu instid0(VALU_DEP_2) | instskip(NEXT) | instid1(SALU_CYCLE_1)
	s_or_b32 s0, vcc_lo, s0
	s_and_saveexec_b32 s25, s0
	s_delay_alu instid0(SALU_CYCLE_1)
	s_xor_b32 s0, exec_lo, s25
	s_cbranch_execz .LBB104_122
; %bb.117:
	s_delay_alu instid0(VALU_DEP_1)
	v_add_co_u32 v2, vcc_lo, s14, v2
	v_add_co_ci_u32_e32 v3, vcc_lo, s15, v3, vcc_lo
	v_lshlrev_b64 v[6:7], 4, v[20:21]
	s_mov_b32 s25, 0
	global_load_b128 v[2:5], v[2:3], off
	v_add_co_u32 v22, vcc_lo, s20, v6
	v_add_co_ci_u32_e32 v23, vcc_lo, s21, v7, vcc_lo
	ds_load_b128 v[6:9], v27 offset:4096
	global_load_b64 v[12:13], v[22:23], off
	s_waitcnt vmcnt(1) lgkmcnt(0)
	v_mul_f64 v[10:11], v[4:5], -v[8:9]
	s_delay_alu instid0(VALU_DEP_1)
	v_fma_f64 v[24:25], v[6:7], v[2:3], v[10:11]
.LBB104_118:                            ; =>This Inner Loop Header: Depth=1
	s_waitcnt vmcnt(0)
	s_delay_alu instid0(VALU_DEP_1)
	v_add_f64 v[10:11], v[12:13], v[24:25]
	global_atomic_cmpswap_b64 v[10:11], v[22:23], v[10:13], off glc
	s_waitcnt vmcnt(0)
	v_cmp_eq_u64_e32 vcc_lo, v[10:11], v[12:13]
	v_dual_mov_b32 v13, v11 :: v_dual_mov_b32 v12, v10
	s_or_b32 s25, vcc_lo, s25
	s_delay_alu instid0(SALU_CYCLE_1)
	s_and_not1_b32 exec_lo, exec_lo, s25
	s_cbranch_execnz .LBB104_118
; %bb.119:
	s_or_b32 exec_lo, exec_lo, s25
	global_load_b64 v[10:11], v[22:23], off offset:8
	v_mul_f64 v[4:5], v[4:5], v[6:7]
	s_mov_b32 s25, 0
	s_delay_alu instid0(VALU_DEP_1)
	v_fma_f64 v[2:3], v[8:9], v[2:3], v[4:5]
.LBB104_120:                            ; =>This Inner Loop Header: Depth=1
	s_waitcnt vmcnt(0)
	s_delay_alu instid0(VALU_DEP_1)
	v_add_f64 v[8:9], v[10:11], v[2:3]
	global_atomic_cmpswap_b64 v[4:5], v[22:23], v[8:11], off offset:8 glc
	s_waitcnt vmcnt(0)
	v_cmp_eq_u64_e32 vcc_lo, v[4:5], v[10:11]
	v_dual_mov_b32 v11, v5 :: v_dual_mov_b32 v10, v4
	s_or_b32 s25, vcc_lo, s25
	s_delay_alu instid0(SALU_CYCLE_1)
	s_and_not1_b32 exec_lo, exec_lo, s25
	s_cbranch_execnz .LBB104_120
; %bb.121:
	s_or_b32 exec_lo, exec_lo, s25
                                        ; implicit-def: $vgpr2_vgpr3
.LBB104_122:
	s_and_not1_saveexec_b32 s0, s0
	s_cbranch_execz .LBB104_128
; %bb.123:
	v_add_co_u32 v2, vcc_lo, s14, v2
	v_add_co_ci_u32_e32 v3, vcc_lo, s15, v3, vcc_lo
	ds_load_b128 v[6:9], v27 offset:4096
	v_subrev_nc_u32_e32 v12, s12, v20
	s_mov_b32 s0, 0
	global_load_b128 v[2:5], v[2:3], off
	v_lshl_add_u32 v22, v12, 4, 0x4000
	ds_load_b64 v[12:13], v22
	s_waitcnt vmcnt(0) lgkmcnt(1)
	v_mul_f64 v[10:11], v[4:5], -v[8:9]
	s_delay_alu instid0(VALU_DEP_1)
	v_fma_f64 v[10:11], v[6:7], v[2:3], v[10:11]
.LBB104_124:                            ; =>This Inner Loop Header: Depth=1
	s_waitcnt lgkmcnt(0)
	s_delay_alu instid0(VALU_DEP_1)
	v_add_f64 v[23:24], v[12:13], v[10:11]
	ds_cmpstore_rtn_b64 v[23:24], v22, v[23:24], v[12:13]
	s_waitcnt lgkmcnt(0)
	v_cmp_eq_u64_e32 vcc_lo, v[23:24], v[12:13]
	v_dual_mov_b32 v12, v23 :: v_dual_mov_b32 v13, v24
	s_or_b32 s0, vcc_lo, s0
	s_delay_alu instid0(SALU_CYCLE_1)
	s_and_not1_b32 exec_lo, exec_lo, s0
	s_cbranch_execnz .LBB104_124
; %bb.125:
	s_or_b32 exec_lo, exec_lo, s0
	v_mul_f64 v[4:5], v[4:5], v[6:7]
	s_mov_b32 s0, 0
	s_delay_alu instid0(VALU_DEP_1)
	v_fma_f64 v[2:3], v[8:9], v[2:3], v[4:5]
	ds_load_b64 v[4:5], v22 offset:8
.LBB104_126:                            ; =>This Inner Loop Header: Depth=1
	s_waitcnt lgkmcnt(0)
	v_add_f64 v[6:7], v[4:5], v[2:3]
	ds_cmpstore_rtn_b64 v[6:7], v22, v[6:7], v[4:5] offset:8
	s_waitcnt lgkmcnt(0)
	v_cmp_eq_u64_e32 vcc_lo, v[6:7], v[4:5]
	v_dual_mov_b32 v4, v6 :: v_dual_mov_b32 v5, v7
	s_or_b32 s0, vcc_lo, s0
	s_delay_alu instid0(SALU_CYCLE_1)
	s_and_not1_b32 exec_lo, exec_lo, s0
	s_cbranch_execnz .LBB104_126
; %bb.127:
	s_or_b32 exec_lo, exec_lo, s0
.LBB104_128:
	s_delay_alu instid0(SALU_CYCLE_1)
	s_or_b32 exec_lo, exec_lo, s7
	v_lshlrev_b64 v[2:3], 4, v[20:21]
	ds_load_b128 v[6:9], v27 offset:4096
	v_add_co_u32 v2, vcc_lo, s14, v2
	v_add_co_ci_u32_e32 v3, vcc_lo, s15, v3, vcc_lo
	v_cmp_ne_u32_e32 vcc_lo, 1, v26
	global_load_b128 v[2:5], v[2:3], off
	s_and_b32 vcc_lo, exec_lo, vcc_lo
	s_waitcnt vmcnt(0) lgkmcnt(0)
	v_mul_f64 v[10:11], v[4:5], -v[8:9]
	v_mul_f64 v[4:5], v[4:5], v[6:7]
	s_delay_alu instid0(VALU_DEP_2) | instskip(NEXT) | instid1(VALU_DEP_2)
	v_fma_f64 v[10:11], v[6:7], v[2:3], v[10:11]
	v_fma_f64 v[12:13], v[8:9], v[2:3], v[4:5]
	v_add_co_u32 v2, s0, 0x200, v14
	s_delay_alu instid0(VALU_DEP_1)
	v_add_co_ci_u32_e64 v3, s0, 0, v15, s0
	v_dual_mov_b32 v4, s16 :: v_dual_mov_b32 v5, s17
	v_dual_mov_b32 v6, s30 :: v_dual_mov_b32 v7, s31
	ds_store_b128 v27, v[10:13] offset:4096
	s_cbranch_vccnz .LBB104_132
; %bb.129:
	v_dual_mov_b32 v4, s16 :: v_dual_mov_b32 v5, s17
	v_dual_mov_b32 v6, s30 :: v_dual_mov_b32 v7, s31
	s_mov_b32 s7, 0
	s_set_inst_prefetch_distance 0x1
	.p2align	6
.LBB104_130:                            ; =>This Inner Loop Header: Depth=1
	s_delay_alu instid0(VALU_DEP_1) | instskip(NEXT) | instid1(VALU_DEP_2)
	v_add_co_u32 v8, vcc_lo, v6, v4
	v_add_co_ci_u32_e32 v9, vcc_lo, v7, v5, vcc_lo
	s_delay_alu instid0(VALU_DEP_1) | instskip(NEXT) | instid1(VALU_DEP_1)
	v_lshrrev_b32_e32 v10, 31, v9
	v_add_co_u32 v8, vcc_lo, v8, v10
	v_add_co_ci_u32_e32 v9, vcc_lo, 0, v9, vcc_lo
	s_delay_alu instid0(VALU_DEP_1) | instskip(NEXT) | instid1(VALU_DEP_1)
	v_ashrrev_i64 v[8:9], 1, v[8:9]
	v_lshlrev_b64 v[10:11], 3, v[8:9]
	s_delay_alu instid0(VALU_DEP_1) | instskip(NEXT) | instid1(VALU_DEP_2)
	v_add_co_u32 v10, vcc_lo, s8, v10
	v_add_co_ci_u32_e32 v11, vcc_lo, s9, v11, vcc_lo
	global_load_b64 v[10:11], v[10:11], off
	s_waitcnt vmcnt(0)
	v_sub_co_u32 v10, vcc_lo, v10, s24
	v_subrev_co_ci_u32_e32 v11, vcc_lo, 0, v11, vcc_lo
	s_delay_alu instid0(VALU_DEP_1) | instskip(SKIP_2) | instid1(VALU_DEP_2)
	v_cmp_gt_i64_e32 vcc_lo, v[10:11], v[2:3]
	v_dual_cndmask_b32 v7, v7, v9 :: v_dual_cndmask_b32 v6, v6, v8
	v_dual_cndmask_b32 v5, v9, v5 :: v_dual_cndmask_b32 v4, v8, v4
	v_add_co_u32 v8, vcc_lo, v6, -1
	s_delay_alu instid0(VALU_DEP_3) | instskip(NEXT) | instid1(VALU_DEP_3)
	v_add_co_ci_u32_e32 v9, vcc_lo, -1, v7, vcc_lo
	v_cmp_ge_i64_e32 vcc_lo, v[4:5], v[6:7]
	s_delay_alu instid0(VALU_DEP_2) | instskip(NEXT) | instid1(VALU_DEP_1)
	v_cmp_eq_u64_e64 s0, v[4:5], v[8:9]
	s_or_b32 s0, vcc_lo, s0
	s_delay_alu instid0(SALU_CYCLE_1) | instskip(NEXT) | instid1(SALU_CYCLE_1)
	s_and_b32 s0, exec_lo, s0
	s_or_b32 s7, s0, s7
	s_delay_alu instid0(SALU_CYCLE_1)
	s_and_not1_b32 exec_lo, exec_lo, s7
	s_cbranch_execnz .LBB104_130
; %bb.131:
	s_set_inst_prefetch_distance 0x2
	s_or_b32 exec_lo, exec_lo, s7
.LBB104_132:
	v_lshlrev_b64 v[8:9], 3, v[6:7]
	s_mov_b32 s7, exec_lo
	s_delay_alu instid0(VALU_DEP_1) | instskip(NEXT) | instid1(VALU_DEP_2)
	v_add_co_u32 v8, vcc_lo, s8, v8
	v_add_co_ci_u32_e32 v9, vcc_lo, s9, v9, vcc_lo
	global_load_b64 v[8:9], v[8:9], off
	global_load_b32 v10, v[18:19], off offset:2048
	s_waitcnt vmcnt(1)
	v_sub_co_u32 v8, vcc_lo, v8, s24
	v_subrev_co_ci_u32_e32 v9, vcc_lo, 0, v9, vcc_lo
	s_waitcnt vmcnt(0)
	v_subrev_nc_u32_e32 v14, s24, v10
	s_delay_alu instid0(VALU_DEP_2) | instskip(NEXT) | instid1(VALU_DEP_2)
	v_cmp_gt_i64_e32 vcc_lo, v[8:9], v[2:3]
	v_ashrrev_i32_e32 v15, 31, v14
	v_dual_cndmask_b32 v5, v7, v5 :: v_dual_cndmask_b32 v4, v6, v4
	s_delay_alu instid0(VALU_DEP_1)
	v_cmpx_ne_u64_e64 v[4:5], v[14:15]
	s_cbranch_execz .LBB104_146
; %bb.133:
	s_load_b64 s[34:35], s[10:11], 0x0
	s_waitcnt lgkmcnt(0)
	s_sub_u32 s34, s34, s24
	s_subb_u32 s35, s35, 0
	s_delay_alu instid0(SALU_CYCLE_1)
	v_cmp_gt_i64_e32 vcc_lo, s[34:35], v[2:3]
	s_and_b32 exec_lo, exec_lo, vcc_lo
	s_cbranch_execz .LBB104_146
; %bb.134:
	v_cmp_gt_i64_e32 vcc_lo, s[12:13], v[14:15]
	v_cmp_le_i64_e64 s0, s[18:19], v[14:15]
	v_lshlrev_b64 v[2:3], 4, v[4:5]
	s_delay_alu instid0(VALU_DEP_2) | instskip(NEXT) | instid1(SALU_CYCLE_1)
	s_or_b32 s0, vcc_lo, s0
	s_and_saveexec_b32 s25, s0
	s_delay_alu instid0(SALU_CYCLE_1)
	s_xor_b32 s0, exec_lo, s25
	s_cbranch_execz .LBB104_140
; %bb.135:
	s_delay_alu instid0(VALU_DEP_1)
	v_add_co_u32 v2, vcc_lo, s14, v2
	v_add_co_ci_u32_e32 v3, vcc_lo, s15, v3, vcc_lo
	v_lshlrev_b64 v[6:7], 4, v[14:15]
	s_mov_b32 s25, 0
	global_load_b128 v[2:5], v[2:3], off
	v_add_co_u32 v20, vcc_lo, s20, v6
	v_add_co_ci_u32_e32 v21, vcc_lo, s21, v7, vcc_lo
	ds_load_b128 v[6:9], v27 offset:8192
	global_load_b64 v[12:13], v[20:21], off
	s_waitcnt vmcnt(1) lgkmcnt(0)
	v_mul_f64 v[10:11], v[4:5], -v[8:9]
	s_delay_alu instid0(VALU_DEP_1)
	v_fma_f64 v[22:23], v[6:7], v[2:3], v[10:11]
.LBB104_136:                            ; =>This Inner Loop Header: Depth=1
	s_waitcnt vmcnt(0)
	s_delay_alu instid0(VALU_DEP_1)
	v_add_f64 v[10:11], v[12:13], v[22:23]
	global_atomic_cmpswap_b64 v[10:11], v[20:21], v[10:13], off glc
	s_waitcnt vmcnt(0)
	v_cmp_eq_u64_e32 vcc_lo, v[10:11], v[12:13]
	v_dual_mov_b32 v13, v11 :: v_dual_mov_b32 v12, v10
	s_or_b32 s25, vcc_lo, s25
	s_delay_alu instid0(SALU_CYCLE_1)
	s_and_not1_b32 exec_lo, exec_lo, s25
	s_cbranch_execnz .LBB104_136
; %bb.137:
	s_or_b32 exec_lo, exec_lo, s25
	global_load_b64 v[10:11], v[20:21], off offset:8
	v_mul_f64 v[4:5], v[4:5], v[6:7]
	s_mov_b32 s25, 0
	s_delay_alu instid0(VALU_DEP_1)
	v_fma_f64 v[2:3], v[8:9], v[2:3], v[4:5]
.LBB104_138:                            ; =>This Inner Loop Header: Depth=1
	s_waitcnt vmcnt(0)
	s_delay_alu instid0(VALU_DEP_1)
	v_add_f64 v[8:9], v[10:11], v[2:3]
	global_atomic_cmpswap_b64 v[4:5], v[20:21], v[8:11], off offset:8 glc
	s_waitcnt vmcnt(0)
	v_cmp_eq_u64_e32 vcc_lo, v[4:5], v[10:11]
	v_dual_mov_b32 v11, v5 :: v_dual_mov_b32 v10, v4
	s_or_b32 s25, vcc_lo, s25
	s_delay_alu instid0(SALU_CYCLE_1)
	s_and_not1_b32 exec_lo, exec_lo, s25
	s_cbranch_execnz .LBB104_138
; %bb.139:
	s_or_b32 exec_lo, exec_lo, s25
                                        ; implicit-def: $vgpr2_vgpr3
.LBB104_140:
	s_and_not1_saveexec_b32 s0, s0
	s_cbranch_execz .LBB104_146
; %bb.141:
	v_add_co_u32 v2, vcc_lo, s14, v2
	v_add_co_ci_u32_e32 v3, vcc_lo, s15, v3, vcc_lo
	ds_load_b128 v[6:9], v27 offset:8192
	v_subrev_nc_u32_e32 v12, s12, v14
	s_mov_b32 s0, 0
	global_load_b128 v[2:5], v[2:3], off
	v_lshl_add_u32 v20, v12, 4, 0x4000
	ds_load_b64 v[12:13], v20
	s_waitcnt vmcnt(0) lgkmcnt(1)
	v_mul_f64 v[10:11], v[4:5], -v[8:9]
	s_delay_alu instid0(VALU_DEP_1)
	v_fma_f64 v[10:11], v[6:7], v[2:3], v[10:11]
.LBB104_142:                            ; =>This Inner Loop Header: Depth=1
	s_waitcnt lgkmcnt(0)
	s_delay_alu instid0(VALU_DEP_1)
	v_add_f64 v[21:22], v[12:13], v[10:11]
	ds_cmpstore_rtn_b64 v[21:22], v20, v[21:22], v[12:13]
	s_waitcnt lgkmcnt(0)
	v_cmp_eq_u64_e32 vcc_lo, v[21:22], v[12:13]
	v_dual_mov_b32 v12, v21 :: v_dual_mov_b32 v13, v22
	s_or_b32 s0, vcc_lo, s0
	s_delay_alu instid0(SALU_CYCLE_1)
	s_and_not1_b32 exec_lo, exec_lo, s0
	s_cbranch_execnz .LBB104_142
; %bb.143:
	s_or_b32 exec_lo, exec_lo, s0
	v_mul_f64 v[4:5], v[4:5], v[6:7]
	s_mov_b32 s0, 0
	s_delay_alu instid0(VALU_DEP_1)
	v_fma_f64 v[2:3], v[8:9], v[2:3], v[4:5]
	ds_load_b64 v[4:5], v20 offset:8
.LBB104_144:                            ; =>This Inner Loop Header: Depth=1
	s_waitcnt lgkmcnt(0)
	v_add_f64 v[6:7], v[4:5], v[2:3]
	ds_cmpstore_rtn_b64 v[6:7], v20, v[6:7], v[4:5] offset:8
	s_waitcnt lgkmcnt(0)
	v_cmp_eq_u64_e32 vcc_lo, v[6:7], v[4:5]
	v_dual_mov_b32 v4, v6 :: v_dual_mov_b32 v5, v7
	s_or_b32 s0, vcc_lo, s0
	s_delay_alu instid0(SALU_CYCLE_1)
	s_and_not1_b32 exec_lo, exec_lo, s0
	s_cbranch_execnz .LBB104_144
; %bb.145:
	s_or_b32 exec_lo, exec_lo, s0
.LBB104_146:
	s_delay_alu instid0(SALU_CYCLE_1)
	s_or_b32 exec_lo, exec_lo, s7
	v_lshlrev_b64 v[2:3], 4, v[14:15]
	ds_load_b128 v[6:9], v27 offset:8192
	v_add_co_u32 v2, vcc_lo, s14, v2
	v_add_co_ci_u32_e32 v3, vcc_lo, s15, v3, vcc_lo
	v_cmp_ne_u32_e32 vcc_lo, 1, v26
	global_load_b128 v[2:5], v[2:3], off
	s_and_b32 vcc_lo, exec_lo, vcc_lo
	s_waitcnt vmcnt(0) lgkmcnt(0)
	v_mul_f64 v[10:11], v[4:5], -v[8:9]
	v_mul_f64 v[4:5], v[4:5], v[6:7]
	s_delay_alu instid0(VALU_DEP_2) | instskip(NEXT) | instid1(VALU_DEP_2)
	v_fma_f64 v[6:7], v[6:7], v[2:3], v[10:11]
	v_fma_f64 v[8:9], v[8:9], v[2:3], v[4:5]
	v_dual_mov_b32 v2, s16 :: v_dual_mov_b32 v3, s17
	v_dual_mov_b32 v4, s30 :: v_dual_mov_b32 v5, s31
	ds_store_b128 v27, v[6:9] offset:8192
	s_cbranch_vccnz .LBB104_150
; %bb.147:
	v_dual_mov_b32 v2, s16 :: v_dual_mov_b32 v3, s17
	v_dual_mov_b32 v4, s30 :: v_dual_mov_b32 v5, s31
	s_mov_b32 s7, 0
	s_set_inst_prefetch_distance 0x1
	.p2align	6
.LBB104_148:                            ; =>This Inner Loop Header: Depth=1
	s_delay_alu instid0(VALU_DEP_1) | instskip(NEXT) | instid1(VALU_DEP_2)
	v_add_co_u32 v6, vcc_lo, v4, v2
	v_add_co_ci_u32_e32 v7, vcc_lo, v5, v3, vcc_lo
	s_delay_alu instid0(VALU_DEP_1) | instskip(NEXT) | instid1(VALU_DEP_1)
	v_lshrrev_b32_e32 v8, 31, v7
	v_add_co_u32 v6, vcc_lo, v6, v8
	v_add_co_ci_u32_e32 v7, vcc_lo, 0, v7, vcc_lo
	s_delay_alu instid0(VALU_DEP_1) | instskip(NEXT) | instid1(VALU_DEP_1)
	v_ashrrev_i64 v[6:7], 1, v[6:7]
	v_lshlrev_b64 v[8:9], 3, v[6:7]
	s_delay_alu instid0(VALU_DEP_1) | instskip(NEXT) | instid1(VALU_DEP_2)
	v_add_co_u32 v8, vcc_lo, s8, v8
	v_add_co_ci_u32_e32 v9, vcc_lo, s9, v9, vcc_lo
	global_load_b64 v[8:9], v[8:9], off
	s_waitcnt vmcnt(0)
	v_sub_co_u32 v8, vcc_lo, v8, s24
	v_subrev_co_ci_u32_e32 v9, vcc_lo, 0, v9, vcc_lo
	s_delay_alu instid0(VALU_DEP_1) | instskip(SKIP_2) | instid1(VALU_DEP_2)
	v_cmp_gt_i64_e32 vcc_lo, v[8:9], v[16:17]
	v_dual_cndmask_b32 v5, v5, v7 :: v_dual_cndmask_b32 v4, v4, v6
	v_dual_cndmask_b32 v3, v7, v3 :: v_dual_cndmask_b32 v2, v6, v2
	v_add_co_u32 v6, vcc_lo, v4, -1
	s_delay_alu instid0(VALU_DEP_3) | instskip(NEXT) | instid1(VALU_DEP_3)
	v_add_co_ci_u32_e32 v7, vcc_lo, -1, v5, vcc_lo
	v_cmp_ge_i64_e32 vcc_lo, v[2:3], v[4:5]
	s_delay_alu instid0(VALU_DEP_2) | instskip(NEXT) | instid1(VALU_DEP_1)
	v_cmp_eq_u64_e64 s0, v[2:3], v[6:7]
	s_or_b32 s0, vcc_lo, s0
	s_delay_alu instid0(SALU_CYCLE_1) | instskip(NEXT) | instid1(SALU_CYCLE_1)
	s_and_b32 s0, exec_lo, s0
	s_or_b32 s7, s0, s7
	s_delay_alu instid0(SALU_CYCLE_1)
	s_and_not1_b32 exec_lo, exec_lo, s7
	s_cbranch_execnz .LBB104_148
; %bb.149:
	s_set_inst_prefetch_distance 0x2
	s_or_b32 exec_lo, exec_lo, s7
.LBB104_150:
	v_lshlrev_b64 v[6:7], 3, v[4:5]
	s_mov_b32 s7, exec_lo
	s_delay_alu instid0(VALU_DEP_1) | instskip(NEXT) | instid1(VALU_DEP_2)
	v_add_co_u32 v6, vcc_lo, s8, v6
	v_add_co_ci_u32_e32 v7, vcc_lo, s9, v7, vcc_lo
	global_load_b64 v[6:7], v[6:7], off
	global_load_b32 v8, v[18:19], off offset:3072
	s_waitcnt vmcnt(1)
	v_sub_co_u32 v6, vcc_lo, v6, s24
	v_subrev_co_ci_u32_e32 v7, vcc_lo, 0, v7, vcc_lo
	s_waitcnt vmcnt(0)
	v_subrev_nc_u32_e32 v14, s24, v8
	s_delay_alu instid0(VALU_DEP_2) | instskip(NEXT) | instid1(VALU_DEP_2)
	v_cmp_gt_i64_e32 vcc_lo, v[6:7], v[16:17]
	v_ashrrev_i32_e32 v15, 31, v14
	v_dual_cndmask_b32 v3, v5, v3 :: v_dual_cndmask_b32 v2, v4, v2
	s_delay_alu instid0(VALU_DEP_1)
	v_cmpx_ne_u64_e64 v[2:3], v[14:15]
	s_cbranch_execz .LBB104_164
; %bb.151:
	s_load_b64 s[10:11], s[10:11], 0x0
	s_waitcnt lgkmcnt(0)
	s_sub_u32 s10, s10, s24
	s_subb_u32 s11, s11, 0
	s_delay_alu instid0(SALU_CYCLE_1)
	v_cmp_gt_i64_e32 vcc_lo, s[10:11], v[16:17]
	s_and_b32 exec_lo, exec_lo, vcc_lo
	s_cbranch_execz .LBB104_164
; %bb.152:
	v_cmp_gt_i64_e32 vcc_lo, s[12:13], v[14:15]
	v_cmp_le_i64_e64 s0, s[18:19], v[14:15]
	v_lshlrev_b64 v[2:3], 4, v[2:3]
	s_delay_alu instid0(VALU_DEP_2) | instskip(NEXT) | instid1(SALU_CYCLE_1)
	s_or_b32 s0, vcc_lo, s0
	s_and_saveexec_b32 s10, s0
	s_delay_alu instid0(SALU_CYCLE_1)
	s_xor_b32 s0, exec_lo, s10
	s_cbranch_execz .LBB104_158
; %bb.153:
	s_delay_alu instid0(VALU_DEP_1)
	v_add_co_u32 v2, vcc_lo, s14, v2
	v_add_co_ci_u32_e32 v3, vcc_lo, s15, v3, vcc_lo
	v_lshlrev_b64 v[6:7], 4, v[14:15]
	s_mov_b32 s10, 0
	global_load_b128 v[2:5], v[2:3], off
	v_add_co_u32 v16, vcc_lo, s20, v6
	v_add_co_ci_u32_e32 v17, vcc_lo, s21, v7, vcc_lo
	ds_load_b128 v[6:9], v27 offset:12288
	global_load_b64 v[12:13], v[16:17], off
	s_waitcnt vmcnt(1) lgkmcnt(0)
	v_mul_f64 v[10:11], v[4:5], -v[8:9]
	s_delay_alu instid0(VALU_DEP_1)
	v_fma_f64 v[18:19], v[6:7], v[2:3], v[10:11]
.LBB104_154:                            ; =>This Inner Loop Header: Depth=1
	s_waitcnt vmcnt(0)
	s_delay_alu instid0(VALU_DEP_1)
	v_add_f64 v[10:11], v[12:13], v[18:19]
	global_atomic_cmpswap_b64 v[10:11], v[16:17], v[10:13], off glc
	s_waitcnt vmcnt(0)
	v_cmp_eq_u64_e32 vcc_lo, v[10:11], v[12:13]
	v_dual_mov_b32 v13, v11 :: v_dual_mov_b32 v12, v10
	s_or_b32 s10, vcc_lo, s10
	s_delay_alu instid0(SALU_CYCLE_1)
	s_and_not1_b32 exec_lo, exec_lo, s10
	s_cbranch_execnz .LBB104_154
; %bb.155:
	s_or_b32 exec_lo, exec_lo, s10
	global_load_b64 v[10:11], v[16:17], off offset:8
	v_mul_f64 v[4:5], v[4:5], v[6:7]
	s_mov_b32 s10, 0
	s_delay_alu instid0(VALU_DEP_1)
	v_fma_f64 v[2:3], v[8:9], v[2:3], v[4:5]
.LBB104_156:                            ; =>This Inner Loop Header: Depth=1
	s_waitcnt vmcnt(0)
	s_delay_alu instid0(VALU_DEP_1)
	v_add_f64 v[8:9], v[10:11], v[2:3]
	global_atomic_cmpswap_b64 v[4:5], v[16:17], v[8:11], off offset:8 glc
	s_waitcnt vmcnt(0)
	v_cmp_eq_u64_e32 vcc_lo, v[4:5], v[10:11]
	v_dual_mov_b32 v11, v5 :: v_dual_mov_b32 v10, v4
	s_or_b32 s10, vcc_lo, s10
	s_delay_alu instid0(SALU_CYCLE_1)
	s_and_not1_b32 exec_lo, exec_lo, s10
	s_cbranch_execnz .LBB104_156
; %bb.157:
	s_or_b32 exec_lo, exec_lo, s10
                                        ; implicit-def: $vgpr2_vgpr3
.LBB104_158:
	s_and_not1_saveexec_b32 s0, s0
	s_cbranch_execz .LBB104_164
; %bb.159:
	v_add_co_u32 v2, vcc_lo, s14, v2
	v_add_co_ci_u32_e32 v3, vcc_lo, s15, v3, vcc_lo
	ds_load_b128 v[6:9], v27 offset:12288
	v_subrev_nc_u32_e32 v12, s12, v14
	s_mov_b32 s0, 0
	global_load_b128 v[2:5], v[2:3], off
	v_lshl_add_u32 v16, v12, 4, 0x4000
	ds_load_b64 v[12:13], v16
	s_waitcnt vmcnt(0) lgkmcnt(1)
	v_mul_f64 v[10:11], v[4:5], -v[8:9]
	s_delay_alu instid0(VALU_DEP_1)
	v_fma_f64 v[10:11], v[6:7], v[2:3], v[10:11]
.LBB104_160:                            ; =>This Inner Loop Header: Depth=1
	s_waitcnt lgkmcnt(0)
	s_delay_alu instid0(VALU_DEP_1)
	v_add_f64 v[17:18], v[12:13], v[10:11]
	ds_cmpstore_rtn_b64 v[17:18], v16, v[17:18], v[12:13]
	s_waitcnt lgkmcnt(0)
	v_cmp_eq_u64_e32 vcc_lo, v[17:18], v[12:13]
	v_dual_mov_b32 v12, v17 :: v_dual_mov_b32 v13, v18
	s_or_b32 s0, vcc_lo, s0
	s_delay_alu instid0(SALU_CYCLE_1)
	s_and_not1_b32 exec_lo, exec_lo, s0
	s_cbranch_execnz .LBB104_160
; %bb.161:
	s_or_b32 exec_lo, exec_lo, s0
	v_mul_f64 v[4:5], v[4:5], v[6:7]
	s_mov_b32 s0, 0
	s_delay_alu instid0(VALU_DEP_1)
	v_fma_f64 v[2:3], v[8:9], v[2:3], v[4:5]
	ds_load_b64 v[4:5], v16 offset:8
.LBB104_162:                            ; =>This Inner Loop Header: Depth=1
	s_waitcnt lgkmcnt(0)
	v_add_f64 v[6:7], v[4:5], v[2:3]
	ds_cmpstore_rtn_b64 v[6:7], v16, v[6:7], v[4:5] offset:8
	s_waitcnt lgkmcnt(0)
	v_cmp_eq_u64_e32 vcc_lo, v[6:7], v[4:5]
	v_dual_mov_b32 v4, v6 :: v_dual_mov_b32 v5, v7
	s_or_b32 s0, vcc_lo, s0
	s_delay_alu instid0(SALU_CYCLE_1)
	s_and_not1_b32 exec_lo, exec_lo, s0
	s_cbranch_execnz .LBB104_162
; %bb.163:
	s_or_b32 exec_lo, exec_lo, s0
.LBB104_164:
	s_delay_alu instid0(SALU_CYCLE_1)
	s_or_b32 exec_lo, exec_lo, s7
	v_lshlrev_b64 v[2:3], 4, v[14:15]
	ds_load_b128 v[6:9], v27 offset:12288
	v_add_co_u32 v2, vcc_lo, s14, v2
	v_add_co_ci_u32_e32 v3, vcc_lo, s15, v3, vcc_lo
	global_load_b128 v[2:5], v[2:3], off
	s_waitcnt vmcnt(0) lgkmcnt(0)
	v_mul_f64 v[10:11], v[4:5], -v[8:9]
	v_mul_f64 v[12:13], v[4:5], v[6:7]
	s_delay_alu instid0(VALU_DEP_2) | instskip(NEXT) | instid1(VALU_DEP_2)
	v_fma_f64 v[4:5], v[6:7], v[2:3], v[10:11]
	v_fma_f64 v[6:7], v[8:9], v[2:3], v[12:13]
	ds_store_b128 v27, v[4:7] offset:12288
.LBB104_165:
	s_or_b32 exec_lo, exec_lo, s1
	v_cmp_lt_i64_e64 s0, s[18:19], s[2:3]
	s_waitcnt lgkmcnt(0)
	s_barrier
	buffer_gl0_inv
	s_and_b32 s0, s0, exec_lo
	s_cselect_b32 s1, s18, s2
	s_cselect_b32 s0, s19, s3
	s_sub_u32 s2, s1, s22
	s_subb_u32 s3, s0, s23
	s_mov_b32 s0, exec_lo
	v_cmpx_gt_i64_e64 s[2:3], v[0:1]
	s_cbranch_execz .LBB104_172
; %bb.166:
	s_lshl_b64 s[10:11], s[12:13], 4
	v_dual_mov_b32 v11, v1 :: v_dual_mov_b32 v10, v0
	s_add_u32 s7, s20, s10
	s_addc_u32 s10, s21, s11
	s_mov_b32 s11, 0
	s_set_inst_prefetch_distance 0x1
	.p2align	6
.LBB104_167:                            ; =>This Loop Header: Depth=1
                                        ;     Child Loop BB104_168 Depth 2
                                        ;     Child Loop BB104_170 Depth 2
	v_lshlrev_b64 v[2:3], 4, v[10:11]
	s_mov_b32 s12, 0
	s_delay_alu instid0(VALU_DEP_1) | instskip(NEXT) | instid1(VALU_DEP_2)
	v_add_co_u32 v12, vcc_lo, s7, v2
	v_add_co_ci_u32_e32 v13, vcc_lo, s10, v3, vcc_lo
	v_lshl_add_u32 v2, v10, 4, 0x4000
	global_load_b64 v[8:9], v[12:13], off
	ds_load_2addr_b64 v[2:5], v2 offset1:1
.LBB104_168:                            ;   Parent Loop BB104_167 Depth=1
                                        ; =>  This Inner Loop Header: Depth=2
	s_waitcnt vmcnt(0) lgkmcnt(0)
	v_add_f64 v[6:7], v[8:9], v[2:3]
	global_atomic_cmpswap_b64 v[6:7], v[12:13], v[6:9], off glc
	s_waitcnt vmcnt(0)
	v_cmp_eq_u64_e32 vcc_lo, v[6:7], v[8:9]
	v_dual_mov_b32 v9, v7 :: v_dual_mov_b32 v8, v6
	s_or_b32 s12, vcc_lo, s12
	s_delay_alu instid0(SALU_CYCLE_1)
	s_and_not1_b32 exec_lo, exec_lo, s12
	s_cbranch_execnz .LBB104_168
; %bb.169:                              ;   in Loop: Header=BB104_167 Depth=1
	s_or_b32 exec_lo, exec_lo, s12
	global_load_b64 v[8:9], v[12:13], off offset:8
	s_mov_b32 s12, 0
.LBB104_170:                            ;   Parent Loop BB104_167 Depth=1
                                        ; =>  This Inner Loop Header: Depth=2
	s_waitcnt vmcnt(0)
	v_add_f64 v[6:7], v[8:9], v[4:5]
	global_atomic_cmpswap_b64 v[2:3], v[12:13], v[6:9], off offset:8 glc
	s_waitcnt vmcnt(0)
	v_cmp_eq_u64_e32 vcc_lo, v[2:3], v[8:9]
	v_dual_mov_b32 v9, v3 :: v_dual_mov_b32 v8, v2
	s_or_b32 s12, vcc_lo, s12
	s_delay_alu instid0(SALU_CYCLE_1)
	s_and_not1_b32 exec_lo, exec_lo, s12
	s_cbranch_execnz .LBB104_170
; %bb.171:                              ;   in Loop: Header=BB104_167 Depth=1
	s_or_b32 exec_lo, exec_lo, s12
	v_add_co_u32 v10, vcc_lo, 0x100, v10
	v_add_co_ci_u32_e32 v11, vcc_lo, 0, v11, vcc_lo
	s_delay_alu instid0(VALU_DEP_1) | instskip(SKIP_1) | instid1(SALU_CYCLE_1)
	v_cmp_le_i64_e32 vcc_lo, s[2:3], v[10:11]
	s_or_b32 s11, vcc_lo, s11
	s_and_not1_b32 exec_lo, exec_lo, s11
	s_cbranch_execnz .LBB104_167
.LBB104_172:
	s_set_inst_prefetch_distance 0x2
	s_or_b32 exec_lo, exec_lo, s0
	s_add_i32 s0, s28, -1
	v_add_co_u32 v10, s10, s16, v0
	s_ashr_i32 s3, s0, 1
	v_add_co_ci_u32_e64 v11, null, s17, 0, s10
	s_or_b32 s0, s3, s0
	s_delay_alu instid0(SALU_CYCLE_1) | instskip(SKIP_4) | instid1(SALU_CYCLE_1)
	s_ashr_i32 s3, s0, 2
	s_barrier
	s_or_b32 s0, s3, s0
	buffer_gl0_inv
	s_ashr_i32 s3, s0, 4
	s_or_b32 s0, s3, s0
	s_delay_alu instid0(SALU_CYCLE_1) | instskip(NEXT) | instid1(SALU_CYCLE_1)
	s_ashr_i32 s3, s0, 8
	s_or_b32 s0, s3, s0
	s_delay_alu instid0(SALU_CYCLE_1) | instskip(NEXT) | instid1(SALU_CYCLE_1)
	s_ashr_i32 s3, s0, 16
	s_or_b32 s3, s3, s0
	s_mov_b32 s0, -1
	s_add_i32 s3, s3, 1
	s_delay_alu instid0(SALU_CYCLE_1) | instskip(NEXT) | instid1(SALU_CYCLE_1)
	s_ashr_i32 s7, s3, 1
	s_cmp_gt_i32 s7, 1
	s_cbranch_scc1 .LBB104_185
; %bb.173:
	s_mov_b32 s0, exec_lo
	v_cmpx_gt_i64_e64 s[18:19], v[10:11]
	s_cbranch_execz .LBB104_184
; %bb.174:
	s_sub_i32 s1, s1, s18
	v_dual_mov_b32 v13, v11 :: v_dual_mov_b32 v12, v10
	s_lshl_b32 s11, s4, 4
	s_lshl_b32 s1, s1, 4
	s_mov_b32 s10, 0
	s_addk_i32 s1, 0x4000
	s_sub_i32 s11, 0, s11
.LBB104_175:                            ; =>This Loop Header: Depth=1
                                        ;     Child Loop BB104_177 Depth 2
                                        ;     Child Loop BB104_180 Depth 2
                                        ;     Child Loop BB104_182 Depth 2
	v_lshlrev_b64 v[2:3], 3, v[12:13]
	v_mov_b32_e32 v14, 0
	v_mov_b32_e32 v15, 0
	s_delay_alu instid0(VALU_DEP_2) | instskip(SKIP_1) | instid1(VALU_DEP_4)
	v_mov_b32_e32 v6, v14
	s_mov_b32 s12, exec_lo
	v_add_co_u32 v2, vcc_lo, s8, v2
	s_delay_alu instid0(VALU_DEP_3)
	v_mov_b32_e32 v7, v15
	v_add_co_ci_u32_e32 v3, vcc_lo, s9, v3, vcc_lo
	global_load_b128 v[2:5], v[2:3], off
	s_waitcnt vmcnt(0)
	v_cmpx_lt_i64_e64 v[2:3], v[4:5]
	s_cbranch_execz .LBB104_179
; %bb.176:                              ;   in Loop: Header=BB104_175 Depth=1
	v_mov_b32_e32 v14, 0
	v_sub_co_u32 v4, vcc_lo, v4, s4
	v_mov_b32_e32 v15, 0
	v_subrev_co_ci_u32_e32 v5, vcc_lo, s5, v5, vcc_lo
	v_sub_co_u32 v8, vcc_lo, v2, s4
	v_subrev_co_ci_u32_e32 v9, vcc_lo, s5, v3, vcc_lo
	v_lshl_add_u32 v2, v2, 4, s11
	v_dual_mov_b32 v6, v14 :: v_dual_mov_b32 v7, v15
	s_mov_b32 s13, 0
.LBB104_177:                            ;   Parent Loop BB104_175 Depth=1
                                        ; =>  This Inner Loop Header: Depth=2
	ds_load_b128 v[16:19], v2
	v_add_co_u32 v8, vcc_lo, v8, 1
	v_add_co_ci_u32_e32 v9, vcc_lo, 0, v9, vcc_lo
	v_add_nc_u32_e32 v2, 16, v2
	s_delay_alu instid0(VALU_DEP_2)
	v_cmp_ge_i64_e32 vcc_lo, v[8:9], v[4:5]
	s_or_b32 s13, vcc_lo, s13
	s_waitcnt lgkmcnt(0)
	v_add_f64 v[6:7], v[6:7], v[16:17]
	v_add_f64 v[14:15], v[14:15], v[18:19]
	s_and_not1_b32 exec_lo, exec_lo, s13
	s_cbranch_execnz .LBB104_177
; %bb.178:                              ;   in Loop: Header=BB104_175 Depth=1
	s_or_b32 exec_lo, exec_lo, s13
.LBB104_179:                            ;   in Loop: Header=BB104_175 Depth=1
	s_delay_alu instid0(SALU_CYCLE_1) | instskip(SKIP_2) | instid1(VALU_DEP_1)
	s_or_b32 exec_lo, exec_lo, s12
	v_lshlrev_b64 v[2:3], 4, v[12:13]
	s_mov_b32 s12, 0
	v_add_co_u32 v16, vcc_lo, s20, v2
	s_delay_alu instid0(VALU_DEP_2)
	v_add_co_ci_u32_e32 v17, vcc_lo, s21, v3, vcc_lo
	v_lshl_add_u32 v2, v12, 4, s1
	global_load_b64 v[8:9], v[16:17], off
	ds_load_2addr_b64 v[2:5], v2 offset1:1
	s_waitcnt lgkmcnt(0)
	v_add_f64 v[2:3], v[6:7], v[2:3]
.LBB104_180:                            ;   Parent Loop BB104_175 Depth=1
                                        ; =>  This Inner Loop Header: Depth=2
	s_waitcnt vmcnt(0)
	s_delay_alu instid0(VALU_DEP_1)
	v_add_f64 v[6:7], v[8:9], v[2:3]
	global_atomic_cmpswap_b64 v[6:7], v[16:17], v[6:9], off glc
	s_waitcnt vmcnt(0)
	v_cmp_eq_u64_e32 vcc_lo, v[6:7], v[8:9]
	v_dual_mov_b32 v9, v7 :: v_dual_mov_b32 v8, v6
	s_or_b32 s12, vcc_lo, s12
	s_delay_alu instid0(SALU_CYCLE_1)
	s_and_not1_b32 exec_lo, exec_lo, s12
	s_cbranch_execnz .LBB104_180
; %bb.181:                              ;   in Loop: Header=BB104_175 Depth=1
	s_or_b32 exec_lo, exec_lo, s12
	global_load_b64 v[6:7], v[16:17], off offset:8
	v_add_f64 v[2:3], v[14:15], v[4:5]
	s_mov_b32 s12, 0
.LBB104_182:                            ;   Parent Loop BB104_175 Depth=1
                                        ; =>  This Inner Loop Header: Depth=2
	s_waitcnt vmcnt(0)
	s_delay_alu instid0(VALU_DEP_1)
	v_add_f64 v[4:5], v[6:7], v[2:3]
	global_atomic_cmpswap_b64 v[4:5], v[16:17], v[4:7], off offset:8 glc
	s_waitcnt vmcnt(0)
	v_cmp_eq_u64_e32 vcc_lo, v[4:5], v[6:7]
	v_dual_mov_b32 v7, v5 :: v_dual_mov_b32 v6, v4
	s_or_b32 s12, vcc_lo, s12
	s_delay_alu instid0(SALU_CYCLE_1)
	s_and_not1_b32 exec_lo, exec_lo, s12
	s_cbranch_execnz .LBB104_182
; %bb.183:                              ;   in Loop: Header=BB104_175 Depth=1
	s_or_b32 exec_lo, exec_lo, s12
	v_add_co_u32 v12, vcc_lo, v12, s6
	v_add_co_ci_u32_e32 v13, vcc_lo, 0, v13, vcc_lo
	s_delay_alu instid0(VALU_DEP_1) | instskip(SKIP_1) | instid1(SALU_CYCLE_1)
	v_cmp_le_i64_e32 vcc_lo, s[18:19], v[12:13]
	s_or_b32 s10, vcc_lo, s10
	s_and_not1_b32 exec_lo, exec_lo, s10
	s_cbranch_execnz .LBB104_175
.LBB104_184:
	s_or_b32 exec_lo, exec_lo, s0
	s_mov_b32 s0, 0
.LBB104_185:
	s_delay_alu instid0(SALU_CYCLE_1)
	s_and_not1_b32 vcc_lo, exec_lo, s0
	s_cbranch_vccnz .LBB104_216
; %bb.186:
	v_cvt_f32_u32_e32 v6, s7
	s_sub_i32 s1, 0, s7
                                        ; implicit-def: $vgpr12_vgpr13
	s_mov_b32 s0, exec_lo
	v_mov_b32_e32 v15, 0
	s_delay_alu instid0(VALU_DEP_2) | instskip(SKIP_2) | instid1(VALU_DEP_1)
	v_rcp_iflag_f32_e32 v2, v6
	s_waitcnt_depctr 0xfff
	v_mul_f32_e32 v2, 0x4f7ffffe, v2
	v_cvt_u32_f32_e32 v2, v2
	s_delay_alu instid0(VALU_DEP_1) | instskip(NEXT) | instid1(VALU_DEP_1)
	v_mul_lo_u32 v3, s1, v2
	v_mul_hi_u32 v3, v2, v3
	s_delay_alu instid0(VALU_DEP_1) | instskip(NEXT) | instid1(VALU_DEP_1)
	v_add_nc_u32_e32 v2, v2, v3
	v_mul_hi_u32 v2, v0, v2
	s_delay_alu instid0(VALU_DEP_1) | instskip(SKIP_1) | instid1(VALU_DEP_2)
	v_mul_lo_u32 v3, v2, s7
	v_add_nc_u32_e32 v4, 1, v2
	v_sub_nc_u32_e32 v3, v0, v3
	s_delay_alu instid0(VALU_DEP_1) | instskip(SKIP_1) | instid1(VALU_DEP_2)
	v_subrev_nc_u32_e32 v5, s7, v3
	v_cmp_le_u32_e32 vcc_lo, s7, v3
	v_dual_cndmask_b32 v2, v2, v4 :: v_dual_cndmask_b32 v3, v3, v5
	s_delay_alu instid0(VALU_DEP_1) | instskip(NEXT) | instid1(VALU_DEP_2)
	v_add_nc_u32_e32 v4, 1, v2
	v_cmp_le_u32_e32 vcc_lo, s7, v3
	s_delay_alu instid0(VALU_DEP_2) | instskip(NEXT) | instid1(VALU_DEP_1)
	v_cndmask_b32_e32 v14, v2, v4, vcc_lo
	v_lshlrev_b64 v[2:3], 3, v[14:15]
	s_delay_alu instid0(VALU_DEP_1) | instskip(NEXT) | instid1(VALU_DEP_2)
	v_add_co_u32 v2, vcc_lo, s26, v2
	v_add_co_ci_u32_e32 v3, vcc_lo, s27, v3, vcc_lo
	global_load_b128 v[2:5], v[2:3], off
	s_waitcnt vmcnt(0)
	v_sub_co_u32 v7, vcc_lo, v2, s4
	v_subrev_co_ci_u32_e32 v8, vcc_lo, s5, v3, vcc_lo
	v_mov_b32_e32 v3, v15
	v_sub_co_u32 v9, vcc_lo, v4, s4
	v_subrev_co_ci_u32_e32 v18, vcc_lo, s5, v5, vcc_lo
	s_delay_alu instid0(VALU_DEP_2) | instskip(NEXT) | instid1(VALU_DEP_2)
	v_sub_co_u32 v5, vcc_lo, v9, v7
	v_sub_co_ci_u32_e32 v4, vcc_lo, v18, v8, vcc_lo
	s_delay_alu instid0(VALU_DEP_1)
	v_cmpx_ne_u64_e32 0, v[3:4]
	s_xor_b32 s5, exec_lo, s0
	s_cbranch_execz .LBB104_188
; %bb.187:
	v_cvt_f32_ubyte0_e32 v3, 0
	s_sub_u32 s0, 0, s7
	s_subb_u32 s6, 0, 0
	s_delay_alu instid0(VALU_DEP_1) | instskip(NEXT) | instid1(VALU_DEP_1)
	v_fmamk_f32 v3, v3, 0x4f800000, v6
	v_rcp_f32_e32 v3, v3
	s_waitcnt_depctr 0xfff
	v_mul_f32_e32 v3, 0x5f7ffffc, v3
	s_delay_alu instid0(VALU_DEP_1) | instskip(NEXT) | instid1(VALU_DEP_1)
	v_mul_f32_e32 v6, 0x2f800000, v3
	v_trunc_f32_e32 v6, v6
	s_delay_alu instid0(VALU_DEP_1) | instskip(SKIP_1) | instid1(VALU_DEP_2)
	v_fmamk_f32 v3, v6, 0xcf800000, v3
	v_cvt_u32_f32_e32 v6, v6
	v_cvt_u32_f32_e32 v3, v3
	s_delay_alu instid0(VALU_DEP_2) | instskip(NEXT) | instid1(VALU_DEP_2)
	v_mul_lo_u32 v12, s0, v6
	v_mul_hi_u32 v13, s0, v3
	v_mul_lo_u32 v16, s6, v3
	s_delay_alu instid0(VALU_DEP_2) | instskip(SKIP_1) | instid1(VALU_DEP_2)
	v_add_nc_u32_e32 v12, v13, v12
	v_mul_lo_u32 v13, s0, v3
	v_add_nc_u32_e32 v12, v12, v16
	s_delay_alu instid0(VALU_DEP_2) | instskip(NEXT) | instid1(VALU_DEP_2)
	v_mul_hi_u32 v16, v3, v13
	v_mul_lo_u32 v17, v3, v12
	v_mul_hi_u32 v19, v3, v12
	v_mul_hi_u32 v20, v6, v13
	v_mul_lo_u32 v13, v6, v13
	v_mul_hi_u32 v21, v6, v12
	v_mul_lo_u32 v12, v6, v12
	v_add_co_u32 v16, vcc_lo, v16, v17
	v_add_co_ci_u32_e32 v17, vcc_lo, 0, v19, vcc_lo
	s_delay_alu instid0(VALU_DEP_2) | instskip(NEXT) | instid1(VALU_DEP_2)
	v_add_co_u32 v13, vcc_lo, v16, v13
	v_add_co_ci_u32_e32 v13, vcc_lo, v17, v20, vcc_lo
	v_add_co_ci_u32_e32 v16, vcc_lo, 0, v21, vcc_lo
	v_ashrrev_i32_e32 v20, 31, v4
	s_delay_alu instid0(VALU_DEP_3) | instskip(NEXT) | instid1(VALU_DEP_3)
	v_add_co_u32 v12, vcc_lo, v13, v12
	v_add_co_ci_u32_e32 v13, vcc_lo, 0, v16, vcc_lo
	s_delay_alu instid0(VALU_DEP_2) | instskip(NEXT) | instid1(VALU_DEP_2)
	v_add_co_u32 v3, vcc_lo, v3, v12
	v_add_co_ci_u32_e32 v6, vcc_lo, v6, v13, vcc_lo
	s_delay_alu instid0(VALU_DEP_2) | instskip(SKIP_1) | instid1(VALU_DEP_3)
	v_mul_hi_u32 v12, s0, v3
	v_mul_lo_u32 v16, s6, v3
	v_mul_lo_u32 v13, s0, v6
	s_delay_alu instid0(VALU_DEP_1) | instskip(SKIP_1) | instid1(VALU_DEP_2)
	v_add_nc_u32_e32 v12, v12, v13
	v_mul_lo_u32 v13, s0, v3
	v_add_nc_u32_e32 v12, v12, v16
	s_delay_alu instid0(VALU_DEP_2) | instskip(NEXT) | instid1(VALU_DEP_2)
	v_mul_hi_u32 v16, v3, v13
	v_mul_lo_u32 v17, v3, v12
	v_mul_hi_u32 v19, v3, v12
	v_mul_hi_u32 v21, v6, v13
	v_mul_lo_u32 v13, v6, v13
	v_mul_hi_u32 v22, v6, v12
	v_mul_lo_u32 v12, v6, v12
	v_add_co_u32 v16, vcc_lo, v16, v17
	v_add_co_ci_u32_e32 v17, vcc_lo, 0, v19, vcc_lo
	s_delay_alu instid0(VALU_DEP_2) | instskip(NEXT) | instid1(VALU_DEP_2)
	v_add_co_u32 v13, vcc_lo, v16, v13
	v_add_co_ci_u32_e32 v13, vcc_lo, v17, v21, vcc_lo
	v_add_co_ci_u32_e32 v16, vcc_lo, 0, v22, vcc_lo
	v_add_co_u32 v5, vcc_lo, v5, v20
	v_add_co_ci_u32_e32 v4, vcc_lo, v4, v20, vcc_lo
	s_delay_alu instid0(VALU_DEP_4) | instskip(NEXT) | instid1(VALU_DEP_4)
	v_add_co_u32 v12, vcc_lo, v13, v12
	v_add_co_ci_u32_e32 v13, vcc_lo, 0, v16, vcc_lo
	s_delay_alu instid0(VALU_DEP_4) | instskip(NEXT) | instid1(VALU_DEP_3)
	v_xor_b32_e32 v16, v5, v20
	v_add_co_u32 v12, vcc_lo, v3, v12
	s_delay_alu instid0(VALU_DEP_3) | instskip(SKIP_1) | instid1(VALU_DEP_3)
	v_add_co_ci_u32_e32 v17, vcc_lo, v6, v13, vcc_lo
	v_xor_b32_e32 v19, v4, v20
	v_mul_hi_u32 v21, v16, v12
	s_delay_alu instid0(VALU_DEP_3) | instskip(NEXT) | instid1(VALU_DEP_3)
	v_mad_u64_u32 v[3:4], null, v16, v17, 0
	v_mad_u64_u32 v[5:6], null, v19, v12, 0
	;; [unrolled: 1-line block ×3, first 2 shown]
	s_delay_alu instid0(VALU_DEP_3) | instskip(NEXT) | instid1(VALU_DEP_4)
	v_add_co_u32 v3, vcc_lo, v21, v3
	v_add_co_ci_u32_e32 v4, vcc_lo, 0, v4, vcc_lo
	s_delay_alu instid0(VALU_DEP_2) | instskip(NEXT) | instid1(VALU_DEP_2)
	v_add_co_u32 v3, vcc_lo, v3, v5
	v_add_co_ci_u32_e32 v3, vcc_lo, v4, v6, vcc_lo
	v_add_co_ci_u32_e32 v4, vcc_lo, 0, v13, vcc_lo
	s_delay_alu instid0(VALU_DEP_2) | instskip(NEXT) | instid1(VALU_DEP_2)
	v_add_co_u32 v12, vcc_lo, v3, v12
	v_add_co_ci_u32_e32 v13, vcc_lo, 0, v4, vcc_lo
	s_delay_alu instid0(VALU_DEP_2) | instskip(NEXT) | instid1(VALU_DEP_1)
	v_mad_u64_u32 v[3:4], null, s7, v12, 0
	v_mad_u64_u32 v[5:6], null, s7, v13, v[4:5]
	s_delay_alu instid0(VALU_DEP_2) | instskip(NEXT) | instid1(VALU_DEP_2)
	v_sub_co_u32 v3, vcc_lo, v16, v3
	v_sub_co_ci_u32_e32 v4, vcc_lo, v19, v5, vcc_lo
	s_delay_alu instid0(VALU_DEP_2) | instskip(NEXT) | instid1(VALU_DEP_2)
	v_sub_co_u32 v5, vcc_lo, v3, s7
	v_subrev_co_ci_u32_e32 v6, vcc_lo, 0, v4, vcc_lo
	s_delay_alu instid0(VALU_DEP_2)
	v_cmp_le_u32_e32 vcc_lo, s7, v5
	v_cmp_eq_u32_e64 s0, 0, v4
	v_cndmask_b32_e64 v5, 0, -1, vcc_lo
	v_add_co_u32 v16, vcc_lo, v12, 2
	v_add_co_ci_u32_e32 v17, vcc_lo, 0, v13, vcc_lo
	v_cmp_le_u32_e32 vcc_lo, s7, v3
	v_cndmask_b32_e64 v3, 0, -1, vcc_lo
	v_cmp_eq_u32_e32 vcc_lo, 0, v6
	s_delay_alu instid0(VALU_DEP_2) | instskip(SKIP_3) | instid1(VALU_DEP_3)
	v_cndmask_b32_e64 v3, -1, v3, s0
	v_cndmask_b32_e32 v5, -1, v5, vcc_lo
	v_add_co_u32 v6, vcc_lo, v12, 1
	v_add_co_ci_u32_e32 v19, vcc_lo, 0, v13, vcc_lo
	v_cmp_ne_u32_e32 vcc_lo, 0, v5
	s_delay_alu instid0(VALU_DEP_2) | instskip(SKIP_1) | instid1(VALU_DEP_2)
	v_dual_cndmask_b32 v4, v19, v17 :: v_dual_cndmask_b32 v5, v6, v16
	v_cmp_ne_u32_e32 vcc_lo, 0, v3
	v_dual_cndmask_b32 v3, v13, v4 :: v_dual_cndmask_b32 v4, v12, v5
                                        ; implicit-def: $vgpr5
	s_delay_alu instid0(VALU_DEP_1) | instskip(NEXT) | instid1(VALU_DEP_2)
	v_xor_b32_e32 v3, v3, v20
	v_xor_b32_e32 v4, v4, v20
	s_delay_alu instid0(VALU_DEP_1) | instskip(NEXT) | instid1(VALU_DEP_3)
	v_sub_co_u32 v12, vcc_lo, v4, v20
	v_sub_co_ci_u32_e32 v13, vcc_lo, v3, v20, vcc_lo
.LBB104_188:
	s_and_not1_saveexec_b32 s0, s5
	s_cbranch_execz .LBB104_190
; %bb.189:
	v_cvt_f32_u32_e32 v3, s7
	v_mov_b32_e32 v13, 0
	s_delay_alu instid0(VALU_DEP_2) | instskip(SKIP_2) | instid1(VALU_DEP_1)
	v_rcp_iflag_f32_e32 v3, v3
	s_waitcnt_depctr 0xfff
	v_mul_f32_e32 v3, 0x4f7ffffe, v3
	v_cvt_u32_f32_e32 v3, v3
	s_delay_alu instid0(VALU_DEP_1) | instskip(NEXT) | instid1(VALU_DEP_1)
	v_mul_lo_u32 v4, s1, v3
	v_mul_hi_u32 v4, v3, v4
	s_delay_alu instid0(VALU_DEP_1) | instskip(NEXT) | instid1(VALU_DEP_1)
	v_add_nc_u32_e32 v3, v3, v4
	v_mul_hi_u32 v3, v5, v3
	s_delay_alu instid0(VALU_DEP_1) | instskip(NEXT) | instid1(VALU_DEP_1)
	v_mul_lo_u32 v4, v3, s7
	v_sub_nc_u32_e32 v4, v5, v4
	v_add_nc_u32_e32 v5, 1, v3
	s_delay_alu instid0(VALU_DEP_2) | instskip(SKIP_1) | instid1(VALU_DEP_2)
	v_subrev_nc_u32_e32 v6, s7, v4
	v_cmp_le_u32_e32 vcc_lo, s7, v4
	v_dual_cndmask_b32 v4, v4, v6 :: v_dual_cndmask_b32 v3, v3, v5
	s_delay_alu instid0(VALU_DEP_1) | instskip(NEXT) | instid1(VALU_DEP_2)
	v_cmp_le_u32_e32 vcc_lo, s7, v4
	v_add_nc_u32_e32 v5, 1, v3
	s_delay_alu instid0(VALU_DEP_1)
	v_cndmask_b32_e32 v12, v3, v5, vcc_lo
.LBB104_190:
	s_or_b32 exec_lo, exec_lo, s0
	v_mov_b32_e32 v5, 0
	v_mov_b32_e32 v6, 0
	s_delay_alu instid0(VALU_DEP_2) | instskip(SKIP_1) | instid1(VALU_DEP_2)
	v_mov_b32_e32 v3, v5
	s_mov_b32 s5, exec_lo
	v_mov_b32_e32 v4, v6
	v_cmpx_gt_i64_e64 s[22:23], v[14:15]
	s_cbranch_execz .LBB104_204
; %bb.191:
	s_add_i32 s0, s7, -1
	s_delay_alu instid0(SALU_CYCLE_1) | instskip(SKIP_1) | instid1(VALU_DEP_2)
	v_dual_mov_b32 v5, 0 :: v_dual_and_b32 v14, s0, v0
	v_mov_b32_e32 v6, 0
	v_mov_b32_e32 v3, v5
	s_mov_b32 s6, exec_lo
	s_delay_alu instid0(VALU_DEP_2)
	v_mov_b32_e32 v4, v6
	v_cmpx_lt_i64_e32 0, v[12:13]
	s_cbranch_execz .LBB104_201
; %bb.192:
	v_mov_b32_e32 v3, 0
	v_dual_mov_b32 v4, 0 :: v_dual_mov_b32 v15, 0
	s_mov_b32 s8, exec_lo
	v_mov_b32_e32 v16, 0
	s_delay_alu instid0(VALU_DEP_2)
	v_dual_mov_b32 v6, v4 :: v_dual_mov_b32 v5, v3
	v_cmpx_lt_u64_e32 3, v[12:13]
	s_cbranch_execz .LBB104_196
; %bb.193:
	v_add_nc_u32_e32 v3, v14, v2
	v_dual_mov_b32 v5, 0 :: v_dual_and_b32 v16, 0x7fffffff, v13
	v_dual_mov_b32 v6, 0 :: v_dual_and_b32 v15, -4, v12
	s_delay_alu instid0(VALU_DEP_3)
	v_subrev_nc_u32_e32 v3, s4, v3
	s_lshl_b32 s9, s7, 6
	s_lshl_b32 s10, s7, 4
	s_mov_b64 s[0:1], 0
	s_mov_b32 s11, 0
	v_lshlrev_b32_e32 v17, 4, v3
	v_dual_mov_b32 v3, v5 :: v_dual_mov_b32 v4, v6
	s_set_inst_prefetch_distance 0x1
	.p2align	6
.LBB104_194:                            ; =>This Inner Loop Header: Depth=1
	ds_load_b128 v[19:22], v17
	v_add_nc_u32_e32 v32, s10, v17
	s_add_u32 s0, s0, 4
	s_addc_u32 s1, s1, 0
	s_delay_alu instid0(SALU_CYCLE_1) | instskip(NEXT) | instid1(VALU_DEP_2)
	v_cmp_eq_u64_e32 vcc_lo, s[0:1], v[15:16]
	v_add_nc_u32_e32 v33, s10, v32
	s_or_b32 s11, vcc_lo, s11
	s_delay_alu instid0(VALU_DEP_1)
	v_add_nc_u32_e32 v23, s10, v33
	ds_load_b128 v[23:26], v23
	v_add_nc_u32_e32 v17, s9, v17
	s_waitcnt lgkmcnt(1)
	v_add_f64 v[28:29], v[3:4], v[19:20]
	v_add_f64 v[30:31], v[5:6], v[21:22]
	ds_load_b128 v[3:6], v32
	ds_load_b128 v[19:22], v33
	s_waitcnt lgkmcnt(1)
	v_add_f64 v[3:4], v[28:29], v[3:4]
	v_add_f64 v[5:6], v[30:31], v[5:6]
	s_waitcnt lgkmcnt(0)
	s_delay_alu instid0(VALU_DEP_2) | instskip(NEXT) | instid1(VALU_DEP_2)
	v_add_f64 v[3:4], v[3:4], v[19:20]
	v_add_f64 v[5:6], v[5:6], v[21:22]
	s_delay_alu instid0(VALU_DEP_2) | instskip(NEXT) | instid1(VALU_DEP_2)
	v_add_f64 v[3:4], v[3:4], v[23:24]
	v_add_f64 v[5:6], v[5:6], v[25:26]
	s_and_not1_b32 exec_lo, exec_lo, s11
	s_cbranch_execnz .LBB104_194
; %bb.195:
	s_set_inst_prefetch_distance 0x2
	s_or_b32 exec_lo, exec_lo, s11
.LBB104_196:
	s_delay_alu instid0(SALU_CYCLE_1) | instskip(SKIP_2) | instid1(VALU_DEP_1)
	s_or_b32 exec_lo, exec_lo, s8
	v_dual_mov_b32 v17, 0 :: v_dual_and_b32 v16, 3, v12
	s_mov_b32 s0, exec_lo
	v_cmpx_ne_u64_e32 0, v[16:17]
	s_cbranch_execz .LBB104_200
; %bb.197:
	v_mul_lo_u32 v15, s7, v15
	s_mov_b32 s1, 0
	s_delay_alu instid0(VALU_DEP_1) | instskip(NEXT) | instid1(VALU_DEP_1)
	v_add3_u32 v2, v14, v15, v2
	v_subrev_nc_u32_e32 v2, s4, v2
	s_lshl_b32 s4, s7, 4
	s_delay_alu instid0(VALU_DEP_1)
	v_lshlrev_b32_e32 v2, 4, v2
.LBB104_198:                            ; =>This Inner Loop Header: Depth=1
	ds_load_b128 v[19:22], v2
	v_add_co_u32 v16, vcc_lo, v16, -1
	v_add_co_ci_u32_e32 v17, vcc_lo, -1, v17, vcc_lo
	v_add_nc_u32_e32 v2, s4, v2
	s_delay_alu instid0(VALU_DEP_2)
	v_cmp_eq_u64_e32 vcc_lo, 0, v[16:17]
	s_or_b32 s1, vcc_lo, s1
	s_waitcnt lgkmcnt(0)
	v_add_f64 v[3:4], v[3:4], v[19:20]
	v_add_f64 v[5:6], v[5:6], v[21:22]
	s_and_not1_b32 exec_lo, exec_lo, s1
	s_cbranch_execnz .LBB104_198
; %bb.199:
	s_or_b32 exec_lo, exec_lo, s1
.LBB104_200:
	s_delay_alu instid0(SALU_CYCLE_1)
	s_or_b32 exec_lo, exec_lo, s0
.LBB104_201:
	s_delay_alu instid0(SALU_CYCLE_1) | instskip(SKIP_2) | instid1(VALU_DEP_1)
	s_or_b32 exec_lo, exec_lo, s6
	v_mad_u64_u32 v[16:17], null, v12, s7, v[7:8]
	s_mov_b32 s0, exec_lo
	v_dual_mov_b32 v15, 0 :: v_dual_mov_b32 v2, v17
	s_delay_alu instid0(VALU_DEP_1) | instskip(NEXT) | instid1(VALU_DEP_1)
	v_mad_u64_u32 v[7:8], null, v13, s7, v[2:3]
	v_mov_b32_e32 v2, v7
	s_delay_alu instid0(VALU_DEP_4) | instskip(NEXT) | instid1(VALU_DEP_2)
	v_sub_co_u32 v7, vcc_lo, v9, v16
	v_sub_co_ci_u32_e32 v8, vcc_lo, v18, v2, vcc_lo
	s_delay_alu instid0(VALU_DEP_1)
	v_cmpx_gt_i64_e64 v[7:8], v[14:15]
	s_cbranch_execz .LBB104_203
; %bb.202:
	v_add_lshl_u32 v2, v14, v16, 4
	ds_load_b128 v[12:15], v2
	s_waitcnt lgkmcnt(0)
	v_add_f64 v[3:4], v[3:4], v[12:13]
	v_add_f64 v[5:6], v[5:6], v[14:15]
.LBB104_203:
	s_or_b32 exec_lo, exec_lo, s0
.LBB104_204:
	s_delay_alu instid0(SALU_CYCLE_1)
	s_or_b32 exec_lo, exec_lo, s5
	v_cmp_gt_i64_e32 vcc_lo, s[22:23], v[0:1]
	s_barrier
	buffer_gl0_inv
	ds_store_b128 v27, v[3:6]
	s_waitcnt lgkmcnt(0)
	s_barrier
	buffer_gl0_inv
	s_and_b32 exec_lo, exec_lo, vcc_lo
	s_cbranch_execz .LBB104_216
; %bb.205:
	v_mul_lo_u32 v1, s7, v0
	v_mov_b32_e32 v4, 0
	v_mov_b32_e32 v5, 0
	s_cmp_lt_u32 s7, 8
	s_cbranch_scc1 .LBB104_208
; %bb.206:
	v_mov_b32_e32 v8, 0
	s_delay_alu instid0(VALU_DEP_4) | instskip(NEXT) | instid1(VALU_DEP_2)
	v_dual_mov_b32 v9, 0 :: v_dual_lshlrev_b32 v2, 4, v1
	v_mov_b32_e32 v4, v8
	s_and_b32 s0, s7, 0x7ffffff8
	s_mov_b32 s1, 0
	s_delay_alu instid0(VALU_DEP_2)
	v_mov_b32_e32 v5, v9
.LBB104_207:                            ; =>This Inner Loop Header: Depth=1
	ds_load_b128 v[12:15], v2
	ds_load_b128 v[16:19], v2 offset:16
	s_add_i32 s1, s1, 8
	s_delay_alu instid0(SALU_CYCLE_1) | instskip(SKIP_4) | instid1(VALU_DEP_2)
	s_cmp_eq_u32 s0, s1
	s_waitcnt lgkmcnt(1)
	v_add_f64 v[3:4], v[4:5], v[12:13]
	v_add_f64 v[5:6], v[8:9], v[14:15]
	s_waitcnt lgkmcnt(0)
	v_add_f64 v[7:8], v[3:4], v[16:17]
	s_delay_alu instid0(VALU_DEP_2)
	v_add_f64 v[16:17], v[5:6], v[18:19]
	ds_load_b128 v[3:6], v2 offset:32
	ds_load_b128 v[12:15], v2 offset:48
	s_waitcnt lgkmcnt(1)
	v_add_f64 v[3:4], v[7:8], v[3:4]
	v_add_f64 v[5:6], v[16:17], v[5:6]
	s_waitcnt lgkmcnt(0)
	s_delay_alu instid0(VALU_DEP_2) | instskip(NEXT) | instid1(VALU_DEP_2)
	v_add_f64 v[7:8], v[3:4], v[12:13]
	v_add_f64 v[16:17], v[5:6], v[14:15]
	ds_load_b128 v[3:6], v2 offset:64
	ds_load_b128 v[12:15], v2 offset:80
	s_waitcnt lgkmcnt(1)
	v_add_f64 v[3:4], v[7:8], v[3:4]
	v_add_f64 v[5:6], v[16:17], v[5:6]
	s_waitcnt lgkmcnt(0)
	s_delay_alu instid0(VALU_DEP_2) | instskip(NEXT) | instid1(VALU_DEP_2)
	v_add_f64 v[7:8], v[3:4], v[12:13]
	v_add_f64 v[16:17], v[5:6], v[14:15]
	ds_load_b128 v[3:6], v2 offset:96
	ds_load_b128 v[12:15], v2 offset:112
	v_add_nc_u32_e32 v2, 0x80, v2
	s_waitcnt lgkmcnt(1)
	v_add_f64 v[3:4], v[7:8], v[3:4]
	v_add_f64 v[6:7], v[16:17], v[5:6]
	s_waitcnt lgkmcnt(0)
	s_delay_alu instid0(VALU_DEP_2) | instskip(NEXT) | instid1(VALU_DEP_2)
	v_add_f64 v[4:5], v[3:4], v[12:13]
	v_add_f64 v[8:9], v[6:7], v[14:15]
	s_cbranch_scc0 .LBB104_207
	s_branch .LBB104_209
.LBB104_208:
	s_delay_alu instid0(VALU_DEP_1)
	v_dual_mov_b32 v9, v5 :: v_dual_mov_b32 v8, v4
	s_mov_b32 s0, 0
.LBB104_209:
	s_bfe_u32 s1, s3, 0x30001
	s_delay_alu instid0(SALU_CYCLE_1)
	s_cmp_eq_u32 s1, 0
	s_cbranch_scc1 .LBB104_212
; %bb.210:
	v_add_lshl_u32 v1, s0, v1, 4
.LBB104_211:                            ; =>This Inner Loop Header: Depth=1
	ds_load_b128 v[12:15], v1
	v_add_nc_u32_e32 v1, 16, v1
	s_add_i32 s1, s1, -1
	s_delay_alu instid0(SALU_CYCLE_1)
	s_cmp_lg_u32 s1, 0
	s_waitcnt lgkmcnt(0)
	v_add_f64 v[4:5], v[4:5], v[12:13]
	v_add_f64 v[8:9], v[8:9], v[14:15]
	s_cbranch_scc1 .LBB104_211
.LBB104_212:
	v_lshlrev_b64 v[1:2], 4, v[10:11]
	v_lshlrev_b32_e32 v0, 4, v0
	s_lshl_b32 s0, s2, 4
	s_delay_alu instid0(VALU_DEP_1) | instid1(SALU_CYCLE_1)
	v_add3_u32 v0, 0x4000, s0, v0
	s_delay_alu instid0(VALU_DEP_3) | instskip(NEXT) | instid1(VALU_DEP_4)
	v_add_co_u32 v10, vcc_lo, s20, v1
	v_add_co_ci_u32_e32 v11, vcc_lo, s21, v2, vcc_lo
	ds_load_2addr_b64 v[0:3], v0 offset1:1
	s_mov_b32 s0, 0
	global_load_b64 v[6:7], v[10:11], off
	s_waitcnt lgkmcnt(0)
	v_add_f64 v[0:1], v[4:5], v[0:1]
.LBB104_213:                            ; =>This Inner Loop Header: Depth=1
	s_waitcnt vmcnt(0)
	s_delay_alu instid0(VALU_DEP_1)
	v_add_f64 v[4:5], v[6:7], v[0:1]
	global_atomic_cmpswap_b64 v[4:5], v[10:11], v[4:7], off glc
	s_waitcnt vmcnt(0)
	v_cmp_eq_u64_e32 vcc_lo, v[4:5], v[6:7]
	v_dual_mov_b32 v7, v5 :: v_dual_mov_b32 v6, v4
	s_or_b32 s0, vcc_lo, s0
	s_delay_alu instid0(SALU_CYCLE_1)
	s_and_not1_b32 exec_lo, exec_lo, s0
	s_cbranch_execnz .LBB104_213
; %bb.214:
	s_or_b32 exec_lo, exec_lo, s0
	global_load_b64 v[4:5], v[10:11], off offset:8
	v_add_f64 v[0:1], v[8:9], v[2:3]
	s_mov_b32 s0, 0
.LBB104_215:                            ; =>This Inner Loop Header: Depth=1
	s_waitcnt vmcnt(0)
	s_delay_alu instid0(VALU_DEP_1)
	v_add_f64 v[2:3], v[4:5], v[0:1]
	global_atomic_cmpswap_b64 v[2:3], v[10:11], v[2:5], off offset:8 glc
	s_waitcnt vmcnt(0)
	v_cmp_eq_u64_e32 vcc_lo, v[2:3], v[4:5]
	v_dual_mov_b32 v5, v3 :: v_dual_mov_b32 v4, v2
	s_or_b32 s0, vcc_lo, s0
	s_delay_alu instid0(SALU_CYCLE_1)
	s_and_not1_b32 exec_lo, exec_lo, s0
	s_cbranch_execnz .LBB104_215
.LBB104_216:
	s_endpgm
	.section	.rodata,"a",@progbits
	.p2align	6, 0x0
	.amdhsa_kernel _ZN9rocsparseL27csrmvn_symm_adaptive_kernelIlid21rocsparse_complex_numIdES2_S2_EEvbT_S3_PKS3_NS_24const_host_device_scalarIT4_EES5_PKT0_PKT1_PKT2_S8_PT3_21rocsparse_index_base_b
		.amdhsa_group_segment_fixed_size 16384
		.amdhsa_private_segment_fixed_size 24
		.amdhsa_kernarg_size 368
		.amdhsa_user_sgpr_count 15
		.amdhsa_user_sgpr_dispatch_ptr 0
		.amdhsa_user_sgpr_queue_ptr 0
		.amdhsa_user_sgpr_kernarg_segment_ptr 1
		.amdhsa_user_sgpr_dispatch_id 0
		.amdhsa_user_sgpr_private_segment_size 0
		.amdhsa_wavefront_size32 1
		.amdhsa_uses_dynamic_stack 0
		.amdhsa_enable_private_segment 1
		.amdhsa_system_sgpr_workgroup_id_x 1
		.amdhsa_system_sgpr_workgroup_id_y 0
		.amdhsa_system_sgpr_workgroup_id_z 0
		.amdhsa_system_sgpr_workgroup_info 0
		.amdhsa_system_vgpr_workitem_id 0
		.amdhsa_next_free_vgpr 34
		.amdhsa_next_free_sgpr 41
		.amdhsa_reserve_vcc 1
		.amdhsa_float_round_mode_32 0
		.amdhsa_float_round_mode_16_64 0
		.amdhsa_float_denorm_mode_32 3
		.amdhsa_float_denorm_mode_16_64 3
		.amdhsa_dx10_clamp 1
		.amdhsa_ieee_mode 1
		.amdhsa_fp16_overflow 0
		.amdhsa_workgroup_processor_mode 1
		.amdhsa_memory_ordered 1
		.amdhsa_forward_progress 0
		.amdhsa_shared_vgpr_count 0
		.amdhsa_exception_fp_ieee_invalid_op 0
		.amdhsa_exception_fp_denorm_src 0
		.amdhsa_exception_fp_ieee_div_zero 0
		.amdhsa_exception_fp_ieee_overflow 0
		.amdhsa_exception_fp_ieee_underflow 0
		.amdhsa_exception_fp_ieee_inexact 0
		.amdhsa_exception_int_div_zero 0
	.end_amdhsa_kernel
	.section	.text._ZN9rocsparseL27csrmvn_symm_adaptive_kernelIlid21rocsparse_complex_numIdES2_S2_EEvbT_S3_PKS3_NS_24const_host_device_scalarIT4_EES5_PKT0_PKT1_PKT2_S8_PT3_21rocsparse_index_base_b,"axG",@progbits,_ZN9rocsparseL27csrmvn_symm_adaptive_kernelIlid21rocsparse_complex_numIdES2_S2_EEvbT_S3_PKS3_NS_24const_host_device_scalarIT4_EES5_PKT0_PKT1_PKT2_S8_PT3_21rocsparse_index_base_b,comdat
.Lfunc_end104:
	.size	_ZN9rocsparseL27csrmvn_symm_adaptive_kernelIlid21rocsparse_complex_numIdES2_S2_EEvbT_S3_PKS3_NS_24const_host_device_scalarIT4_EES5_PKT0_PKT1_PKT2_S8_PT3_21rocsparse_index_base_b, .Lfunc_end104-_ZN9rocsparseL27csrmvn_symm_adaptive_kernelIlid21rocsparse_complex_numIdES2_S2_EEvbT_S3_PKS3_NS_24const_host_device_scalarIT4_EES5_PKT0_PKT1_PKT2_S8_PT3_21rocsparse_index_base_b
                                        ; -- End function
	.section	.AMDGPU.csdata,"",@progbits
; Kernel info:
; codeLenInByte = 12632
; NumSgprs: 43
; NumVgprs: 34
; ScratchSize: 24
; MemoryBound: 0
; FloatMode: 240
; IeeeMode: 1
; LDSByteSize: 16384 bytes/workgroup (compile time only)
; SGPRBlocks: 5
; VGPRBlocks: 4
; NumSGPRsForWavesPerEU: 43
; NumVGPRsForWavesPerEU: 34
; Occupancy: 16
; WaveLimiterHint : 1
; COMPUTE_PGM_RSRC2:SCRATCH_EN: 1
; COMPUTE_PGM_RSRC2:USER_SGPR: 15
; COMPUTE_PGM_RSRC2:TRAP_HANDLER: 0
; COMPUTE_PGM_RSRC2:TGID_X_EN: 1
; COMPUTE_PGM_RSRC2:TGID_Y_EN: 0
; COMPUTE_PGM_RSRC2:TGID_Z_EN: 0
; COMPUTE_PGM_RSRC2:TIDIG_COMP_CNT: 0
	.section	.text._ZL33csrmvn_symm_large_adaptive_kernelIlid21rocsparse_complex_numIdES1_S1_EvbT_PKS2_N9rocsparse24const_host_device_scalarIT4_EES4_PKT0_PKT1_PKT2_S8_PT3_21rocsparse_index_base_b,"axG",@progbits,_ZL33csrmvn_symm_large_adaptive_kernelIlid21rocsparse_complex_numIdES1_S1_EvbT_PKS2_N9rocsparse24const_host_device_scalarIT4_EES4_PKT0_PKT1_PKT2_S8_PT3_21rocsparse_index_base_b,comdat
	.globl	_ZL33csrmvn_symm_large_adaptive_kernelIlid21rocsparse_complex_numIdES1_S1_EvbT_PKS2_N9rocsparse24const_host_device_scalarIT4_EES4_PKT0_PKT1_PKT2_S8_PT3_21rocsparse_index_base_b ; -- Begin function _ZL33csrmvn_symm_large_adaptive_kernelIlid21rocsparse_complex_numIdES1_S1_EvbT_PKS2_N9rocsparse24const_host_device_scalarIT4_EES4_PKT0_PKT1_PKT2_S8_PT3_21rocsparse_index_base_b
	.p2align	8
	.type	_ZL33csrmvn_symm_large_adaptive_kernelIlid21rocsparse_complex_numIdES1_S1_EvbT_PKS2_N9rocsparse24const_host_device_scalarIT4_EES4_PKT0_PKT1_PKT2_S8_PT3_21rocsparse_index_base_b,@function
_ZL33csrmvn_symm_large_adaptive_kernelIlid21rocsparse_complex_numIdES1_S1_EvbT_PKS2_N9rocsparse24const_host_device_scalarIT4_EES4_PKT0_PKT1_PKT2_S8_PT3_21rocsparse_index_base_b: ; @_ZL33csrmvn_symm_large_adaptive_kernelIlid21rocsparse_complex_numIdES1_S1_EvbT_PKS2_N9rocsparse24const_host_device_scalarIT4_EES4_PKT0_PKT1_PKT2_S8_PT3_21rocsparse_index_base_b
; %bb.0:
	s_clause 0x2
	s_load_b64 s[20:21], s[0:1], 0x60
	s_load_b128 s[8:11], s[0:1], 0x18
	s_load_b128 s[4:7], s[0:1], 0x48
	s_mov_b64 s[2:3], src_private_base
	v_mov_b32_e32 v1, 0
	s_mov_b32 s12, s15
	s_waitcnt lgkmcnt(0)
	s_bitcmp1_b32 s21, 0
	v_dual_mov_b32 v3, s8 :: v_dual_mov_b32 v6, s5
	s_cselect_b32 s2, -1, 0
	v_mov_b32_e32 v4, s9
	s_and_b32 vcc_lo, s2, exec_lo
	s_cselect_b32 s13, s3, s9
	v_cndmask_b32_e64 v1, s8, v1, s2
	v_dual_mov_b32 v5, s4 :: v_dual_mov_b32 v2, s13
	s_clause 0x1
	scratch_store_b64 off, v[3:4], off
	scratch_store_b64 off, v[5:6], off offset:8
	v_dual_mov_b32 v10, s10 :: v_dual_mov_b32 v11, s11
	flat_load_b64 v[8:9], v[1:2]
	s_xor_b32 s10, s2, -1
	s_cbranch_vccnz .LBB105_2
; %bb.1:
	v_dual_mov_b32 v1, s8 :: v_dual_mov_b32 v2, s9
	flat_load_b64 v[10:11], v[1:2] offset:8
.LBB105_2:
	s_and_b32 s8, s2, exec_lo
	s_cselect_b32 s3, s3, s5
	s_delay_alu instid0(SALU_CYCLE_1) | instskip(SKIP_2) | instid1(VALU_DEP_2)
	v_dual_mov_b32 v1, 8 :: v_dual_mov_b32 v2, s3
	v_dual_mov_b32 v3, s6 :: v_dual_mov_b32 v4, s7
	s_and_not1_b32 vcc_lo, exec_lo, s10
	v_cndmask_b32_e64 v1, s4, v1, s2
	flat_load_b64 v[1:2], v[1:2]
	s_cbranch_vccnz .LBB105_4
; %bb.3:
	v_dual_mov_b32 v3, s4 :: v_dual_mov_b32 v4, s5
	flat_load_b64 v[3:4], v[3:4] offset:8
.LBB105_4:
	s_waitcnt vmcnt(1) lgkmcnt(1)
	v_cmp_eq_f64_e32 vcc_lo, 0, v[8:9]
	v_cmp_eq_f64_e64 s2, 0, v[10:11]
	s_delay_alu instid0(VALU_DEP_1)
	s_and_b32 s4, vcc_lo, s2
	s_mov_b32 s2, -1
	s_and_saveexec_b32 s3, s4
	s_cbranch_execz .LBB105_6
; %bb.5:
	s_waitcnt vmcnt(0) lgkmcnt(0)
	v_cmp_neq_f64_e32 vcc_lo, 1.0, v[1:2]
	v_cmp_neq_f64_e64 s2, 0, v[3:4]
	s_delay_alu instid0(VALU_DEP_1) | instskip(NEXT) | instid1(SALU_CYCLE_1)
	s_or_b32 s2, vcc_lo, s2
	s_or_not1_b32 s2, s2, exec_lo
.LBB105_6:
	s_or_b32 exec_lo, exec_lo, s3
	s_and_saveexec_b32 s3, s2
	s_cbranch_execz .LBB105_51
; %bb.7:
	s_load_b64 s[2:3], s[0:1], 0x10
	s_mov_b32 s4, 0
	s_ashr_i32 s13, s12, 31
	s_mov_b32 s5, s4
	s_mov_b32 s6, s4
	;; [unrolled: 1-line block ×3, first 2 shown]
	s_waitcnt vmcnt(0) lgkmcnt(0)
	v_dual_mov_b32 v1, s4 :: v_dual_lshlrev_b32 v14, 4, v0
	v_dual_mov_b32 v2, s5 :: v_dual_mov_b32 v3, s6
	v_mov_b32_e32 v4, s7
	s_lshl_b64 s[6:7], s[12:13], 3
	ds_store_b128 v14, v[1:4]
	ds_store_b128 v14, v[1:4] offset:4096
	ds_store_b128 v14, v[1:4] offset:8192
	;; [unrolled: 1-line block ×3, first 2 shown]
	s_waitcnt lgkmcnt(0)
	s_waitcnt_vscnt null, 0x0
	s_barrier
	buffer_gl0_inv
	s_add_u32 s2, s2, s6
	s_addc_u32 s3, s3, s7
	s_load_b128 s[16:19], s[2:3], 0x0
	s_clause 0x1
	s_load_b64 s[6:7], s[0:1], 0x58
	s_load_b256 s[8:15], s[0:1], 0x28
	v_sub_co_u32 v15, s1, v0, s20
	s_delay_alu instid0(VALU_DEP_1) | instskip(SKIP_2) | instid1(VALU_DEP_1)
	v_sub_co_ci_u32_e64 v16, null, 0, 0, s1
	s_waitcnt lgkmcnt(0)
	v_cmp_lt_i64_e64 s0, s[16:17], s[18:19]
	s_and_b32 vcc_lo, exec_lo, s0
	s_cbranch_vccnz .LBB105_9
; %bb.8:
	s_lshl_b64 s[0:1], s[16:17], 3
	s_delay_alu instid0(SALU_CYCLE_1)
	s_add_u32 s0, s8, s0
	s_addc_u32 s1, s9, s1
	s_load_b64 s[22:23], s[0:1], 0x0
	s_and_not1_b32 vcc_lo, exec_lo, s4
	s_cbranch_vccz .LBB105_10
	s_branch .LBB105_39
.LBB105_9:
                                        ; implicit-def: $sgpr22_sgpr23
.LBB105_10:
	s_lshl_b64 s[0:1], s[16:17], 3
	v_cmp_gt_u32_e64 s2, 16, v0
	s_add_u32 s0, s8, s0
	s_addc_u32 s1, s9, s1
	v_cmp_gt_u32_e64 s3, 4, v0
	s_waitcnt lgkmcnt(0)
	s_load_b64 s[22:23], s[0:1], 0x0
	v_cmp_gt_u32_e64 s0, 0x100, v0
	v_cmp_gt_u32_e64 s1, 64, v0
	v_cmp_eq_u32_e64 s4, 0, v0
	v_mov_b32_e32 v17, 0
	s_add_u32 s21, s8, 8
	s_addc_u32 s30, s9, 0
	s_mov_b64 s[24:25], s[16:17]
	s_waitcnt lgkmcnt(0)
	s_mov_b64 s[26:27], s[22:23]
	s_branch .LBB105_12
.LBB105_11:                             ;   in Loop: Header=BB105_12 Depth=1
	s_or_b32 exec_lo, exec_lo, s5
	s_add_u32 s24, s24, 1
	s_addc_u32 s25, s25, 0
	s_delay_alu instid0(SALU_CYCLE_1) | instskip(NEXT) | instid1(VALU_DEP_1)
	v_cmp_ge_i64_e64 s5, s[24:25], s[18:19]
	s_and_b32 vcc_lo, exec_lo, s5
	s_cbranch_vccnz .LBB105_39
.LBB105_12:                             ; =>This Loop Header: Depth=1
                                        ;     Child Loop BB105_14 Depth 2
                                        ;     Child Loop BB105_28 Depth 2
	;; [unrolled: 1-line block ×5, first 2 shown]
	s_lshl_b64 s[28:29], s[24:25], 3
	s_mov_b64 s[34:35], s[26:27]
	s_add_u32 s28, s21, s28
	s_addc_u32 s29, s30, s29
	v_mov_b32_e32 v2, 0
	s_load_b64 s[26:27], s[28:29], 0x0
	v_mov_b32_e32 v3, 0
	v_add_co_u32 v4, vcc_lo, s34, v15
	v_add_co_ci_u32_e32 v5, vcc_lo, s35, v16, vcc_lo
	s_delay_alu instid0(VALU_DEP_3) | instskip(SKIP_4) | instid1(SALU_CYCLE_1)
	v_dual_mov_b32 v0, v2 :: v_dual_mov_b32 v1, v3
	s_mov_b32 s31, exec_lo
	s_waitcnt lgkmcnt(0)
	s_sub_u32 s28, s26, s20
	s_subb_u32 s29, s27, 0
	v_cmpx_gt_i64_e64 s[28:29], v[4:5]
	s_cbranch_execz .LBB105_16
; %bb.13:                               ;   in Loop: Header=BB105_12 Depth=1
	v_lshlrev_b64 v[0:1], 2, v[4:5]
	v_lshlrev_b64 v[12:13], 3, v[4:5]
	v_mov_b32_e32 v2, 0
	v_mov_b32_e32 v3, 0
	s_mov_b32 s33, 0
	s_delay_alu instid0(VALU_DEP_4)
	v_add_co_u32 v6, vcc_lo, s10, v0
	v_add_co_ci_u32_e32 v7, vcc_lo, s11, v1, vcc_lo
	v_add_co_u32 v12, vcc_lo, s12, v12
	v_add_co_ci_u32_e32 v13, vcc_lo, s13, v13, vcc_lo
	v_dual_mov_b32 v0, v2 :: v_dual_mov_b32 v1, v3
	s_set_inst_prefetch_distance 0x1
	.p2align	6
.LBB105_14:                             ;   Parent Loop BB105_12 Depth=1
                                        ; =>  This Inner Loop Header: Depth=2
	global_load_b32 v18, v[6:7], off
	s_waitcnt vmcnt(0)
	v_subrev_nc_u32_e32 v18, s20, v18
	s_delay_alu instid0(VALU_DEP_1) | instskip(NEXT) | instid1(VALU_DEP_1)
	v_ashrrev_i32_e32 v19, 31, v18
	v_lshlrev_b64 v[18:19], 4, v[18:19]
	s_delay_alu instid0(VALU_DEP_1) | instskip(NEXT) | instid1(VALU_DEP_2)
	v_add_co_u32 v18, vcc_lo, s14, v18
	v_add_co_ci_u32_e32 v19, vcc_lo, s15, v19, vcc_lo
	v_add_co_u32 v4, vcc_lo, 0x100, v4
	global_load_b64 v[22:23], v[12:13], off
	global_load_b128 v[18:21], v[18:19], off
	v_add_co_ci_u32_e32 v5, vcc_lo, 0, v5, vcc_lo
	v_add_co_u32 v6, vcc_lo, 0x400, v6
	v_add_co_ci_u32_e32 v7, vcc_lo, 0, v7, vcc_lo
	s_delay_alu instid0(VALU_DEP_3) | instskip(SKIP_1) | instid1(VALU_DEP_1)
	v_cmp_le_i64_e32 vcc_lo, s[28:29], v[4:5]
	v_add_co_u32 v12, s5, 0x800, v12
	v_add_co_ci_u32_e64 v13, s5, 0, v13, s5
	s_or_b32 s33, vcc_lo, s33
	s_waitcnt vmcnt(0)
	v_fma_f64 v[0:1], v[22:23], v[18:19], v[0:1]
	v_fma_f64 v[2:3], v[18:19], 0, v[2:3]
	s_delay_alu instid0(VALU_DEP_2) | instskip(NEXT) | instid1(VALU_DEP_2)
	v_fma_f64 v[0:1], 0x80000000, v[20:21], v[0:1]
	v_fma_f64 v[2:3], v[22:23], v[20:21], v[2:3]
	s_and_not1_b32 exec_lo, exec_lo, s33
	s_cbranch_execnz .LBB105_14
; %bb.15:                               ;   in Loop: Header=BB105_12 Depth=1
	s_set_inst_prefetch_distance 0x2
	s_or_b32 exec_lo, exec_lo, s33
.LBB105_16:                             ;   in Loop: Header=BB105_12 Depth=1
	s_delay_alu instid0(SALU_CYCLE_1)
	s_or_b32 exec_lo, exec_lo, s31
	ds_store_b128 v14, v[0:3]
	s_waitcnt lgkmcnt(0)
	s_barrier
	buffer_gl0_inv
	s_and_saveexec_b32 s5, s0
	s_cbranch_execz .LBB105_18
; %bb.17:                               ;   in Loop: Header=BB105_12 Depth=1
	ds_load_b128 v[0:3], v14 offset:4096
	ds_load_b128 v[4:7], v14 offset:8192
	ds_load_b128 v[18:21], v14 offset:12288
	ds_load_b128 v[22:25], v14
	s_waitcnt lgkmcnt(2)
	v_add_f64 v[0:1], v[4:5], v[0:1]
	v_add_f64 v[2:3], v[6:7], v[2:3]
	s_waitcnt lgkmcnt(1)
	s_delay_alu instid0(VALU_DEP_2) | instskip(NEXT) | instid1(VALU_DEP_2)
	v_add_f64 v[0:1], v[0:1], v[18:19]
	v_add_f64 v[2:3], v[2:3], v[20:21]
	s_waitcnt lgkmcnt(0)
	s_delay_alu instid0(VALU_DEP_2) | instskip(NEXT) | instid1(VALU_DEP_2)
	v_add_f64 v[0:1], v[0:1], v[22:23]
	v_add_f64 v[2:3], v[2:3], v[24:25]
	ds_store_b128 v14, v[0:3]
.LBB105_18:                             ;   in Loop: Header=BB105_12 Depth=1
	s_or_b32 exec_lo, exec_lo, s5
	s_waitcnt lgkmcnt(0)
	s_barrier
	buffer_gl0_inv
	s_and_saveexec_b32 s5, s1
	s_cbranch_execz .LBB105_20
; %bb.19:                               ;   in Loop: Header=BB105_12 Depth=1
	ds_load_b128 v[0:3], v14 offset:1024
	ds_load_b128 v[4:7], v14 offset:2048
	ds_load_b128 v[18:21], v14 offset:3072
	ds_load_b128 v[22:25], v14
	s_waitcnt lgkmcnt(2)
	v_add_f64 v[0:1], v[4:5], v[0:1]
	v_add_f64 v[2:3], v[6:7], v[2:3]
	s_waitcnt lgkmcnt(1)
	s_delay_alu instid0(VALU_DEP_2) | instskip(NEXT) | instid1(VALU_DEP_2)
	v_add_f64 v[0:1], v[0:1], v[18:19]
	v_add_f64 v[2:3], v[2:3], v[20:21]
	s_waitcnt lgkmcnt(0)
	s_delay_alu instid0(VALU_DEP_2) | instskip(NEXT) | instid1(VALU_DEP_2)
	v_add_f64 v[0:1], v[0:1], v[22:23]
	v_add_f64 v[2:3], v[2:3], v[24:25]
	ds_store_b128 v14, v[0:3]
.LBB105_20:                             ;   in Loop: Header=BB105_12 Depth=1
	s_or_b32 exec_lo, exec_lo, s5
	s_waitcnt lgkmcnt(0)
	s_barrier
	buffer_gl0_inv
	s_and_saveexec_b32 s5, s2
	s_cbranch_execz .LBB105_22
; %bb.21:                               ;   in Loop: Header=BB105_12 Depth=1
	ds_load_b128 v[0:3], v14 offset:256
	ds_load_b128 v[4:7], v14 offset:512
	ds_load_b128 v[18:21], v14 offset:768
	ds_load_b128 v[22:25], v14
	s_waitcnt lgkmcnt(2)
	v_add_f64 v[0:1], v[4:5], v[0:1]
	v_add_f64 v[2:3], v[6:7], v[2:3]
	s_waitcnt lgkmcnt(1)
	s_delay_alu instid0(VALU_DEP_2) | instskip(NEXT) | instid1(VALU_DEP_2)
	v_add_f64 v[0:1], v[0:1], v[18:19]
	v_add_f64 v[2:3], v[2:3], v[20:21]
	s_waitcnt lgkmcnt(0)
	s_delay_alu instid0(VALU_DEP_2) | instskip(NEXT) | instid1(VALU_DEP_2)
	v_add_f64 v[0:1], v[0:1], v[22:23]
	v_add_f64 v[2:3], v[2:3], v[24:25]
	ds_store_b128 v14, v[0:3]
.LBB105_22:                             ;   in Loop: Header=BB105_12 Depth=1
	s_or_b32 exec_lo, exec_lo, s5
	s_waitcnt lgkmcnt(0)
	s_barrier
	buffer_gl0_inv
	s_and_saveexec_b32 s5, s3
	s_cbranch_execz .LBB105_24
; %bb.23:                               ;   in Loop: Header=BB105_12 Depth=1
	ds_load_b128 v[0:3], v14 offset:64
	ds_load_b128 v[4:7], v14 offset:128
	ds_load_b128 v[18:21], v14 offset:192
	ds_load_b128 v[22:25], v14
	s_waitcnt lgkmcnt(2)
	v_add_f64 v[0:1], v[4:5], v[0:1]
	v_add_f64 v[2:3], v[6:7], v[2:3]
	s_waitcnt lgkmcnt(1)
	s_delay_alu instid0(VALU_DEP_2) | instskip(NEXT) | instid1(VALU_DEP_2)
	v_add_f64 v[0:1], v[0:1], v[18:19]
	v_add_f64 v[2:3], v[2:3], v[20:21]
	s_waitcnt lgkmcnt(0)
	s_delay_alu instid0(VALU_DEP_2) | instskip(NEXT) | instid1(VALU_DEP_2)
	v_add_f64 v[0:1], v[0:1], v[22:23]
	v_add_f64 v[2:3], v[2:3], v[24:25]
	ds_store_b128 v14, v[0:3]
.LBB105_24:                             ;   in Loop: Header=BB105_12 Depth=1
	s_or_b32 exec_lo, exec_lo, s5
	s_waitcnt lgkmcnt(0)
	s_barrier
	buffer_gl0_inv
	s_and_saveexec_b32 s5, s4
	s_cbranch_execz .LBB105_26
; %bb.25:                               ;   in Loop: Header=BB105_12 Depth=1
	ds_load_b128 v[0:3], v17 offset:16
	ds_load_b128 v[4:7], v17 offset:32
	ds_load_b128 v[18:21], v17 offset:48
	ds_load_b128 v[22:25], v14
	s_waitcnt lgkmcnt(2)
	v_add_f64 v[0:1], v[4:5], v[0:1]
	v_add_f64 v[2:3], v[6:7], v[2:3]
	s_waitcnt lgkmcnt(1)
	s_delay_alu instid0(VALU_DEP_2) | instskip(NEXT) | instid1(VALU_DEP_2)
	v_add_f64 v[0:1], v[0:1], v[18:19]
	v_add_f64 v[2:3], v[2:3], v[20:21]
	s_waitcnt lgkmcnt(0)
	s_delay_alu instid0(VALU_DEP_2) | instskip(NEXT) | instid1(VALU_DEP_2)
	v_add_f64 v[0:1], v[0:1], v[22:23]
	v_add_f64 v[2:3], v[2:3], v[24:25]
	ds_store_b128 v14, v[0:3]
.LBB105_26:                             ;   in Loop: Header=BB105_12 Depth=1
	s_or_b32 exec_lo, exec_lo, s5
	s_waitcnt lgkmcnt(0)
	s_barrier
	buffer_gl0_inv
	s_and_saveexec_b32 s5, s4
	s_cbranch_execz .LBB105_11
; %bb.27:                               ;   in Loop: Header=BB105_12 Depth=1
	ds_load_b128 v[0:3], v17
	v_mov_b32_e32 v12, 0
	v_bfrev_b32_e32 v13, 1
	s_mov_b32 s28, exec_lo
	s_waitcnt lgkmcnt(0)
	v_mul_f64 v[4:5], v[2:3], -v[10:11]
	s_delay_alu instid0(VALU_DEP_1)
	v_fma_f64 v[4:5], v[8:9], v[0:1], v[4:5]
.LBB105_28:                             ;   Parent Loop BB105_12 Depth=1
                                        ; =>  This Inner Loop Header: Depth=2
	s_ctz_i32_b32 s29, s28
	s_delay_alu instid0(VALU_DEP_1) | instid1(SALU_CYCLE_1)
	v_readlane_b32 s35, v5, s29
	s_delay_alu instid0(VALU_DEP_2) | instskip(SKIP_1) | instid1(SALU_CYCLE_1)
	v_readlane_b32 s34, v4, s29
	s_lshl_b32 s29, 1, s29
	s_and_not1_b32 s28, s28, s29
	s_delay_alu instid0(VALU_DEP_1)
	v_add_f64 v[12:13], v[12:13], s[34:35]
	s_cmp_lg_u32 s28, 0
	s_cbranch_scc1 .LBB105_28
; %bb.29:                               ;   in Loop: Header=BB105_12 Depth=1
	v_mbcnt_lo_u32_b32 v4, exec_lo, 0
	s_lshl_b64 s[28:29], s[24:25], 4
	s_mov_b32 s31, exec_lo
	s_add_u32 s28, s6, s28
	s_addc_u32 s29, s7, s29
	v_cmpx_eq_u32_e32 0, v4
	s_xor_b32 s31, exec_lo, s31
	s_cbranch_execz .LBB105_33
; %bb.30:                               ;   in Loop: Header=BB105_12 Depth=1
	global_load_b64 v[6:7], v17, s[28:29]
	s_mov_b32 s33, 0
.LBB105_31:                             ;   Parent Loop BB105_12 Depth=1
                                        ; =>  This Inner Loop Header: Depth=2
	s_waitcnt vmcnt(0)
	v_add_f64 v[4:5], v[6:7], v[12:13]
	global_atomic_cmpswap_b64 v[4:5], v17, v[4:7], s[28:29] glc
	s_waitcnt vmcnt(0)
	v_cmp_eq_u64_e32 vcc_lo, v[4:5], v[6:7]
	v_dual_mov_b32 v7, v5 :: v_dual_mov_b32 v6, v4
	s_or_b32 s33, vcc_lo, s33
	s_delay_alu instid0(SALU_CYCLE_1)
	s_and_not1_b32 exec_lo, exec_lo, s33
	s_cbranch_execnz .LBB105_31
; %bb.32:                               ;   in Loop: Header=BB105_12 Depth=1
	s_or_b32 exec_lo, exec_lo, s33
.LBB105_33:                             ;   in Loop: Header=BB105_12 Depth=1
	s_delay_alu instid0(SALU_CYCLE_1) | instskip(SKIP_4) | instid1(VALU_DEP_3)
	s_or_b32 exec_lo, exec_lo, s31
	v_mul_f64 v[2:3], v[8:9], v[2:3]
	v_mov_b32_e32 v4, 0
	v_bfrev_b32_e32 v5, 1
	s_mov_b32 s31, exec_lo
	v_fma_f64 v[0:1], v[10:11], v[0:1], v[2:3]
.LBB105_34:                             ;   Parent Loop BB105_12 Depth=1
                                        ; =>  This Inner Loop Header: Depth=2
	s_ctz_i32_b32 s33, s31
	s_delay_alu instid0(VALU_DEP_1) | instid1(SALU_CYCLE_1)
	v_readlane_b32 s35, v1, s33
	s_delay_alu instid0(VALU_DEP_2) | instskip(SKIP_1) | instid1(SALU_CYCLE_1)
	v_readlane_b32 s34, v0, s33
	s_lshl_b32 s33, 1, s33
	s_and_not1_b32 s31, s31, s33
	s_delay_alu instid0(VALU_DEP_1)
	v_add_f64 v[4:5], v[4:5], s[34:35]
	s_cmp_lg_u32 s31, 0
	s_cbranch_scc1 .LBB105_34
; %bb.35:                               ;   in Loop: Header=BB105_12 Depth=1
	v_mbcnt_lo_u32_b32 v0, exec_lo, 0
	s_mov_b32 s31, exec_lo
	s_delay_alu instid0(VALU_DEP_1)
	v_cmpx_eq_u32_e32 0, v0
	s_xor_b32 s31, exec_lo, s31
	s_cbranch_execz .LBB105_11
; %bb.36:                               ;   in Loop: Header=BB105_12 Depth=1
	global_load_b64 v[2:3], v17, s[28:29] offset:8
	s_mov_b32 s31, 0
.LBB105_37:                             ;   Parent Loop BB105_12 Depth=1
                                        ; =>  This Inner Loop Header: Depth=2
	s_waitcnt vmcnt(0)
	v_add_f64 v[0:1], v[2:3], v[4:5]
	global_atomic_cmpswap_b64 v[0:1], v17, v[0:3], s[28:29] offset:8 glc
	s_waitcnt vmcnt(0)
	v_cmp_eq_u64_e32 vcc_lo, v[0:1], v[2:3]
	v_dual_mov_b32 v3, v1 :: v_dual_mov_b32 v2, v0
	s_or_b32 s31, vcc_lo, s31
	s_delay_alu instid0(SALU_CYCLE_1)
	s_and_not1_b32 exec_lo, exec_lo, s31
	s_cbranch_execnz .LBB105_37
; %bb.38:                               ;   in Loop: Header=BB105_12 Depth=1
	s_or_b32 exec_lo, exec_lo, s31
	s_branch .LBB105_11
.LBB105_39:
	s_lshl_b64 s[0:1], s[18:19], 3
	s_waitcnt lgkmcnt(0)
	v_add_co_u32 v12, vcc_lo, s22, v15
	s_add_u32 s0, s8, s0
	s_addc_u32 s1, s9, s1
	v_add_co_ci_u32_e32 v13, vcc_lo, s23, v16, vcc_lo
	s_load_b64 s[0:1], s[0:1], 0x0
	s_waitcnt lgkmcnt(0)
	s_sub_u32 s2, s0, s20
	s_subb_u32 s3, s1, 0
	s_delay_alu instid0(SALU_CYCLE_1)
	v_cmp_gt_i64_e32 vcc_lo, s[2:3], v[12:13]
	s_and_b32 exec_lo, exec_lo, vcc_lo
	s_cbranch_execz .LBB105_51
; %bb.40:
	v_mul_f64 v[14:15], 0x80000000, v[10:11]
	v_mul_f64 v[16:17], v[8:9], 0
	s_add_u32 s4, s18, -1
	s_addc_u32 s5, s19, -1
	s_add_u32 s0, s18, -2
	v_cmp_gt_i64_e64 s21, s[4:5], s[16:17]
	s_addc_u32 s1, s19, -1
	s_mov_b32 s18, 0
	s_cmp_lg_u64 s[0:1], s[16:17]
	s_cselect_b32 s0, -1, 0
	s_delay_alu instid0(VALU_DEP_1) | instid1(SALU_CYCLE_1)
	s_and_b32 s1, s21, s0
	s_branch .LBB105_42
.LBB105_41:                             ;   in Loop: Header=BB105_42 Depth=1
	s_or_b32 exec_lo, exec_lo, s0
	v_add_co_u32 v12, vcc_lo, 0x100, v12
	v_add_co_ci_u32_e32 v13, vcc_lo, 0, v13, vcc_lo
	s_delay_alu instid0(VALU_DEP_1) | instskip(SKIP_1) | instid1(SALU_CYCLE_1)
	v_cmp_le_i64_e32 vcc_lo, s[2:3], v[12:13]
	s_or_b32 s18, vcc_lo, s18
	s_and_not1_b32 exec_lo, exec_lo, s18
	s_cbranch_execz .LBB105_51
.LBB105_42:                             ; =>This Loop Header: Depth=1
                                        ;     Child Loop BB105_44 Depth 2
                                        ;     Child Loop BB105_48 Depth 2
	;; [unrolled: 1-line block ×3, first 2 shown]
	v_dual_mov_b32 v0, s16 :: v_dual_mov_b32 v1, s17
	v_dual_mov_b32 v2, s4 :: v_dual_mov_b32 v3, s5
	s_and_not1_b32 vcc_lo, exec_lo, s1
	s_cbranch_vccnz .LBB105_46
; %bb.43:                               ;   in Loop: Header=BB105_42 Depth=1
	v_dual_mov_b32 v0, s16 :: v_dual_mov_b32 v1, s17
	v_dual_mov_b32 v2, s4 :: v_dual_mov_b32 v3, s5
	s_mov_b32 s19, 0
	s_set_inst_prefetch_distance 0x1
	.p2align	6
.LBB105_44:                             ;   Parent Loop BB105_42 Depth=1
                                        ; =>  This Inner Loop Header: Depth=2
	s_delay_alu instid0(VALU_DEP_1) | instskip(NEXT) | instid1(VALU_DEP_2)
	v_add_co_u32 v4, vcc_lo, v2, v0
	v_add_co_ci_u32_e32 v5, vcc_lo, v3, v1, vcc_lo
	s_delay_alu instid0(VALU_DEP_1) | instskip(NEXT) | instid1(VALU_DEP_1)
	v_lshrrev_b32_e32 v6, 31, v5
	v_add_co_u32 v4, vcc_lo, v4, v6
	v_add_co_ci_u32_e32 v5, vcc_lo, 0, v5, vcc_lo
	s_delay_alu instid0(VALU_DEP_1) | instskip(NEXT) | instid1(VALU_DEP_1)
	v_ashrrev_i64 v[4:5], 1, v[4:5]
	v_lshlrev_b64 v[6:7], 3, v[4:5]
	s_delay_alu instid0(VALU_DEP_1) | instskip(NEXT) | instid1(VALU_DEP_2)
	v_add_co_u32 v6, vcc_lo, s8, v6
	v_add_co_ci_u32_e32 v7, vcc_lo, s9, v7, vcc_lo
	global_load_b64 v[6:7], v[6:7], off
	s_waitcnt vmcnt(0)
	v_sub_co_u32 v6, vcc_lo, v6, s20
	v_subrev_co_ci_u32_e32 v7, vcc_lo, 0, v7, vcc_lo
	s_delay_alu instid0(VALU_DEP_1) | instskip(SKIP_2) | instid1(VALU_DEP_2)
	v_cmp_gt_i64_e32 vcc_lo, v[6:7], v[12:13]
	v_dual_cndmask_b32 v3, v3, v5 :: v_dual_cndmask_b32 v2, v2, v4
	v_dual_cndmask_b32 v1, v5, v1 :: v_dual_cndmask_b32 v0, v4, v0
	v_add_co_u32 v4, vcc_lo, v2, -1
	s_delay_alu instid0(VALU_DEP_3) | instskip(NEXT) | instid1(VALU_DEP_3)
	v_add_co_ci_u32_e32 v5, vcc_lo, -1, v3, vcc_lo
	v_cmp_ge_i64_e32 vcc_lo, v[0:1], v[2:3]
	s_delay_alu instid0(VALU_DEP_2) | instskip(NEXT) | instid1(VALU_DEP_1)
	v_cmp_eq_u64_e64 s0, v[0:1], v[4:5]
	s_or_b32 s0, vcc_lo, s0
	s_delay_alu instid0(SALU_CYCLE_1) | instskip(NEXT) | instid1(SALU_CYCLE_1)
	s_and_b32 s0, exec_lo, s0
	s_or_b32 s19, s0, s19
	s_delay_alu instid0(SALU_CYCLE_1)
	s_and_not1_b32 exec_lo, exec_lo, s19
	s_cbranch_execnz .LBB105_44
; %bb.45:                               ;   in Loop: Header=BB105_42 Depth=1
	s_set_inst_prefetch_distance 0x2
	s_or_b32 exec_lo, exec_lo, s19
.LBB105_46:                             ;   in Loop: Header=BB105_42 Depth=1
	s_delay_alu instid0(VALU_DEP_1) | instskip(SKIP_2) | instid1(VALU_DEP_2)
	v_lshlrev_b64 v[4:5], 3, v[2:3]
	v_lshlrev_b64 v[6:7], 2, v[12:13]
	s_mov_b32 s0, exec_lo
	v_add_co_u32 v4, vcc_lo, s8, v4
	s_delay_alu instid0(VALU_DEP_3) | instskip(NEXT) | instid1(VALU_DEP_3)
	v_add_co_ci_u32_e32 v5, vcc_lo, s9, v5, vcc_lo
	v_add_co_u32 v6, vcc_lo, s10, v6
	s_delay_alu instid0(VALU_DEP_4)
	v_add_co_ci_u32_e32 v7, vcc_lo, s11, v7, vcc_lo
	global_load_b64 v[4:5], v[4:5], off
	global_load_b32 v6, v[6:7], off
	s_waitcnt vmcnt(1)
	v_sub_co_u32 v4, vcc_lo, v4, s20
	v_subrev_co_ci_u32_e32 v5, vcc_lo, 0, v5, vcc_lo
	s_delay_alu instid0(VALU_DEP_1) | instskip(SKIP_2) | instid1(VALU_DEP_1)
	v_cmp_gt_i64_e32 vcc_lo, v[4:5], v[12:13]
	s_waitcnt vmcnt(0)
	v_subrev_nc_u32_e32 v4, s20, v6
	v_ashrrev_i32_e32 v5, 31, v4
	v_dual_cndmask_b32 v1, v3, v1 :: v_dual_cndmask_b32 v0, v2, v0
	s_delay_alu instid0(VALU_DEP_1)
	v_cmpx_ne_u64_e64 v[0:1], v[4:5]
	s_cbranch_execz .LBB105_41
; %bb.47:                               ;   in Loop: Header=BB105_42 Depth=1
	v_lshlrev_b64 v[2:3], 3, v[12:13]
	v_lshlrev_b64 v[0:1], 4, v[0:1]
	;; [unrolled: 1-line block ×3, first 2 shown]
	s_mov_b32 s19, 0
	s_delay_alu instid0(VALU_DEP_3) | instskip(NEXT) | instid1(VALU_DEP_4)
	v_add_co_u32 v2, vcc_lo, s12, v2
	v_add_co_ci_u32_e32 v3, vcc_lo, s13, v3, vcc_lo
	s_delay_alu instid0(VALU_DEP_4)
	v_add_co_u32 v0, vcc_lo, s14, v0
	v_add_co_ci_u32_e32 v1, vcc_lo, s15, v1, vcc_lo
	global_load_b64 v[22:23], v[2:3], off
	v_add_co_u32 v18, vcc_lo, s6, v4
	global_load_b128 v[0:3], v[0:1], off
	v_add_co_ci_u32_e32 v19, vcc_lo, s7, v5, vcc_lo
	global_load_b64 v[6:7], v[18:19], off
	s_waitcnt vmcnt(2)
	v_fma_f64 v[20:21], v[10:11], v[22:23], v[16:17]
	v_fma_f64 v[22:23], v[8:9], v[22:23], v[14:15]
	s_waitcnt vmcnt(1)
	s_delay_alu instid0(VALU_DEP_2) | instskip(NEXT) | instid1(VALU_DEP_1)
	v_mul_f64 v[4:5], v[2:3], -v[20:21]
	v_fma_f64 v[24:25], v[22:23], v[0:1], v[4:5]
.LBB105_48:                             ;   Parent Loop BB105_42 Depth=1
                                        ; =>  This Inner Loop Header: Depth=2
	s_waitcnt vmcnt(0)
	s_delay_alu instid0(VALU_DEP_1)
	v_add_f64 v[4:5], v[6:7], v[24:25]
	global_atomic_cmpswap_b64 v[4:5], v[18:19], v[4:7], off glc
	s_waitcnt vmcnt(0)
	v_cmp_eq_u64_e32 vcc_lo, v[4:5], v[6:7]
	v_dual_mov_b32 v7, v5 :: v_dual_mov_b32 v6, v4
	s_or_b32 s19, vcc_lo, s19
	s_delay_alu instid0(SALU_CYCLE_1)
	s_and_not1_b32 exec_lo, exec_lo, s19
	s_cbranch_execnz .LBB105_48
; %bb.49:                               ;   in Loop: Header=BB105_42 Depth=1
	s_or_b32 exec_lo, exec_lo, s19
	global_load_b64 v[4:5], v[18:19], off offset:8
	v_mul_f64 v[2:3], v[22:23], v[2:3]
	s_mov_b32 s19, 0
	s_delay_alu instid0(VALU_DEP_1)
	v_fma_f64 v[0:1], v[20:21], v[0:1], v[2:3]
.LBB105_50:                             ;   Parent Loop BB105_42 Depth=1
                                        ; =>  This Inner Loop Header: Depth=2
	s_waitcnt vmcnt(0)
	s_delay_alu instid0(VALU_DEP_1)
	v_add_f64 v[2:3], v[4:5], v[0:1]
	global_atomic_cmpswap_b64 v[2:3], v[18:19], v[2:5], off offset:8 glc
	s_waitcnt vmcnt(0)
	v_cmp_eq_u64_e32 vcc_lo, v[2:3], v[4:5]
	v_dual_mov_b32 v5, v3 :: v_dual_mov_b32 v4, v2
	s_or_b32 s19, vcc_lo, s19
	s_delay_alu instid0(SALU_CYCLE_1)
	s_and_not1_b32 exec_lo, exec_lo, s19
	s_cbranch_execnz .LBB105_50
	s_branch .LBB105_41
.LBB105_51:
	s_endpgm
	.section	.rodata,"a",@progbits
	.p2align	6, 0x0
	.amdhsa_kernel _ZL33csrmvn_symm_large_adaptive_kernelIlid21rocsparse_complex_numIdES1_S1_EvbT_PKS2_N9rocsparse24const_host_device_scalarIT4_EES4_PKT0_PKT1_PKT2_S8_PT3_21rocsparse_index_base_b
		.amdhsa_group_segment_fixed_size 16384
		.amdhsa_private_segment_fixed_size 24
		.amdhsa_kernarg_size 104
		.amdhsa_user_sgpr_count 15
		.amdhsa_user_sgpr_dispatch_ptr 0
		.amdhsa_user_sgpr_queue_ptr 0
		.amdhsa_user_sgpr_kernarg_segment_ptr 1
		.amdhsa_user_sgpr_dispatch_id 0
		.amdhsa_user_sgpr_private_segment_size 0
		.amdhsa_wavefront_size32 1
		.amdhsa_uses_dynamic_stack 0
		.amdhsa_enable_private_segment 1
		.amdhsa_system_sgpr_workgroup_id_x 1
		.amdhsa_system_sgpr_workgroup_id_y 0
		.amdhsa_system_sgpr_workgroup_id_z 0
		.amdhsa_system_sgpr_workgroup_info 0
		.amdhsa_system_vgpr_workitem_id 0
		.amdhsa_next_free_vgpr 26
		.amdhsa_next_free_sgpr 36
		.amdhsa_reserve_vcc 1
		.amdhsa_float_round_mode_32 0
		.amdhsa_float_round_mode_16_64 0
		.amdhsa_float_denorm_mode_32 3
		.amdhsa_float_denorm_mode_16_64 3
		.amdhsa_dx10_clamp 1
		.amdhsa_ieee_mode 1
		.amdhsa_fp16_overflow 0
		.amdhsa_workgroup_processor_mode 1
		.amdhsa_memory_ordered 1
		.amdhsa_forward_progress 0
		.amdhsa_shared_vgpr_count 0
		.amdhsa_exception_fp_ieee_invalid_op 0
		.amdhsa_exception_fp_denorm_src 0
		.amdhsa_exception_fp_ieee_div_zero 0
		.amdhsa_exception_fp_ieee_overflow 0
		.amdhsa_exception_fp_ieee_underflow 0
		.amdhsa_exception_fp_ieee_inexact 0
		.amdhsa_exception_int_div_zero 0
	.end_amdhsa_kernel
	.section	.text._ZL33csrmvn_symm_large_adaptive_kernelIlid21rocsparse_complex_numIdES1_S1_EvbT_PKS2_N9rocsparse24const_host_device_scalarIT4_EES4_PKT0_PKT1_PKT2_S8_PT3_21rocsparse_index_base_b,"axG",@progbits,_ZL33csrmvn_symm_large_adaptive_kernelIlid21rocsparse_complex_numIdES1_S1_EvbT_PKS2_N9rocsparse24const_host_device_scalarIT4_EES4_PKT0_PKT1_PKT2_S8_PT3_21rocsparse_index_base_b,comdat
.Lfunc_end105:
	.size	_ZL33csrmvn_symm_large_adaptive_kernelIlid21rocsparse_complex_numIdES1_S1_EvbT_PKS2_N9rocsparse24const_host_device_scalarIT4_EES4_PKT0_PKT1_PKT2_S8_PT3_21rocsparse_index_base_b, .Lfunc_end105-_ZL33csrmvn_symm_large_adaptive_kernelIlid21rocsparse_complex_numIdES1_S1_EvbT_PKS2_N9rocsparse24const_host_device_scalarIT4_EES4_PKT0_PKT1_PKT2_S8_PT3_21rocsparse_index_base_b
                                        ; -- End function
	.section	.AMDGPU.csdata,"",@progbits
; Kernel info:
; codeLenInByte = 2932
; NumSgprs: 38
; NumVgprs: 26
; ScratchSize: 24
; MemoryBound: 0
; FloatMode: 240
; IeeeMode: 1
; LDSByteSize: 16384 bytes/workgroup (compile time only)
; SGPRBlocks: 4
; VGPRBlocks: 3
; NumSGPRsForWavesPerEU: 38
; NumVGPRsForWavesPerEU: 26
; Occupancy: 16
; WaveLimiterHint : 1
; COMPUTE_PGM_RSRC2:SCRATCH_EN: 1
; COMPUTE_PGM_RSRC2:USER_SGPR: 15
; COMPUTE_PGM_RSRC2:TRAP_HANDLER: 0
; COMPUTE_PGM_RSRC2:TGID_X_EN: 1
; COMPUTE_PGM_RSRC2:TGID_Y_EN: 0
; COMPUTE_PGM_RSRC2:TGID_Z_EN: 0
; COMPUTE_PGM_RSRC2:TIDIG_COMP_CNT: 0
	.section	.text._ZN9rocsparseL22csrmvn_adaptive_kernelIlld21rocsparse_complex_numIdES2_S2_EEvbT_PKS3_PjPKT0_NS_24const_host_device_scalarIT4_EES5_S9_PKT1_PKT2_SC_PT3_21rocsparse_index_base_b,"axG",@progbits,_ZN9rocsparseL22csrmvn_adaptive_kernelIlld21rocsparse_complex_numIdES2_S2_EEvbT_PKS3_PjPKT0_NS_24const_host_device_scalarIT4_EES5_S9_PKT1_PKT2_SC_PT3_21rocsparse_index_base_b,comdat
	.globl	_ZN9rocsparseL22csrmvn_adaptive_kernelIlld21rocsparse_complex_numIdES2_S2_EEvbT_PKS3_PjPKT0_NS_24const_host_device_scalarIT4_EES5_S9_PKT1_PKT2_SC_PT3_21rocsparse_index_base_b ; -- Begin function _ZN9rocsparseL22csrmvn_adaptive_kernelIlld21rocsparse_complex_numIdES2_S2_EEvbT_PKS3_PjPKT0_NS_24const_host_device_scalarIT4_EES5_S9_PKT1_PKT2_SC_PT3_21rocsparse_index_base_b
	.p2align	8
	.type	_ZN9rocsparseL22csrmvn_adaptive_kernelIlld21rocsparse_complex_numIdES2_S2_EEvbT_PKS3_PjPKT0_NS_24const_host_device_scalarIT4_EES5_S9_PKT1_PKT2_SC_PT3_21rocsparse_index_base_b,@function
_ZN9rocsparseL22csrmvn_adaptive_kernelIlld21rocsparse_complex_numIdES2_S2_EEvbT_PKS3_PjPKT0_NS_24const_host_device_scalarIT4_EES5_S9_PKT1_PKT2_SC_PT3_21rocsparse_index_base_b: ; @_ZN9rocsparseL22csrmvn_adaptive_kernelIlld21rocsparse_complex_numIdES2_S2_EEvbT_PKS3_PjPKT0_NS_24const_host_device_scalarIT4_EES5_S9_PKT1_PKT2_SC_PT3_21rocsparse_index_base_b
; %bb.0:
	s_clause 0x2
	s_load_b64 s[34:35], s[0:1], 0x70
	s_load_b128 s[8:11], s[0:1], 0x28
	s_load_b128 s[4:7], s[0:1], 0x58
	s_mov_b64 s[2:3], src_private_base
	v_mov_b32_e32 v1, 0
	s_mov_b32 s36, s15
	s_waitcnt lgkmcnt(0)
	s_bitcmp1_b32 s35, 0
	v_dual_mov_b32 v3, s8 :: v_dual_mov_b32 v6, s5
	s_cselect_b32 s2, -1, 0
	v_mov_b32_e32 v4, s9
	s_and_b32 vcc_lo, s2, exec_lo
	s_cselect_b32 s12, s3, s9
	v_cndmask_b32_e64 v1, s8, v1, s2
	v_dual_mov_b32 v5, s4 :: v_dual_mov_b32 v2, s12
	s_clause 0x1
	scratch_store_b64 off, v[3:4], off
	scratch_store_b64 off, v[5:6], off offset:8
	v_dual_mov_b32 v16, s11 :: v_dual_mov_b32 v15, s10
	flat_load_b64 v[13:14], v[1:2]
	s_xor_b32 s10, s2, -1
	s_cbranch_vccnz .LBB106_2
; %bb.1:
	v_dual_mov_b32 v1, s8 :: v_dual_mov_b32 v2, s9
	flat_load_b64 v[15:16], v[1:2] offset:8
.LBB106_2:
	s_and_b32 s8, s2, exec_lo
	s_cselect_b32 s3, s3, s5
	s_delay_alu instid0(SALU_CYCLE_1) | instskip(SKIP_2) | instid1(VALU_DEP_2)
	v_dual_mov_b32 v1, 8 :: v_dual_mov_b32 v2, s3
	v_dual_mov_b32 v12, s7 :: v_dual_mov_b32 v11, s6
	s_and_not1_b32 vcc_lo, exec_lo, s10
	v_cndmask_b32_e64 v1, s4, v1, s2
	flat_load_b64 v[9:10], v[1:2]
	s_cbranch_vccnz .LBB106_4
; %bb.3:
	v_dual_mov_b32 v1, s4 :: v_dual_mov_b32 v2, s5
	flat_load_b64 v[11:12], v[1:2] offset:8
.LBB106_4:
	s_waitcnt vmcnt(1) lgkmcnt(1)
	v_cmp_eq_f64_e32 vcc_lo, 0, v[13:14]
	v_cmp_eq_f64_e64 s2, 0, v[15:16]
	s_delay_alu instid0(VALU_DEP_1)
	s_and_b32 s4, vcc_lo, s2
	s_mov_b32 s2, -1
	s_and_saveexec_b32 s3, s4
	s_cbranch_execz .LBB106_6
; %bb.5:
	s_waitcnt vmcnt(0) lgkmcnt(0)
	v_cmp_neq_f64_e32 vcc_lo, 1.0, v[9:10]
	v_cmp_neq_f64_e64 s2, 0, v[11:12]
	s_delay_alu instid0(VALU_DEP_1) | instskip(NEXT) | instid1(SALU_CYCLE_1)
	s_or_b32 s2, vcc_lo, s2
	s_or_not1_b32 s2, s2, exec_lo
.LBB106_6:
	s_or_b32 exec_lo, exec_lo, s3
	s_and_saveexec_b32 s3, s2
	s_cbranch_execz .LBB106_121
; %bb.7:
	s_clause 0x2
	s_load_b64 s[2:3], s[0:1], 0x10
	s_load_b64 s[6:7], s[0:1], 0x20
	s_load_b64 s[24:25], s[0:1], 0x68
	s_ashr_i32 s37, s36, 31
	s_delay_alu instid0(SALU_CYCLE_1)
	s_lshl_b64 s[4:5], s[36:37], 3
	s_waitcnt lgkmcnt(0)
	s_add_u32 s2, s2, s4
	s_addc_u32 s3, s3, s5
	s_load_b128 s[20:23], s[2:3], 0x0
	s_load_b256 s[12:19], s[0:1], 0x38
	s_waitcnt lgkmcnt(0)
	s_sub_u32 s2, s22, s20
	s_subb_u32 s3, s23, s21
	s_add_u32 s4, s6, s4
	s_addc_u32 s5, s7, s5
	s_lshl_b64 s[6:7], s[20:21], 3
	s_delay_alu instid0(SALU_CYCLE_1) | instskip(SKIP_4) | instid1(VALU_DEP_1)
	s_add_u32 s30, s12, s6
	s_addc_u32 s31, s13, s7
	s_load_b64 s[26:27], s[4:5], 0x0
	s_load_b64 s[28:29], s[30:31], 0x0
	v_cmp_lt_i64_e64 s4, s[2:3], 2
	s_and_b32 vcc_lo, exec_lo, s4
	s_mov_b32 s4, -1
	s_cbranch_vccz .LBB106_77
; %bb.8:
	s_cmp_lg_u64 s[2:3], 1
	s_cselect_b32 s2, -1, 0
	s_waitcnt lgkmcnt(0)
	s_cmp_lg_u64 s[26:27], 0
	s_cselect_b32 s3, -1, 0
	s_delay_alu instid0(SALU_CYCLE_1) | instskip(NEXT) | instid1(SALU_CYCLE_1)
	s_or_b32 s2, s2, s3
	s_and_b32 vcc_lo, exec_lo, s2
	s_mov_b32 s2, -1
	s_cbranch_vccnz .LBB106_37
; %bb.9:
	v_cmp_le_i64_e64 s2, s[22:23], s[20:21]
	s_delay_alu instid0(VALU_DEP_1)
	s_and_b32 vcc_lo, exec_lo, s2
	s_cbranch_vccnz .LBB106_36
; %bb.10:
	s_waitcnt vmcnt(0)
	v_cmp_neq_f64_e32 vcc_lo, 0, v[9:10]
	v_cmp_neq_f64_e64 s10, 0, v[11:12]
	v_mul_f64 v[5:6], 0x80000000, v[15:16]
	v_mul_f64 v[7:8], v[13:14], 0
	v_sub_co_u32 v23, s2, v0, s34
	s_delay_alu instid0(VALU_DEP_1)
	v_sub_co_ci_u32_e64 v24, null, 0, 0, s2
	v_dual_mov_b32 v26, 0 :: v_dual_lshlrev_b32 v25, 4, v0
	v_cmp_gt_u32_e64 s2, 0x80, v0
	v_cmp_gt_u32_e64 s3, 64, v0
	;; [unrolled: 1-line block ×7, first 2 shown]
	v_cmp_eq_u32_e64 s9, 0, v0
	s_mov_b64 s[38:39], s[28:29]
	s_mov_b64 s[40:41], s[20:21]
	s_or_b32 s11, vcc_lo, s10
	s_add_u32 s33, s12, 8
	s_addc_u32 s35, s13, 0
	s_branch .LBB106_13
.LBB106_11:                             ;   in Loop: Header=BB106_13 Depth=1
	s_or_b32 exec_lo, exec_lo, s42
	s_lshl_b64 s[42:43], s[40:41], 4
	s_delay_alu instid0(SALU_CYCLE_1)
	s_add_u32 s42, s24, s42
	s_addc_u32 s43, s25, s43
	s_waitcnt lgkmcnt(0)
	global_store_b128 v26, v[1:4], s[42:43]
.LBB106_12:                             ;   in Loop: Header=BB106_13 Depth=1
	s_or_b32 exec_lo, exec_lo, s10
	s_add_u32 s40, s40, 1
	s_addc_u32 s41, s41, 0
	s_delay_alu instid0(SALU_CYCLE_1) | instskip(NEXT) | instid1(VALU_DEP_1)
	v_cmp_ge_i64_e64 s10, s[40:41], s[22:23]
	s_and_b32 vcc_lo, exec_lo, s10
	s_cbranch_vccnz .LBB106_36
.LBB106_13:                             ; =>This Loop Header: Depth=1
                                        ;     Child Loop BB106_15 Depth 2
	s_lshl_b64 s[42:43], s[40:41], 3
	s_mov_b64 s[44:45], s[38:39]
	s_add_u32 s42, s33, s42
	s_addc_u32 s43, s35, s43
	v_mov_b32_e32 v3, 0
	s_load_b64 s[38:39], s[42:43], 0x0
	v_mov_b32_e32 v4, 0
	v_add_co_u32 v17, vcc_lo, s44, v23
	v_add_co_ci_u32_e32 v18, vcc_lo, s45, v24, vcc_lo
	s_delay_alu instid0(VALU_DEP_3) | instskip(SKIP_4) | instid1(SALU_CYCLE_1)
	v_dual_mov_b32 v1, v3 :: v_dual_mov_b32 v2, v4
	s_mov_b32 s44, exec_lo
	s_waitcnt lgkmcnt(0)
	s_sub_u32 s42, s38, s34
	s_subb_u32 s43, s39, 0
	v_cmpx_gt_i64_e64 s[42:43], v[17:18]
	s_cbranch_execz .LBB106_17
; %bb.14:                               ;   in Loop: Header=BB106_13 Depth=1
	v_lshlrev_b64 v[1:2], 3, v[17:18]
	v_mov_b32_e32 v3, 0
	v_mov_b32_e32 v4, 0
	s_mov_b32 s45, 0
	s_delay_alu instid0(VALU_DEP_3) | instskip(NEXT) | instid1(VALU_DEP_4)
	v_add_co_u32 v19, vcc_lo, s16, v1
	v_add_co_ci_u32_e32 v20, vcc_lo, s17, v2, vcc_lo
	v_add_co_u32 v21, vcc_lo, s14, v1
	v_add_co_ci_u32_e32 v22, vcc_lo, s15, v2, vcc_lo
	v_dual_mov_b32 v1, v3 :: v_dual_mov_b32 v2, v4
	s_set_inst_prefetch_distance 0x1
	.p2align	6
.LBB106_15:                             ;   Parent Loop BB106_13 Depth=1
                                        ; =>  This Inner Loop Header: Depth=2
	global_load_b64 v[27:28], v[21:22], off
	global_load_b64 v[31:32], v[19:20], off
	v_add_co_u32 v21, s10, 0x800, v21
	s_delay_alu instid0(VALU_DEP_1)
	v_add_co_ci_u32_e64 v22, s10, 0, v22, s10
	s_waitcnt vmcnt(1)
	v_sub_co_u32 v27, vcc_lo, v27, s34
	v_subrev_co_ci_u32_e32 v28, vcc_lo, 0, v28, vcc_lo
	s_waitcnt vmcnt(0)
	v_fma_f64 v[33:34], v[13:14], v[31:32], v[5:6]
	v_fma_f64 v[31:32], v[15:16], v[31:32], v[7:8]
	s_delay_alu instid0(VALU_DEP_3) | instskip(NEXT) | instid1(VALU_DEP_1)
	v_lshlrev_b64 v[27:28], 4, v[27:28]
	v_add_co_u32 v27, vcc_lo, s18, v27
	s_delay_alu instid0(VALU_DEP_2)
	v_add_co_ci_u32_e32 v28, vcc_lo, s19, v28, vcc_lo
	v_add_co_u32 v17, vcc_lo, 0x100, v17
	v_add_co_ci_u32_e32 v18, vcc_lo, 0, v18, vcc_lo
	global_load_b128 v[27:30], v[27:28], off
	v_add_co_u32 v19, vcc_lo, 0x800, v19
	v_add_co_ci_u32_e32 v20, vcc_lo, 0, v20, vcc_lo
	v_cmp_le_i64_e32 vcc_lo, s[42:43], v[17:18]
	s_or_b32 s45, vcc_lo, s45
	s_waitcnt vmcnt(0)
	v_fma_f64 v[1:2], v[33:34], v[27:28], v[1:2]
	v_fma_f64 v[3:4], v[31:32], v[27:28], v[3:4]
	s_delay_alu instid0(VALU_DEP_2) | instskip(NEXT) | instid1(VALU_DEP_2)
	v_fma_f64 v[1:2], -v[31:32], v[29:30], v[1:2]
	v_fma_f64 v[3:4], v[33:34], v[29:30], v[3:4]
	s_and_not1_b32 exec_lo, exec_lo, s45
	s_cbranch_execnz .LBB106_15
; %bb.16:                               ;   in Loop: Header=BB106_13 Depth=1
	s_set_inst_prefetch_distance 0x2
	s_or_b32 exec_lo, exec_lo, s45
.LBB106_17:                             ;   in Loop: Header=BB106_13 Depth=1
	s_delay_alu instid0(SALU_CYCLE_1)
	s_or_b32 exec_lo, exec_lo, s44
	ds_store_b128 v25, v[1:4]
	s_waitcnt lgkmcnt(0)
	s_waitcnt_vscnt null, 0x0
	s_barrier
	buffer_gl0_inv
	s_and_saveexec_b32 s10, s2
	s_cbranch_execz .LBB106_19
; %bb.18:                               ;   in Loop: Header=BB106_13 Depth=1
	ds_load_b128 v[1:4], v25 offset:2048
	ds_load_b128 v[17:20], v25
	s_waitcnt lgkmcnt(0)
	v_add_f64 v[1:2], v[1:2], v[17:18]
	v_add_f64 v[3:4], v[3:4], v[19:20]
	ds_store_b128 v25, v[1:4]
.LBB106_19:                             ;   in Loop: Header=BB106_13 Depth=1
	s_or_b32 exec_lo, exec_lo, s10
	s_waitcnt lgkmcnt(0)
	s_barrier
	buffer_gl0_inv
	s_and_saveexec_b32 s10, s3
	s_cbranch_execz .LBB106_21
; %bb.20:                               ;   in Loop: Header=BB106_13 Depth=1
	ds_load_b128 v[1:4], v25 offset:1024
	ds_load_b128 v[17:20], v25
	s_waitcnt lgkmcnt(0)
	v_add_f64 v[1:2], v[1:2], v[17:18]
	v_add_f64 v[3:4], v[3:4], v[19:20]
	ds_store_b128 v25, v[1:4]
.LBB106_21:                             ;   in Loop: Header=BB106_13 Depth=1
	s_or_b32 exec_lo, exec_lo, s10
	s_waitcnt lgkmcnt(0)
	;; [unrolled: 14-line block ×6, first 2 shown]
	s_barrier
	buffer_gl0_inv
	s_and_saveexec_b32 s10, s8
	s_cbranch_execz .LBB106_31
; %bb.30:                               ;   in Loop: Header=BB106_13 Depth=1
	ds_load_b128 v[1:4], v25
	ds_load_b128 v[17:20], v25 offset:32
	s_waitcnt lgkmcnt(0)
	v_add_f64 v[1:2], v[17:18], v[1:2]
	v_add_f64 v[3:4], v[19:20], v[3:4]
	ds_store_b128 v25, v[1:4]
.LBB106_31:                             ;   in Loop: Header=BB106_13 Depth=1
	s_or_b32 exec_lo, exec_lo, s10
	s_waitcnt lgkmcnt(0)
	s_barrier
	buffer_gl0_inv
	s_and_saveexec_b32 s10, s9
	s_cbranch_execz .LBB106_33
; %bb.32:                               ;   in Loop: Header=BB106_13 Depth=1
	ds_load_b128 v[1:4], v26
	ds_load_b128 v[17:20], v26 offset:16
	s_waitcnt lgkmcnt(0)
	v_add_f64 v[1:2], v[17:18], v[1:2]
	v_add_f64 v[3:4], v[19:20], v[3:4]
	ds_store_b128 v26, v[1:4]
.LBB106_33:                             ;   in Loop: Header=BB106_13 Depth=1
	s_or_b32 exec_lo, exec_lo, s10
	s_waitcnt lgkmcnt(0)
	s_barrier
	buffer_gl0_inv
	s_and_saveexec_b32 s10, s9
	s_cbranch_execz .LBB106_12
; %bb.34:                               ;   in Loop: Header=BB106_13 Depth=1
	ds_load_b128 v[1:4], v26
	s_and_saveexec_b32 s42, s11
	s_cbranch_execz .LBB106_11
; %bb.35:                               ;   in Loop: Header=BB106_13 Depth=1
	s_lshl_b64 s[44:45], s[40:41], 4
	s_delay_alu instid0(SALU_CYCLE_1)
	s_add_u32 s44, s24, s44
	s_addc_u32 s45, s25, s45
	global_load_b128 v[17:20], v26, s[44:45]
	s_waitcnt vmcnt(0) lgkmcnt(0)
	v_fma_f64 v[1:2], v[9:10], v[17:18], v[1:2]
	v_fma_f64 v[3:4], v[11:12], v[17:18], v[3:4]
	s_delay_alu instid0(VALU_DEP_2) | instskip(NEXT) | instid1(VALU_DEP_2)
	v_fma_f64 v[1:2], -v[11:12], v[19:20], v[1:2]
	v_fma_f64 v[3:4], v[9:10], v[19:20], v[3:4]
	s_branch .LBB106_11
.LBB106_36:
	s_mov_b32 s2, 0
.LBB106_37:
	s_delay_alu instid0(SALU_CYCLE_1)
	s_and_not1_b32 vcc_lo, exec_lo, s2
	s_cbranch_vccnz .LBB106_76
; %bb.38:
	s_load_b64 s[6:7], s[0:1], 0x18
	s_sub_u32 s8, s36, s26
	s_subb_u32 s9, s37, s27
	s_lshl_b64 s[2:3], s[36:37], 2
	v_mov_b32_e32 v1, 0
	v_mov_b32_e32 v2, 0
	v_cmp_eq_u32_e32 vcc_lo, 0, v0
	s_delay_alu instid0(VALU_DEP_2)
	v_dual_mov_b32 v4, v2 :: v_dual_mov_b32 v3, v1
	s_waitcnt lgkmcnt(0)
	s_add_u32 s4, s6, s2
	s_addc_u32 s5, s7, s3
	s_cmp_eq_u64 s[26:27], 0
	s_load_b32 s33, s[4:5], 0x0
	s_cselect_b32 s2, -1, 0
	s_cmp_lg_u64 s[26:27], 0
	s_cselect_b32 s35, -1, 0
	s_and_b32 s2, vcc_lo, s2
	s_delay_alu instid0(SALU_CYCLE_1)
	s_and_saveexec_b32 s3, s2
	s_cbranch_execz .LBB106_42
; %bb.39:
	s_lshl_b64 s[36:37], s[20:21], 4
	v_mov_b32_e32 v17, 0
	s_add_u32 s36, s24, s36
	s_addc_u32 s37, s25, s37
	s_waitcnt vmcnt(0)
	v_add_f64 v[1:2], v[9:10], -1.0
	s_mov_b32 s10, exec_lo
	global_load_b128 v[3:6], v17, s[36:37]
	v_mbcnt_lo_u32_b32 v18, s10, 0
	s_mov_b32 s11, exec_lo
	s_waitcnt vmcnt(0) expcnt(0) lgkmcnt(0)
	s_waitcnt_vscnt null, 0x0
	v_mul_f64 v[7:8], v[5:6], -v[11:12]
	v_mul_f64 v[5:6], v[1:2], v[5:6]
	v_cmpx_eq_u32_e32 0, v18
	s_cbranch_execz .LBB106_41
; %bb.40:
	s_lshl_b64 s[36:37], s[8:9], 2
	s_delay_alu instid0(SALU_CYCLE_1) | instskip(SKIP_2) | instid1(SALU_CYCLE_1)
	s_add_u32 s36, s6, s36
	s_addc_u32 s37, s7, s37
	s_bcnt1_i32_b32 s2, s10
	s_and_b32 s2, s2, 1
	s_delay_alu instid0(SALU_CYCLE_1)
	v_mov_b32_e32 v18, s2
	global_atomic_xor_b32 v17, v18, s[36:37]
.LBB106_41:
	s_or_b32 exec_lo, exec_lo, s11
	s_delay_alu instid0(VALU_DEP_3) | instskip(NEXT) | instid1(VALU_DEP_3)
	v_fma_f64 v[1:2], v[1:2], v[3:4], v[7:8]
	v_fma_f64 v[3:4], v[11:12], v[3:4], v[5:6]
.LBB106_42:
	s_or_b32 exec_lo, exec_lo, s3
	s_load_b64 s[10:11], s[30:31], 0x8
	s_mul_i32 s2, s27, 0xc00
	s_mul_hi_u32 s3, s26, 0xc00
	s_delay_alu instid0(SALU_CYCLE_1)
	s_add_i32 s2, s3, s2
	s_mul_i32 s3, s26, 0xc00
	s_sub_u32 s36, s28, s34
	s_subb_u32 s37, s29, 0
	s_add_u32 s3, s36, s3
	s_addc_u32 s37, s37, s2
	v_add_co_u32 v5, s2, s3, v0
	s_delay_alu instid0(VALU_DEP_1) | instskip(SKIP_4) | instid1(SALU_CYCLE_1)
	v_add_co_ci_u32_e64 v6, null, s37, 0, s2
	s_mov_b32 s36, exec_lo
	s_waitcnt lgkmcnt(0)
	s_sub_u32 s10, s10, s34
	s_subb_u32 s11, s11, 0
	v_cmpx_gt_i64_e64 s[10:11], v[5:6]
	s_cbranch_execz .LBB106_46
; %bb.43:
	v_mul_f64 v[7:8], 0x80000000, v[15:16]
	v_mul_f64 v[17:18], v[13:14], 0
	s_add_u32 s38, s3, 0xc00
	s_addc_u32 s39, s37, 0
	v_lshlrev_b64 v[21:22], 3, v[5:6]
	v_cmp_lt_i64_e64 s2, s[38:39], s[10:11]
	s_mov_b32 s37, 0
	s_delay_alu instid0(VALU_DEP_1) | instskip(NEXT) | instid1(VALU_DEP_2)
	s_and_b32 s2, s2, exec_lo
	v_add_co_u32 v19, s2, s16, v21
	s_delay_alu instid0(VALU_DEP_1) | instskip(SKIP_1) | instid1(VALU_DEP_1)
	v_add_co_ci_u32_e64 v20, s2, s17, v22, s2
	v_add_co_u32 v21, s2, s14, v21
	v_add_co_ci_u32_e64 v22, s2, s15, v22, s2
	s_cselect_b32 s11, s39, s11
	s_cselect_b32 s10, s38, s10
	s_set_inst_prefetch_distance 0x1
	.p2align	6
.LBB106_44:                             ; =>This Inner Loop Header: Depth=1
	global_load_b64 v[23:24], v[21:22], off
	global_load_b64 v[27:28], v[19:20], off
	v_add_co_u32 v21, s3, 0x800, v21
	s_delay_alu instid0(VALU_DEP_1) | instskip(SKIP_2) | instid1(VALU_DEP_1)
	v_add_co_ci_u32_e64 v22, s3, 0, v22, s3
	s_waitcnt vmcnt(1)
	v_sub_co_u32 v23, s2, v23, s34
	v_subrev_co_ci_u32_e64 v24, s2, 0, v24, s2
	s_waitcnt vmcnt(0)
	v_fma_f64 v[29:30], v[13:14], v[27:28], v[7:8]
	v_fma_f64 v[27:28], v[15:16], v[27:28], v[17:18]
	s_delay_alu instid0(VALU_DEP_3) | instskip(NEXT) | instid1(VALU_DEP_1)
	v_lshlrev_b64 v[23:24], 4, v[23:24]
	v_add_co_u32 v23, s2, s18, v23
	s_delay_alu instid0(VALU_DEP_1) | instskip(SKIP_1) | instid1(VALU_DEP_1)
	v_add_co_ci_u32_e64 v24, s2, s19, v24, s2
	v_add_co_u32 v5, s2, 0x100, v5
	v_add_co_ci_u32_e64 v6, s2, 0, v6, s2
	global_load_b128 v[23:26], v[23:24], off
	v_add_co_u32 v19, s2, 0x800, v19
	s_delay_alu instid0(VALU_DEP_1) | instskip(SKIP_1) | instid1(VALU_DEP_1)
	v_add_co_ci_u32_e64 v20, s2, 0, v20, s2
	v_cmp_le_i64_e64 s2, s[10:11], v[5:6]
	s_or_b32 s37, s2, s37
	s_waitcnt vmcnt(0)
	v_fma_f64 v[1:2], v[29:30], v[23:24], v[1:2]
	v_fma_f64 v[3:4], v[27:28], v[23:24], v[3:4]
	s_delay_alu instid0(VALU_DEP_2) | instskip(NEXT) | instid1(VALU_DEP_2)
	v_fma_f64 v[1:2], -v[27:28], v[25:26], v[1:2]
	v_fma_f64 v[3:4], v[29:30], v[25:26], v[3:4]
	s_and_not1_b32 exec_lo, exec_lo, s37
	s_cbranch_execnz .LBB106_44
; %bb.45:
	s_set_inst_prefetch_distance 0x2
	s_or_b32 exec_lo, exec_lo, s37
.LBB106_46:
	s_delay_alu instid0(SALU_CYCLE_1)
	s_or_b32 exec_lo, exec_lo, s36
	v_lshlrev_b32_e32 v5, 4, v0
	s_mov_b32 s3, exec_lo
	ds_store_b128 v5, v[1:4]
	s_waitcnt vmcnt(0) lgkmcnt(0)
	s_waitcnt_vscnt null, 0x0
	s_barrier
	buffer_gl0_inv
	v_cmpx_gt_u32_e32 0x80, v0
	s_cbranch_execz .LBB106_48
; %bb.47:
	ds_load_b128 v[1:4], v5 offset:2048
	ds_load_b128 v[17:20], v5
	s_waitcnt lgkmcnt(0)
	v_add_f64 v[1:2], v[1:2], v[17:18]
	v_add_f64 v[3:4], v[3:4], v[19:20]
	ds_store_b128 v5, v[1:4]
.LBB106_48:
	s_or_b32 exec_lo, exec_lo, s3
	s_delay_alu instid0(SALU_CYCLE_1)
	s_mov_b32 s3, exec_lo
	s_waitcnt lgkmcnt(0)
	s_barrier
	buffer_gl0_inv
	v_cmpx_gt_u32_e32 64, v0
	s_cbranch_execz .LBB106_50
; %bb.49:
	ds_load_b128 v[1:4], v5 offset:1024
	ds_load_b128 v[17:20], v5
	s_waitcnt lgkmcnt(0)
	v_add_f64 v[1:2], v[1:2], v[17:18]
	v_add_f64 v[3:4], v[3:4], v[19:20]
	ds_store_b128 v5, v[1:4]
.LBB106_50:
	s_or_b32 exec_lo, exec_lo, s3
	s_delay_alu instid0(SALU_CYCLE_1)
	s_mov_b32 s3, exec_lo
	s_waitcnt lgkmcnt(0)
	;; [unrolled: 16-line block ×6, first 2 shown]
	s_barrier
	buffer_gl0_inv
	v_cmpx_gt_u32_e32 2, v0
	s_cbranch_execz .LBB106_60
; %bb.59:
	ds_load_b128 v[1:4], v5
	ds_load_b128 v[17:20], v5 offset:32
	s_waitcnt lgkmcnt(0)
	v_add_f64 v[1:2], v[17:18], v[1:2]
	v_add_f64 v[3:4], v[19:20], v[3:4]
	ds_store_b128 v5, v[1:4]
.LBB106_60:
	s_or_b32 exec_lo, exec_lo, s3
	s_waitcnt lgkmcnt(0)
	s_barrier
	buffer_gl0_inv
	s_and_saveexec_b32 s2, vcc_lo
	s_cbranch_execz .LBB106_62
; %bb.61:
	v_mov_b32_e32 v17, 0
	ds_load_b128 v[1:4], v17
	ds_load_b128 v[5:8], v17 offset:16
	s_waitcnt lgkmcnt(0)
	v_add_f64 v[1:2], v[5:6], v[1:2]
	v_add_f64 v[3:4], v[7:8], v[3:4]
	ds_store_b128 v17, v[1:4]
.LBB106_62:
	s_or_b32 exec_lo, exec_lo, s2
	s_waitcnt lgkmcnt(0)
	s_barrier
	buffer_gl0_inv
	s_and_saveexec_b32 s10, vcc_lo
	s_cbranch_execz .LBB106_75
; %bb.63:
	s_and_not1_b32 vcc_lo, exec_lo, s35
	s_cbranch_vccnz .LBB106_69
; %bb.64:
	s_lshl_b64 s[2:3], s[8:9], 2
	v_mov_b32_e32 v1, 0
	s_add_u32 s2, s6, s2
	s_addc_u32 s3, s7, s3
	s_branch .LBB106_66
.LBB106_65:                             ;   in Loop: Header=BB106_66 Depth=1
	s_or_b32 exec_lo, exec_lo, s6
	s_waitcnt vmcnt(0)
	v_readfirstlane_b32 s6, v2
	s_delay_alu instid0(VALU_DEP_1)
	s_cmp_eq_u32 s6, s33
	s_cbranch_scc0 .LBB106_68
.LBB106_66:                             ; =>This Inner Loop Header: Depth=1
	v_mbcnt_lo_u32_b32 v2, exec_lo, 0
	s_delay_alu instid0(VALU_DEP_1)
	v_cmp_eq_u32_e32 vcc_lo, 0, v2
                                        ; implicit-def: $vgpr2
	s_and_saveexec_b32 s6, vcc_lo
	s_cbranch_execz .LBB106_65
; %bb.67:                               ;   in Loop: Header=BB106_66 Depth=1
	global_load_b32 v2, v1, s[2:3] glc
	s_branch .LBB106_65
.LBB106_68:
	v_mov_b32_e32 v1, 0
	global_load_b32 v2, v1, s[4:5]
	s_waitcnt vmcnt(0)
	v_xor_b32_e32 v2, 1, v2
	global_store_b32 v1, v2, s[4:5]
.LBB106_69:
	v_mov_b32_e32 v17, 0
	s_mov_b32 s6, exec_lo
	s_lshl_b64 s[2:3], s[20:21], 4
	v_mbcnt_lo_u32_b32 v5, s6, 0
	s_add_u32 s2, s24, s2
	ds_load_b128 v[1:4], v17
	s_addc_u32 s3, s25, s3
	s_mov_b32 s5, 0
	s_mov_b32 s4, exec_lo
	v_cmpx_eq_u32_e32 0, v5
	s_cbranch_execz .LBB106_72
; %bb.70:
	global_load_b64 v[7:8], v17, s[2:3]
	s_bcnt1_i32_b32 s6, s6
	s_delay_alu instid0(SALU_CYCLE_1) | instskip(SKIP_1) | instid1(VALU_DEP_1)
	v_cvt_f64_u32_e32 v[5:6], s6
	s_waitcnt lgkmcnt(0)
	v_mul_f64 v[1:2], v[1:2], v[5:6]
.LBB106_71:                             ; =>This Inner Loop Header: Depth=1
	s_waitcnt vmcnt(0)
	s_delay_alu instid0(VALU_DEP_1)
	v_add_f64 v[5:6], v[7:8], v[1:2]
	global_atomic_cmpswap_b64 v[5:6], v17, v[5:8], s[2:3] glc
	s_waitcnt vmcnt(0)
	v_cmp_eq_u64_e32 vcc_lo, v[5:6], v[7:8]
	v_dual_mov_b32 v8, v6 :: v_dual_mov_b32 v7, v5
	s_or_b32 s5, vcc_lo, s5
	s_delay_alu instid0(SALU_CYCLE_1)
	s_and_not1_b32 exec_lo, exec_lo, s5
	s_cbranch_execnz .LBB106_71
.LBB106_72:
	s_or_b32 exec_lo, exec_lo, s4
	s_delay_alu instid0(SALU_CYCLE_1) | instskip(SKIP_3) | instid1(VALU_DEP_1)
	s_mov_b32 s5, exec_lo
	s_mov_b32 s4, 0
	s_waitcnt lgkmcnt(0)
	v_mbcnt_lo_u32_b32 v1, s5, 0
	v_cmp_eq_u32_e32 vcc_lo, 0, v1
	s_and_b32 s6, exec_lo, vcc_lo
	s_delay_alu instid0(SALU_CYCLE_1)
	s_mov_b32 exec_lo, s6
	s_cbranch_execz .LBB106_75
; %bb.73:
	v_mov_b32_e32 v7, 0
	s_bcnt1_i32_b32 s5, s5
	s_delay_alu instid0(SALU_CYCLE_1)
	v_cvt_f64_u32_e32 v[1:2], s5
	global_load_b64 v[5:6], v7, s[2:3] offset:8
	v_mul_f64 v[1:2], v[3:4], v[1:2]
.LBB106_74:                             ; =>This Inner Loop Header: Depth=1
	s_waitcnt vmcnt(0)
	s_delay_alu instid0(VALU_DEP_1)
	v_add_f64 v[3:4], v[5:6], v[1:2]
	global_atomic_cmpswap_b64 v[3:4], v7, v[3:6], s[2:3] offset:8 glc
	s_waitcnt vmcnt(0)
	v_cmp_eq_u64_e32 vcc_lo, v[3:4], v[5:6]
	v_dual_mov_b32 v6, v4 :: v_dual_mov_b32 v5, v3
	s_or_b32 s4, vcc_lo, s4
	s_delay_alu instid0(SALU_CYCLE_1)
	s_and_not1_b32 exec_lo, exec_lo, s4
	s_cbranch_execnz .LBB106_74
.LBB106_75:
	s_or_b32 exec_lo, exec_lo, s10
.LBB106_76:
	s_mov_b32 s4, 0
.LBB106_77:
	s_delay_alu instid0(SALU_CYCLE_1)
	s_and_not1_b32 vcc_lo, exec_lo, s4
	s_cbranch_vccnz .LBB106_121
; %bb.78:
	s_load_b64 s[0:1], s[0:1], 0x8
	v_sub_co_u32 v1, s2, v0, s34
	s_delay_alu instid0(VALU_DEP_1) | instskip(SKIP_1) | instid1(VALU_DEP_2)
	v_sub_co_ci_u32_e64 v2, null, 0, 0, s2
	s_waitcnt lgkmcnt(0)
	v_add_co_u32 v1, vcc_lo, s28, v1
	s_delay_alu instid0(VALU_DEP_2) | instskip(NEXT) | instid1(VALU_DEP_2)
	v_add_co_ci_u32_e32 v2, vcc_lo, s29, v2, vcc_lo
	v_add_co_u32 v3, vcc_lo, 0x300, v1
	s_delay_alu instid0(VALU_DEP_2) | instskip(NEXT) | instid1(VALU_DEP_1)
	v_add_co_ci_u32_e32 v4, vcc_lo, 0, v2, vcc_lo
	v_cmp_le_i64_e32 vcc_lo, s[0:1], v[3:4]
	s_and_saveexec_b32 s0, vcc_lo
	s_delay_alu instid0(SALU_CYCLE_1)
	s_xor_b32 s1, exec_lo, s0
	s_cbranch_execz .LBB106_83
; %bb.79:
	s_lshl_b64 s[2:3], s[22:23], 3
	s_mov_b32 s4, exec_lo
	s_add_u32 s2, s12, s2
	s_addc_u32 s3, s13, s3
	s_load_b64 s[2:3], s[2:3], 0x0
	s_waitcnt lgkmcnt(0)
	s_sub_u32 s2, s2, s34
	s_subb_u32 s3, s3, 0
	s_delay_alu instid0(SALU_CYCLE_1)
	v_cmpx_gt_i64_e64 s[2:3], v[1:2]
	s_cbranch_execz .LBB106_82
; %bb.80:
	v_mul_f64 v[3:4], 0x80000000, v[15:16]
	v_mul_f64 v[5:6], v[13:14], 0
	v_lshlrev_b64 v[17:18], 3, v[1:2]
	v_lshlrev_b32_e32 v19, 4, v0
	s_mov_b32 s5, 0
	s_delay_alu instid0(VALU_DEP_2) | instskip(NEXT) | instid1(VALU_DEP_3)
	v_add_co_u32 v7, vcc_lo, s16, v17
	v_add_co_ci_u32_e32 v8, vcc_lo, s17, v18, vcc_lo
	v_add_co_u32 v17, vcc_lo, s14, v17
	v_add_co_ci_u32_e32 v18, vcc_lo, s15, v18, vcc_lo
	s_set_inst_prefetch_distance 0x1
	.p2align	6
.LBB106_81:                             ; =>This Inner Loop Header: Depth=1
	global_load_b64 v[20:21], v[17:18], off
	global_load_b64 v[24:25], v[7:8], off
	s_waitcnt vmcnt(1)
	v_sub_co_u32 v20, vcc_lo, v20, s34
	v_subrev_co_ci_u32_e32 v21, vcc_lo, 0, v21, vcc_lo
	s_waitcnt vmcnt(0)
	v_fma_f64 v[26:27], v[15:16], v[24:25], v[5:6]
	v_fma_f64 v[24:25], v[13:14], v[24:25], v[3:4]
	s_delay_alu instid0(VALU_DEP_3) | instskip(NEXT) | instid1(VALU_DEP_1)
	v_lshlrev_b64 v[20:21], 4, v[20:21]
	v_add_co_u32 v20, vcc_lo, s18, v20
	s_delay_alu instid0(VALU_DEP_2)
	v_add_co_ci_u32_e32 v21, vcc_lo, s19, v21, vcc_lo
	v_add_co_u32 v1, vcc_lo, 0x100, v1
	v_add_co_ci_u32_e32 v2, vcc_lo, 0, v2, vcc_lo
	global_load_b128 v[20:23], v[20:21], off
	v_add_co_u32 v7, vcc_lo, 0x800, v7
	v_add_co_ci_u32_e32 v8, vcc_lo, 0, v8, vcc_lo
	v_cmp_le_i64_e64 s0, s[2:3], v[1:2]
	v_add_co_u32 v17, vcc_lo, 0x800, v17
	v_add_co_ci_u32_e32 v18, vcc_lo, 0, v18, vcc_lo
	s_delay_alu instid0(VALU_DEP_3) | instskip(SKIP_3) | instid1(VALU_DEP_2)
	s_or_b32 s5, s0, s5
	s_waitcnt vmcnt(0)
	v_mul_f64 v[28:29], v[22:23], -v[26:27]
	v_mul_f64 v[30:31], v[24:25], v[22:23]
	v_fma_f64 v[22:23], v[24:25], v[20:21], v[28:29]
	s_delay_alu instid0(VALU_DEP_2)
	v_fma_f64 v[24:25], v[26:27], v[20:21], v[30:31]
	ds_store_b128 v19, v[22:25]
	v_add_nc_u32_e32 v19, 0x1000, v19
	s_and_not1_b32 exec_lo, exec_lo, s5
	s_cbranch_execnz .LBB106_81
.LBB106_82:
	s_set_inst_prefetch_distance 0x2
	s_or_b32 exec_lo, exec_lo, s4
                                        ; implicit-def: $vgpr15_vgpr16
                                        ; implicit-def: $vgpr13_vgpr14
                                        ; implicit-def: $vgpr1_vgpr2
.LBB106_83:
	s_or_saveexec_b32 s0, s1
	v_lshlrev_b32_e32 v17, 4, v0
	s_xor_b32 exec_lo, exec_lo, s0
	s_cbranch_execz .LBB106_85
; %bb.84:
	v_lshlrev_b64 v[1:2], 3, v[1:2]
	v_mul_f64 v[34:35], v[13:14], 0
	v_mul_f64 v[36:37], 0x80000000, v[15:16]
	s_delay_alu instid0(VALU_DEP_3) | instskip(NEXT) | instid1(VALU_DEP_4)
	v_add_co_u32 v3, vcc_lo, s14, v1
	v_add_co_ci_u32_e32 v4, vcc_lo, s15, v2, vcc_lo
	s_delay_alu instid0(VALU_DEP_2)
	v_add_co_u32 v7, vcc_lo, 0x1000, v3
	global_load_b64 v[5:6], v[3:4], off
	v_add_co_ci_u32_e32 v8, vcc_lo, 0, v4, vcc_lo
	v_add_co_u32 v1, vcc_lo, s16, v1
	s_clause 0x2
	global_load_b64 v[3:4], v[3:4], off offset:2048
	global_load_b64 v[18:19], v[7:8], off
	global_load_b64 v[7:8], v[7:8], off offset:2048
	v_add_co_ci_u32_e32 v2, vcc_lo, s17, v2, vcc_lo
	v_add_co_u32 v20, vcc_lo, 0x1000, v1
	s_delay_alu instid0(VALU_DEP_2)
	v_add_co_ci_u32_e32 v21, vcc_lo, 0, v2, vcc_lo
	s_clause 0x3
	global_load_b64 v[26:27], v[1:2], off
	global_load_b64 v[28:29], v[1:2], off offset:2048
	global_load_b64 v[30:31], v[20:21], off
	global_load_b64 v[32:33], v[20:21], off offset:2048
	s_waitcnt vmcnt(7)
	v_sub_co_u32 v1, vcc_lo, v5, s34
	v_subrev_co_ci_u32_e32 v2, vcc_lo, 0, v6, vcc_lo
	s_waitcnt vmcnt(6)
	v_sub_co_u32 v3, vcc_lo, v3, s34
	v_subrev_co_ci_u32_e32 v4, vcc_lo, 0, v4, vcc_lo
	s_waitcnt vmcnt(5)
	v_sub_co_u32 v5, vcc_lo, v18, s34
	v_lshlrev_b64 v[1:2], 4, v[1:2]
	v_subrev_co_ci_u32_e32 v6, vcc_lo, 0, v19, vcc_lo
	s_waitcnt vmcnt(4)
	v_sub_co_u32 v7, vcc_lo, v7, s34
	v_lshlrev_b64 v[3:4], 4, v[3:4]
	v_subrev_co_ci_u32_e32 v8, vcc_lo, 0, v8, vcc_lo
	v_lshlrev_b64 v[5:6], 4, v[5:6]
	v_add_co_u32 v1, vcc_lo, s18, v1
	v_add_co_ci_u32_e32 v2, vcc_lo, s19, v2, vcc_lo
	s_delay_alu instid0(VALU_DEP_4)
	v_lshlrev_b64 v[7:8], 4, v[7:8]
	v_add_co_u32 v18, vcc_lo, s18, v3
	v_add_co_ci_u32_e32 v19, vcc_lo, s19, v4, vcc_lo
	v_add_co_u32 v20, vcc_lo, s18, v5
	v_add_co_ci_u32_e32 v21, vcc_lo, s19, v6, vcc_lo
	v_add_co_u32 v22, vcc_lo, s18, v7
	global_load_b128 v[1:4], v[1:2], off
	v_add_co_ci_u32_e32 v23, vcc_lo, s19, v8, vcc_lo
	s_clause 0x2
	global_load_b128 v[5:8], v[18:19], off
	global_load_b128 v[18:21], v[20:21], off
	;; [unrolled: 1-line block ×3, first 2 shown]
	s_waitcnt vmcnt(7)
	v_fma_f64 v[38:39], v[15:16], v[26:27], v[34:35]
	v_fma_f64 v[26:27], v[13:14], v[26:27], v[36:37]
	s_waitcnt vmcnt(6)
	v_fma_f64 v[40:41], v[15:16], v[28:29], v[34:35]
	v_fma_f64 v[28:29], v[13:14], v[28:29], v[36:37]
	;; [unrolled: 3-line block ×4, first 2 shown]
	s_waitcnt vmcnt(3)
	v_mul_f64 v[13:14], v[3:4], -v[38:39]
	v_mul_f64 v[3:4], v[26:27], v[3:4]
	s_waitcnt vmcnt(2)
	v_mul_f64 v[36:37], v[7:8], -v[40:41]
	v_mul_f64 v[7:8], v[28:29], v[7:8]
	;; [unrolled: 3-line block ×4, first 2 shown]
	v_fma_f64 v[13:14], v[26:27], v[1:2], v[13:14]
	v_fma_f64 v[15:16], v[38:39], v[1:2], v[3:4]
	;; [unrolled: 1-line block ×8, first 2 shown]
	ds_store_b128 v17, v[13:16]
	ds_store_b128 v17, v[1:4] offset:4096
	ds_store_b128 v17, v[5:8] offset:8192
	ds_store_b128 v17, v[18:21] offset:12288
.LBB106_85:
	s_or_b32 exec_lo, exec_lo, s0
	v_cmp_lt_i64_e64 s0, s[26:27], 2
	s_waitcnt vmcnt(0) lgkmcnt(0)
	s_waitcnt_vscnt null, 0x0
	s_barrier
	buffer_gl0_inv
	s_and_b32 vcc_lo, exec_lo, s0
	s_mov_b32 s0, -1
	s_cbranch_vccz .LBB106_96
; %bb.86:
	v_add_co_u32 v13, s0, s20, v0
	s_delay_alu instid0(VALU_DEP_1) | instskip(SKIP_1) | instid1(VALU_DEP_1)
	v_add_co_ci_u32_e64 v14, null, s21, 0, s0
	s_mov_b32 s1, exec_lo
	v_cmpx_gt_i64_e64 s[22:23], v[13:14]
	s_cbranch_execz .LBB106_95
; %bb.87:
	v_cmp_neq_f64_e32 vcc_lo, 0, v[9:10]
	v_cmp_neq_f64_e64 s0, 0, v[11:12]
	s_lshl_b32 s4, s28, 4
	s_mov_b32 s2, 0
	s_sub_i32 s4, 0, s4
	s_delay_alu instid0(VALU_DEP_1)
	s_or_b32 s3, vcc_lo, s0
	s_branch .LBB106_89
.LBB106_88:                             ;   in Loop: Header=BB106_89 Depth=1
	s_or_b32 exec_lo, exec_lo, s0
	v_add_co_u32 v13, vcc_lo, 0x100, v13
	v_add_co_ci_u32_e32 v14, vcc_lo, 0, v14, vcc_lo
	v_add_co_u32 v5, s0, s24, v5
	s_delay_alu instid0(VALU_DEP_1) | instskip(NEXT) | instid1(VALU_DEP_3)
	v_add_co_ci_u32_e64 v6, s0, s25, v6, s0
	v_cmp_le_i64_e32 vcc_lo, s[22:23], v[13:14]
	global_store_b128 v[5:6], v[1:4], off
	s_or_b32 s2, vcc_lo, s2
	s_delay_alu instid0(SALU_CYCLE_1)
	s_and_not1_b32 exec_lo, exec_lo, s2
	s_cbranch_execz .LBB106_95
.LBB106_89:                             ; =>This Loop Header: Depth=1
                                        ;     Child Loop BB106_91 Depth 2
	v_lshlrev_b64 v[1:2], 3, v[13:14]
	v_mov_b32_e32 v3, 0
	v_mov_b32_e32 v4, 0
	s_mov_b32 s0, exec_lo
	s_delay_alu instid0(VALU_DEP_3) | instskip(NEXT) | instid1(VALU_DEP_4)
	v_add_co_u32 v1, vcc_lo, s12, v1
	v_add_co_ci_u32_e32 v2, vcc_lo, s13, v2, vcc_lo
	global_load_b128 v[5:8], v[1:2], off
	v_dual_mov_b32 v1, v3 :: v_dual_mov_b32 v2, v4
	s_waitcnt vmcnt(0)
	v_cmpx_lt_i64_e64 v[5:6], v[7:8]
	s_cbranch_execz .LBB106_93
; %bb.90:                               ;   in Loop: Header=BB106_89 Depth=1
	v_mov_b32_e32 v3, 0
	v_sub_co_u32 v7, vcc_lo, v7, s28
	v_mov_b32_e32 v4, 0
	v_subrev_co_ci_u32_e32 v8, vcc_lo, s29, v8, vcc_lo
	v_sub_co_u32 v15, vcc_lo, v5, s28
	v_subrev_co_ci_u32_e32 v16, vcc_lo, s29, v6, vcc_lo
	v_lshl_add_u32 v5, v5, 4, s4
	v_dual_mov_b32 v1, v3 :: v_dual_mov_b32 v2, v4
	s_mov_b32 s5, 0
.LBB106_91:                             ;   Parent Loop BB106_89 Depth=1
                                        ; =>  This Inner Loop Header: Depth=2
	ds_load_b128 v[18:21], v5
	v_add_co_u32 v15, vcc_lo, v15, 1
	v_add_co_ci_u32_e32 v16, vcc_lo, 0, v16, vcc_lo
	v_add_nc_u32_e32 v5, 16, v5
	s_delay_alu instid0(VALU_DEP_2)
	v_cmp_ge_i64_e32 vcc_lo, v[15:16], v[7:8]
	s_or_b32 s5, vcc_lo, s5
	s_waitcnt lgkmcnt(0)
	v_add_f64 v[1:2], v[1:2], v[18:19]
	v_add_f64 v[3:4], v[3:4], v[20:21]
	s_and_not1_b32 exec_lo, exec_lo, s5
	s_cbranch_execnz .LBB106_91
; %bb.92:                               ;   in Loop: Header=BB106_89 Depth=1
	s_or_b32 exec_lo, exec_lo, s5
.LBB106_93:                             ;   in Loop: Header=BB106_89 Depth=1
	s_delay_alu instid0(SALU_CYCLE_1)
	s_or_b32 exec_lo, exec_lo, s0
	v_lshlrev_b64 v[5:6], 4, v[13:14]
	s_and_saveexec_b32 s0, s3
	s_cbranch_execz .LBB106_88
; %bb.94:                               ;   in Loop: Header=BB106_89 Depth=1
	s_delay_alu instid0(VALU_DEP_1) | instskip(NEXT) | instid1(VALU_DEP_2)
	v_add_co_u32 v7, vcc_lo, s24, v5
	v_add_co_ci_u32_e32 v8, vcc_lo, s25, v6, vcc_lo
	global_load_b128 v[18:21], v[7:8], off
	s_waitcnt vmcnt(0)
	v_fma_f64 v[1:2], v[9:10], v[18:19], v[1:2]
	v_fma_f64 v[3:4], v[11:12], v[18:19], v[3:4]
	s_delay_alu instid0(VALU_DEP_2) | instskip(NEXT) | instid1(VALU_DEP_2)
	v_fma_f64 v[1:2], -v[11:12], v[20:21], v[1:2]
	v_fma_f64 v[3:4], v[9:10], v[20:21], v[3:4]
	s_branch .LBB106_88
.LBB106_95:
	s_or_b32 exec_lo, exec_lo, s1
	s_mov_b32 s0, 0
.LBB106_96:
	s_delay_alu instid0(SALU_CYCLE_1)
	s_and_not1_b32 vcc_lo, exec_lo, s0
	s_cbranch_vccnz .LBB106_121
; %bb.97:
	s_clz_i32_u32 s0, s26
	v_mov_b32_e32 v1, 0
	s_min_u32 s0, s0, 32
	s_mov_b32 s1, exec_lo
	s_sub_i32 s0, 31, s0
	s_delay_alu instid0(SALU_CYCLE_1) | instskip(NEXT) | instid1(VALU_DEP_1)
	v_lshrrev_b32_e32 v13, s0, v0
	v_add_co_u32 v5, s0, s20, v13
	s_delay_alu instid0(VALU_DEP_1) | instskip(SKIP_1) | instid1(SALU_CYCLE_1)
	v_add_co_ci_u32_e64 v6, null, s21, 0, s0
	s_add_i32 s0, s26, -1
	v_dual_mov_b32 v2, 0 :: v_dual_and_b32 v7, s0, v0
	v_and_b32_e64 v8, s0, 0
	s_delay_alu instid0(VALU_DEP_3) | instskip(NEXT) | instid1(VALU_DEP_3)
	v_cmp_le_i64_e64 s0, s[22:23], v[5:6]
	v_dual_mov_b32 v4, v2 :: v_dual_mov_b32 v3, v1
	v_cmpx_gt_i64_e64 s[22:23], v[5:6]
	s_cbranch_execz .LBB106_103
; %bb.98:
	v_lshlrev_b32_e32 v0, 3, v13
	v_sub_co_u32 v4, vcc_lo, v7, s28
	v_subrev_co_ci_u32_e32 v16, vcc_lo, s29, v8, vcc_lo
	global_load_b128 v[0:3], v0, s[30:31]
	s_mov_b32 s2, exec_lo
	s_waitcnt vmcnt(0)
	v_sub_co_u32 v13, vcc_lo, v2, s28
	v_subrev_co_ci_u32_e32 v14, vcc_lo, s29, v3, vcc_lo
	v_add_co_u32 v15, vcc_lo, v0, v4
	v_mov_b32_e32 v3, 0
	v_mov_b32_e32 v4, 0
	v_add_co_ci_u32_e32 v16, vcc_lo, v1, v16, vcc_lo
	s_delay_alu instid0(VALU_DEP_2) | instskip(NEXT) | instid1(VALU_DEP_2)
	v_dual_mov_b32 v1, v3 :: v_dual_mov_b32 v2, v4
	v_cmpx_lt_i64_e64 v[15:16], v[13:14]
	s_cbranch_execz .LBB106_102
; %bb.99:
	v_dual_mov_b32 v3, 0 :: v_dual_lshlrev_b32 v0, 4, v15
	v_mov_b32_e32 v4, 0
	s_delay_alu instid0(VALU_DEP_2) | instskip(SKIP_2) | instid1(VALU_DEP_2)
	v_mov_b32_e32 v1, v3
	s_lshl_b32 s4, s26, 4
	s_mov_b32 s3, 0
	v_mov_b32_e32 v2, v4
.LBB106_100:                            ; =>This Inner Loop Header: Depth=1
	ds_load_b128 v[18:21], v0
	v_add_co_u32 v15, vcc_lo, v15, s26
	v_add_co_ci_u32_e32 v16, vcc_lo, s27, v16, vcc_lo
	v_add_nc_u32_e32 v0, s4, v0
	s_delay_alu instid0(VALU_DEP_2)
	v_cmp_ge_i64_e32 vcc_lo, v[15:16], v[13:14]
	s_or_b32 s3, vcc_lo, s3
	s_waitcnt lgkmcnt(0)
	v_add_f64 v[1:2], v[1:2], v[18:19]
	v_add_f64 v[3:4], v[3:4], v[20:21]
	s_and_not1_b32 exec_lo, exec_lo, s3
	s_cbranch_execnz .LBB106_100
; %bb.101:
	s_or_b32 exec_lo, exec_lo, s3
.LBB106_102:
	s_delay_alu instid0(SALU_CYCLE_1)
	s_or_b32 exec_lo, exec_lo, s2
.LBB106_103:
	s_delay_alu instid0(SALU_CYCLE_1)
	s_or_b32 exec_lo, exec_lo, s1
	v_cmp_gt_i64_e64 s1, 0x81, s[26:27]
	s_waitcnt_vscnt null, 0x0
	s_barrier
	buffer_gl0_inv
	ds_store_b128 v17, v[1:4]
	s_waitcnt lgkmcnt(0)
	s_and_b32 vcc_lo, exec_lo, s1
	s_barrier
	buffer_gl0_inv
	s_cbranch_vccnz .LBB106_105
; %bb.104:
	ds_load_b128 v[13:16], v17 offset:2048
	s_waitcnt lgkmcnt(0)
	s_barrier
	buffer_gl0_inv
	v_add_f64 v[1:2], v[1:2], v[13:14]
	v_add_f64 v[3:4], v[3:4], v[15:16]
	ds_store_b128 v17, v[1:4]
.LBB106_105:
	v_cmp_gt_i64_e64 s1, 0x41, s[26:27]
	s_waitcnt lgkmcnt(0)
	s_barrier
	buffer_gl0_inv
	s_and_b32 vcc_lo, exec_lo, s1
	s_cbranch_vccnz .LBB106_107
; %bb.106:
	ds_load_b128 v[13:16], v17 offset:1024
	s_waitcnt lgkmcnt(0)
	s_barrier
	buffer_gl0_inv
	v_add_f64 v[1:2], v[1:2], v[13:14]
	v_add_f64 v[3:4], v[3:4], v[15:16]
	ds_store_b128 v17, v[1:4]
.LBB106_107:
	v_cmp_lt_i64_e64 s1, s[26:27], 33
	s_waitcnt lgkmcnt(0)
	s_barrier
	buffer_gl0_inv
	s_and_b32 vcc_lo, exec_lo, s1
	s_cbranch_vccnz .LBB106_109
; %bb.108:
	ds_load_b128 v[13:16], v17 offset:512
	s_waitcnt lgkmcnt(0)
	s_barrier
	buffer_gl0_inv
	v_add_f64 v[1:2], v[1:2], v[13:14]
	v_add_f64 v[3:4], v[3:4], v[15:16]
	ds_store_b128 v17, v[1:4]
.LBB106_109:
	v_cmp_lt_i64_e64 s1, s[26:27], 17
	;; [unrolled: 15-line block ×4, first 2 shown]
	s_waitcnt lgkmcnt(0)
	s_barrier
	buffer_gl0_inv
	s_and_b32 vcc_lo, exec_lo, s1
	s_cbranch_vccnz .LBB106_115
; %bb.114:
	ds_load_b128 v[13:16], v17 offset:64
	s_waitcnt lgkmcnt(0)
	s_barrier
	buffer_gl0_inv
	v_add_f64 v[1:2], v[1:2], v[13:14]
	v_add_f64 v[3:4], v[3:4], v[15:16]
	ds_store_b128 v17, v[1:4]
.LBB106_115:
	s_cmp_eq_u64 s[26:27], 2
	s_waitcnt lgkmcnt(0)
	s_barrier
	buffer_gl0_inv
	s_cbranch_scc1 .LBB106_117
; %bb.116:
	ds_load_b128 v[13:16], v17 offset:32
	s_waitcnt lgkmcnt(0)
	s_barrier
	buffer_gl0_inv
	v_add_f64 v[1:2], v[1:2], v[13:14]
	v_add_f64 v[3:4], v[3:4], v[15:16]
	ds_store_b128 v17, v[1:4]
.LBB106_117:
	s_waitcnt lgkmcnt(0)
	s_barrier
	buffer_gl0_inv
	ds_load_b128 v[13:16], v17 offset:16
	v_cmp_eq_u64_e32 vcc_lo, 0, v[7:8]
	s_xor_b32 s0, s0, -1
	s_waitcnt lgkmcnt(0)
	s_barrier
	buffer_gl0_inv
	s_and_b32 s0, vcc_lo, s0
	v_add_f64 v[0:1], v[1:2], v[13:14]
	v_add_f64 v[2:3], v[3:4], v[15:16]
	ds_store_b128 v17, v[0:3]
	s_and_b32 exec_lo, exec_lo, s0
	s_cbranch_execz .LBB106_121
; %bb.118:
	v_cmp_neq_f64_e32 vcc_lo, 0, v[9:10]
	v_cmp_neq_f64_e64 s0, 0, v[11:12]
	v_lshlrev_b64 v[4:5], 4, v[5:6]
	s_delay_alu instid0(VALU_DEP_2) | instskip(NEXT) | instid1(SALU_CYCLE_1)
	s_or_b32 s1, vcc_lo, s0
	s_and_saveexec_b32 s0, s1
	s_cbranch_execz .LBB106_120
; %bb.119:
	s_delay_alu instid0(VALU_DEP_1) | instskip(NEXT) | instid1(VALU_DEP_2)
	v_add_co_u32 v6, vcc_lo, s24, v4
	v_add_co_ci_u32_e32 v7, vcc_lo, s25, v5, vcc_lo
	global_load_b128 v[13:16], v[6:7], off
	s_waitcnt vmcnt(0)
	v_fma_f64 v[0:1], v[9:10], v[13:14], v[0:1]
	v_fma_f64 v[2:3], v[11:12], v[13:14], v[2:3]
	s_delay_alu instid0(VALU_DEP_2) | instskip(NEXT) | instid1(VALU_DEP_2)
	v_fma_f64 v[0:1], -v[11:12], v[15:16], v[0:1]
	v_fma_f64 v[2:3], v[9:10], v[15:16], v[2:3]
.LBB106_120:
	s_or_b32 exec_lo, exec_lo, s0
	s_delay_alu instid0(VALU_DEP_1)
	v_add_co_u32 v4, vcc_lo, s24, v4
	v_add_co_ci_u32_e32 v5, vcc_lo, s25, v5, vcc_lo
	global_store_b128 v[4:5], v[0:3], off
.LBB106_121:
	s_endpgm
	.section	.rodata,"a",@progbits
	.p2align	6, 0x0
	.amdhsa_kernel _ZN9rocsparseL22csrmvn_adaptive_kernelIlld21rocsparse_complex_numIdES2_S2_EEvbT_PKS3_PjPKT0_NS_24const_host_device_scalarIT4_EES5_S9_PKT1_PKT2_SC_PT3_21rocsparse_index_base_b
		.amdhsa_group_segment_fixed_size 16384
		.amdhsa_private_segment_fixed_size 24
		.amdhsa_kernarg_size 120
		.amdhsa_user_sgpr_count 15
		.amdhsa_user_sgpr_dispatch_ptr 0
		.amdhsa_user_sgpr_queue_ptr 0
		.amdhsa_user_sgpr_kernarg_segment_ptr 1
		.amdhsa_user_sgpr_dispatch_id 0
		.amdhsa_user_sgpr_private_segment_size 0
		.amdhsa_wavefront_size32 1
		.amdhsa_uses_dynamic_stack 0
		.amdhsa_enable_private_segment 1
		.amdhsa_system_sgpr_workgroup_id_x 1
		.amdhsa_system_sgpr_workgroup_id_y 0
		.amdhsa_system_sgpr_workgroup_id_z 0
		.amdhsa_system_sgpr_workgroup_info 0
		.amdhsa_system_vgpr_workitem_id 0
		.amdhsa_next_free_vgpr 48
		.amdhsa_next_free_sgpr 46
		.amdhsa_reserve_vcc 1
		.amdhsa_float_round_mode_32 0
		.amdhsa_float_round_mode_16_64 0
		.amdhsa_float_denorm_mode_32 3
		.amdhsa_float_denorm_mode_16_64 3
		.amdhsa_dx10_clamp 1
		.amdhsa_ieee_mode 1
		.amdhsa_fp16_overflow 0
		.amdhsa_workgroup_processor_mode 1
		.amdhsa_memory_ordered 1
		.amdhsa_forward_progress 0
		.amdhsa_shared_vgpr_count 0
		.amdhsa_exception_fp_ieee_invalid_op 0
		.amdhsa_exception_fp_denorm_src 0
		.amdhsa_exception_fp_ieee_div_zero 0
		.amdhsa_exception_fp_ieee_overflow 0
		.amdhsa_exception_fp_ieee_underflow 0
		.amdhsa_exception_fp_ieee_inexact 0
		.amdhsa_exception_int_div_zero 0
	.end_amdhsa_kernel
	.section	.text._ZN9rocsparseL22csrmvn_adaptive_kernelIlld21rocsparse_complex_numIdES2_S2_EEvbT_PKS3_PjPKT0_NS_24const_host_device_scalarIT4_EES5_S9_PKT1_PKT2_SC_PT3_21rocsparse_index_base_b,"axG",@progbits,_ZN9rocsparseL22csrmvn_adaptive_kernelIlld21rocsparse_complex_numIdES2_S2_EEvbT_PKS3_PjPKT0_NS_24const_host_device_scalarIT4_EES5_S9_PKT1_PKT2_SC_PT3_21rocsparse_index_base_b,comdat
.Lfunc_end106:
	.size	_ZN9rocsparseL22csrmvn_adaptive_kernelIlld21rocsparse_complex_numIdES2_S2_EEvbT_PKS3_PjPKT0_NS_24const_host_device_scalarIT4_EES5_S9_PKT1_PKT2_SC_PT3_21rocsparse_index_base_b, .Lfunc_end106-_ZN9rocsparseL22csrmvn_adaptive_kernelIlld21rocsparse_complex_numIdES2_S2_EEvbT_PKS3_PjPKT0_NS_24const_host_device_scalarIT4_EES5_S9_PKT1_PKT2_SC_PT3_21rocsparse_index_base_b
                                        ; -- End function
	.section	.AMDGPU.csdata,"",@progbits
; Kernel info:
; codeLenInByte = 6216
; NumSgprs: 48
; NumVgprs: 48
; ScratchSize: 24
; MemoryBound: 0
; FloatMode: 240
; IeeeMode: 1
; LDSByteSize: 16384 bytes/workgroup (compile time only)
; SGPRBlocks: 5
; VGPRBlocks: 5
; NumSGPRsForWavesPerEU: 48
; NumVGPRsForWavesPerEU: 48
; Occupancy: 16
; WaveLimiterHint : 1
; COMPUTE_PGM_RSRC2:SCRATCH_EN: 1
; COMPUTE_PGM_RSRC2:USER_SGPR: 15
; COMPUTE_PGM_RSRC2:TRAP_HANDLER: 0
; COMPUTE_PGM_RSRC2:TGID_X_EN: 1
; COMPUTE_PGM_RSRC2:TGID_Y_EN: 0
; COMPUTE_PGM_RSRC2:TGID_Z_EN: 0
; COMPUTE_PGM_RSRC2:TIDIG_COMP_CNT: 0
	.section	.text._ZN9rocsparseL27csrmvn_symm_adaptive_kernelIlld21rocsparse_complex_numIdES2_S2_EEvbT_S3_PKS3_NS_24const_host_device_scalarIT4_EES5_PKT0_PKT1_PKT2_S8_PT3_21rocsparse_index_base_b,"axG",@progbits,_ZN9rocsparseL27csrmvn_symm_adaptive_kernelIlld21rocsparse_complex_numIdES2_S2_EEvbT_S3_PKS3_NS_24const_host_device_scalarIT4_EES5_PKT0_PKT1_PKT2_S8_PT3_21rocsparse_index_base_b,comdat
	.globl	_ZN9rocsparseL27csrmvn_symm_adaptive_kernelIlld21rocsparse_complex_numIdES2_S2_EEvbT_S3_PKS3_NS_24const_host_device_scalarIT4_EES5_PKT0_PKT1_PKT2_S8_PT3_21rocsparse_index_base_b ; -- Begin function _ZN9rocsparseL27csrmvn_symm_adaptive_kernelIlld21rocsparse_complex_numIdES2_S2_EEvbT_S3_PKS3_NS_24const_host_device_scalarIT4_EES5_PKT0_PKT1_PKT2_S8_PT3_21rocsparse_index_base_b
	.p2align	8
	.type	_ZN9rocsparseL27csrmvn_symm_adaptive_kernelIlld21rocsparse_complex_numIdES2_S2_EEvbT_S3_PKS3_NS_24const_host_device_scalarIT4_EES5_PKT0_PKT1_PKT2_S8_PT3_21rocsparse_index_base_b,@function
_ZN9rocsparseL27csrmvn_symm_adaptive_kernelIlld21rocsparse_complex_numIdES2_S2_EEvbT_S3_PKS3_NS_24const_host_device_scalarIT4_EES5_PKT0_PKT1_PKT2_S8_PT3_21rocsparse_index_base_b: ; @_ZN9rocsparseL27csrmvn_symm_adaptive_kernelIlld21rocsparse_complex_numIdES2_S2_EEvbT_S3_PKS3_NS_24const_host_device_scalarIT4_EES5_PKT0_PKT1_PKT2_S8_PT3_21rocsparse_index_base_b
; %bb.0:
	s_clause 0x2
	s_load_b64 s[24:25], s[0:1], 0x68
	s_load_b128 s[8:11], s[0:1], 0x20
	s_load_b128 s[4:7], s[0:1], 0x50
	s_mov_b64 s[2:3], src_private_base
	v_mov_b32_e32 v1, 0
	s_mov_b32 s12, s15
	s_waitcnt lgkmcnt(0)
	s_bitcmp1_b32 s25, 0
	v_dual_mov_b32 v3, s8 :: v_dual_mov_b32 v6, s5
	s_cselect_b32 s2, -1, 0
	v_mov_b32_e32 v4, s9
	s_and_b32 vcc_lo, s2, exec_lo
	s_cselect_b32 s13, s3, s9
	v_cndmask_b32_e64 v1, s8, v1, s2
	v_dual_mov_b32 v5, s4 :: v_dual_mov_b32 v2, s13
	s_clause 0x1
	scratch_store_b64 off, v[3:4], off
	scratch_store_b64 off, v[5:6], off offset:8
	v_dual_mov_b32 v12, s11 :: v_dual_mov_b32 v11, s10
	flat_load_b64 v[9:10], v[1:2]
	s_xor_b32 s10, s2, -1
	s_cbranch_vccnz .LBB107_2
; %bb.1:
	v_dual_mov_b32 v1, s8 :: v_dual_mov_b32 v2, s9
	flat_load_b64 v[11:12], v[1:2] offset:8
.LBB107_2:
	s_and_b32 s8, s2, exec_lo
	s_cselect_b32 s3, s3, s5
	s_delay_alu instid0(SALU_CYCLE_1) | instskip(SKIP_2) | instid1(VALU_DEP_2)
	v_dual_mov_b32 v1, 8 :: v_dual_mov_b32 v2, s3
	v_dual_mov_b32 v3, s6 :: v_dual_mov_b32 v4, s7
	s_and_not1_b32 vcc_lo, exec_lo, s10
	v_cndmask_b32_e64 v1, s4, v1, s2
	flat_load_b64 v[1:2], v[1:2]
	s_cbranch_vccnz .LBB107_4
; %bb.3:
	v_dual_mov_b32 v3, s4 :: v_dual_mov_b32 v4, s5
	flat_load_b64 v[3:4], v[3:4] offset:8
.LBB107_4:
	s_waitcnt vmcnt(1) lgkmcnt(1)
	v_cmp_eq_f64_e32 vcc_lo, 0, v[9:10]
	v_cmp_eq_f64_e64 s2, 0, v[11:12]
	s_delay_alu instid0(VALU_DEP_1)
	s_and_b32 s4, vcc_lo, s2
	s_mov_b32 s2, -1
	s_and_saveexec_b32 s3, s4
	s_cbranch_execz .LBB107_6
; %bb.5:
	s_waitcnt vmcnt(0) lgkmcnt(0)
	v_cmp_neq_f64_e32 vcc_lo, 1.0, v[1:2]
	v_cmp_neq_f64_e64 s2, 0, v[3:4]
	s_delay_alu instid0(VALU_DEP_1) | instskip(NEXT) | instid1(SALU_CYCLE_1)
	s_or_b32 s2, vcc_lo, s2
	s_or_not1_b32 s2, s2, exec_lo
.LBB107_6:
	s_or_b32 exec_lo, exec_lo, s3
	s_and_saveexec_b32 s3, s2
	s_cbranch_execz .LBB107_216
; %bb.7:
	s_load_b64 s[2:3], s[0:1], 0x18
	s_mov_b32 s4, 0
	s_ashr_i32 s13, s12, 31
	s_mov_b32 s5, s4
	s_mov_b32 s6, s4
	;; [unrolled: 1-line block ×3, first 2 shown]
	s_waitcnt vmcnt(0) lgkmcnt(0)
	v_dual_mov_b32 v1, s4 :: v_dual_mov_b32 v4, s7
	v_dual_mov_b32 v2, s5 :: v_dual_lshlrev_b32 v27, 4, v0
	v_mov_b32_e32 v3, s6
	s_lshl_b64 s[4:5], s[12:13], 3
	ds_store_b128 v27, v[1:4]
	ds_store_b128 v27, v[1:4] offset:4096
	ds_store_b128 v27, v[1:4] offset:8192
	;; [unrolled: 1-line block ×3, first 2 shown]
	s_waitcnt lgkmcnt(0)
	s_waitcnt_vscnt null, 0x0
	s_barrier
	buffer_gl0_inv
	s_add_u32 s2, s2, s4
	s_addc_u32 s3, s3, s5
	s_load_b128 s[16:19], s[2:3], 0x0
	s_clause 0x1
	s_load_b64 s[20:21], s[0:1], 0x60
	s_load_b256 s[8:15], s[0:1], 0x30
	s_waitcnt lgkmcnt(0)
	s_sub_u32 s22, s18, s16
	s_subb_u32 s23, s19, s17
	s_delay_alu instid0(SALU_CYCLE_1) | instskip(NEXT) | instid1(VALU_DEP_1)
	v_cmp_gt_i64_e64 s2, s[22:23], 2
	s_and_b32 vcc_lo, exec_lo, s2
	s_mov_b32 s2, -1
	s_cbranch_vccnz .LBB107_53
; %bb.8:
	v_cmp_gt_i64_e64 s2, s[18:19], s[16:17]
	v_sub_co_u32 v15, s3, v0, s24
	s_delay_alu instid0(VALU_DEP_1) | instskip(NEXT) | instid1(VALU_DEP_3)
	v_sub_co_ci_u32_e64 v16, null, 0, 0, s3
	s_and_b32 vcc_lo, exec_lo, s2
	s_cbranch_vccnz .LBB107_10
; %bb.9:
	s_lshl_b64 s[2:3], s[16:17], 3
	s_delay_alu instid0(SALU_CYCLE_1)
	s_add_u32 s2, s8, s2
	s_addc_u32 s3, s9, s3
	s_load_b64 s[26:27], s[2:3], 0x0
	s_cbranch_execz .LBB107_11
	s_branch .LBB107_40
.LBB107_10:
                                        ; implicit-def: $sgpr26_sgpr27
.LBB107_11:
	s_lshl_b64 s[2:3], s[16:17], 3
	v_cmp_gt_u32_e64 s4, 16, v0
	s_add_u32 s2, s8, s2
	s_addc_u32 s3, s9, s3
	v_cmp_gt_u32_e64 s5, 4, v0
	s_waitcnt lgkmcnt(0)
	s_load_b64 s[26:27], s[2:3], 0x0
	v_cmp_gt_u32_e64 s2, 0x100, v0
	v_cmp_gt_u32_e64 s3, 64, v0
	v_cmp_eq_u32_e64 s6, 0, v0
	v_mov_b32_e32 v17, 0
	s_add_u32 s25, s8, 8
	s_addc_u32 s33, s9, 0
	s_mov_b64 s[28:29], s[16:17]
	s_waitcnt lgkmcnt(0)
	s_mov_b64 s[30:31], s[26:27]
	s_branch .LBB107_13
.LBB107_12:                             ;   in Loop: Header=BB107_13 Depth=1
	s_or_b32 exec_lo, exec_lo, s7
	s_add_u32 s28, s28, 1
	s_addc_u32 s29, s29, 0
	s_delay_alu instid0(SALU_CYCLE_1) | instskip(NEXT) | instid1(VALU_DEP_1)
	v_cmp_ge_i64_e64 s7, s[28:29], s[18:19]
	s_and_b32 vcc_lo, exec_lo, s7
	s_cbranch_vccnz .LBB107_40
.LBB107_13:                             ; =>This Loop Header: Depth=1
                                        ;     Child Loop BB107_15 Depth 2
                                        ;     Child Loop BB107_29 Depth 2
	;; [unrolled: 1-line block ×5, first 2 shown]
	s_lshl_b64 s[34:35], s[28:29], 3
	s_mov_b64 s[36:37], s[30:31]
	s_add_u32 s34, s25, s34
	s_addc_u32 s35, s33, s35
	v_mov_b32_e32 v3, 0
	s_load_b64 s[30:31], s[34:35], 0x0
	v_mov_b32_e32 v4, 0
	v_add_co_u32 v5, vcc_lo, s36, v15
	v_add_co_ci_u32_e32 v6, vcc_lo, s37, v16, vcc_lo
	s_delay_alu instid0(VALU_DEP_3) | instskip(SKIP_4) | instid1(SALU_CYCLE_1)
	v_dual_mov_b32 v1, v3 :: v_dual_mov_b32 v2, v4
	s_mov_b32 s36, exec_lo
	s_waitcnt lgkmcnt(0)
	s_sub_u32 s34, s30, s24
	s_subb_u32 s35, s31, 0
	v_cmpx_gt_i64_e64 s[34:35], v[5:6]
	s_cbranch_execz .LBB107_17
; %bb.14:                               ;   in Loop: Header=BB107_13 Depth=1
	v_lshlrev_b64 v[1:2], 3, v[5:6]
	v_mov_b32_e32 v3, 0
	v_mov_b32_e32 v4, 0
	s_mov_b32 s37, 0
	s_delay_alu instid0(VALU_DEP_3) | instskip(NEXT) | instid1(VALU_DEP_4)
	v_add_co_u32 v7, vcc_lo, s10, v1
	v_add_co_ci_u32_e32 v8, vcc_lo, s11, v2, vcc_lo
	v_add_co_u32 v13, vcc_lo, s12, v1
	v_add_co_ci_u32_e32 v14, vcc_lo, s13, v2, vcc_lo
	v_dual_mov_b32 v1, v3 :: v_dual_mov_b32 v2, v4
	s_set_inst_prefetch_distance 0x1
	.p2align	6
.LBB107_15:                             ;   Parent Loop BB107_13 Depth=1
                                        ; =>  This Inner Loop Header: Depth=2
	global_load_b64 v[18:19], v[7:8], off
	s_waitcnt vmcnt(0)
	v_sub_co_u32 v18, vcc_lo, v18, s24
	v_subrev_co_ci_u32_e32 v19, vcc_lo, 0, v19, vcc_lo
	s_delay_alu instid0(VALU_DEP_1) | instskip(NEXT) | instid1(VALU_DEP_1)
	v_lshlrev_b64 v[18:19], 4, v[18:19]
	v_add_co_u32 v18, vcc_lo, s14, v18
	s_delay_alu instid0(VALU_DEP_2)
	v_add_co_ci_u32_e32 v19, vcc_lo, s15, v19, vcc_lo
	v_add_co_u32 v5, vcc_lo, 0x100, v5
	global_load_b64 v[22:23], v[13:14], off
	global_load_b128 v[18:21], v[18:19], off
	v_add_co_ci_u32_e32 v6, vcc_lo, 0, v6, vcc_lo
	v_add_co_u32 v7, vcc_lo, 0x800, v7
	v_add_co_ci_u32_e32 v8, vcc_lo, 0, v8, vcc_lo
	s_delay_alu instid0(VALU_DEP_3) | instskip(SKIP_1) | instid1(VALU_DEP_1)
	v_cmp_le_i64_e32 vcc_lo, s[34:35], v[5:6]
	v_add_co_u32 v13, s7, 0x800, v13
	v_add_co_ci_u32_e64 v14, s7, 0, v14, s7
	s_or_b32 s37, vcc_lo, s37
	s_waitcnt vmcnt(0)
	v_fma_f64 v[1:2], v[22:23], v[18:19], v[1:2]
	v_fma_f64 v[3:4], v[18:19], 0, v[3:4]
	s_delay_alu instid0(VALU_DEP_2) | instskip(NEXT) | instid1(VALU_DEP_2)
	v_fma_f64 v[1:2], 0x80000000, v[20:21], v[1:2]
	v_fma_f64 v[3:4], v[22:23], v[20:21], v[3:4]
	s_and_not1_b32 exec_lo, exec_lo, s37
	s_cbranch_execnz .LBB107_15
; %bb.16:                               ;   in Loop: Header=BB107_13 Depth=1
	s_set_inst_prefetch_distance 0x2
	s_or_b32 exec_lo, exec_lo, s37
.LBB107_17:                             ;   in Loop: Header=BB107_13 Depth=1
	s_delay_alu instid0(SALU_CYCLE_1)
	s_or_b32 exec_lo, exec_lo, s36
	ds_store_b128 v27, v[1:4]
	s_waitcnt lgkmcnt(0)
	s_barrier
	buffer_gl0_inv
	s_and_saveexec_b32 s7, s2
	s_cbranch_execz .LBB107_19
; %bb.18:                               ;   in Loop: Header=BB107_13 Depth=1
	ds_load_b128 v[1:4], v27 offset:4096
	ds_load_b128 v[5:8], v27 offset:8192
	ds_load_b128 v[18:21], v27 offset:12288
	ds_load_b128 v[22:25], v27
	s_waitcnt lgkmcnt(2)
	v_add_f64 v[1:2], v[5:6], v[1:2]
	v_add_f64 v[3:4], v[7:8], v[3:4]
	s_waitcnt lgkmcnt(1)
	s_delay_alu instid0(VALU_DEP_2) | instskip(NEXT) | instid1(VALU_DEP_2)
	v_add_f64 v[1:2], v[1:2], v[18:19]
	v_add_f64 v[3:4], v[3:4], v[20:21]
	s_waitcnt lgkmcnt(0)
	s_delay_alu instid0(VALU_DEP_2) | instskip(NEXT) | instid1(VALU_DEP_2)
	v_add_f64 v[1:2], v[1:2], v[22:23]
	v_add_f64 v[3:4], v[3:4], v[24:25]
	ds_store_b128 v27, v[1:4]
.LBB107_19:                             ;   in Loop: Header=BB107_13 Depth=1
	s_or_b32 exec_lo, exec_lo, s7
	s_waitcnt lgkmcnt(0)
	s_barrier
	buffer_gl0_inv
	s_and_saveexec_b32 s7, s3
	s_cbranch_execz .LBB107_21
; %bb.20:                               ;   in Loop: Header=BB107_13 Depth=1
	ds_load_b128 v[1:4], v27 offset:1024
	ds_load_b128 v[5:8], v27 offset:2048
	ds_load_b128 v[18:21], v27 offset:3072
	ds_load_b128 v[22:25], v27
	s_waitcnt lgkmcnt(2)
	v_add_f64 v[1:2], v[5:6], v[1:2]
	v_add_f64 v[3:4], v[7:8], v[3:4]
	s_waitcnt lgkmcnt(1)
	s_delay_alu instid0(VALU_DEP_2) | instskip(NEXT) | instid1(VALU_DEP_2)
	v_add_f64 v[1:2], v[1:2], v[18:19]
	v_add_f64 v[3:4], v[3:4], v[20:21]
	s_waitcnt lgkmcnt(0)
	s_delay_alu instid0(VALU_DEP_2) | instskip(NEXT) | instid1(VALU_DEP_2)
	v_add_f64 v[1:2], v[1:2], v[22:23]
	v_add_f64 v[3:4], v[3:4], v[24:25]
	ds_store_b128 v27, v[1:4]
.LBB107_21:                             ;   in Loop: Header=BB107_13 Depth=1
	s_or_b32 exec_lo, exec_lo, s7
	;; [unrolled: 24-line block ×5, first 2 shown]
	s_waitcnt lgkmcnt(0)
	s_barrier
	buffer_gl0_inv
	s_and_saveexec_b32 s7, s6
	s_cbranch_execz .LBB107_12
; %bb.28:                               ;   in Loop: Header=BB107_13 Depth=1
	ds_load_b128 v[1:4], v17
	v_mov_b32_e32 v13, 0
	v_bfrev_b32_e32 v14, 1
	s_mov_b32 s34, exec_lo
	s_waitcnt lgkmcnt(0)
	v_mul_f64 v[5:6], v[3:4], -v[11:12]
	s_delay_alu instid0(VALU_DEP_1)
	v_fma_f64 v[5:6], v[9:10], v[1:2], v[5:6]
.LBB107_29:                             ;   Parent Loop BB107_13 Depth=1
                                        ; =>  This Inner Loop Header: Depth=2
	s_ctz_i32_b32 s35, s34
	s_delay_alu instid0(VALU_DEP_1) | instid1(SALU_CYCLE_1)
	v_readlane_b32 s37, v6, s35
	s_delay_alu instid0(VALU_DEP_2) | instskip(SKIP_1) | instid1(SALU_CYCLE_1)
	v_readlane_b32 s36, v5, s35
	s_lshl_b32 s35, 1, s35
	s_and_not1_b32 s34, s34, s35
	s_delay_alu instid0(VALU_DEP_1)
	v_add_f64 v[13:14], v[13:14], s[36:37]
	s_cmp_lg_u32 s34, 0
	s_cbranch_scc1 .LBB107_29
; %bb.30:                               ;   in Loop: Header=BB107_13 Depth=1
	v_mbcnt_lo_u32_b32 v5, exec_lo, 0
	s_lshl_b64 s[34:35], s[28:29], 4
	s_mov_b32 s36, exec_lo
	s_add_u32 s34, s20, s34
	s_addc_u32 s35, s21, s35
	v_cmpx_eq_u32_e32 0, v5
	s_xor_b32 s36, exec_lo, s36
	s_cbranch_execz .LBB107_34
; %bb.31:                               ;   in Loop: Header=BB107_13 Depth=1
	global_load_b64 v[7:8], v17, s[34:35]
	s_mov_b32 s37, 0
.LBB107_32:                             ;   Parent Loop BB107_13 Depth=1
                                        ; =>  This Inner Loop Header: Depth=2
	s_waitcnt vmcnt(0)
	v_add_f64 v[5:6], v[7:8], v[13:14]
	global_atomic_cmpswap_b64 v[5:6], v17, v[5:8], s[34:35] glc
	s_waitcnt vmcnt(0)
	v_cmp_eq_u64_e32 vcc_lo, v[5:6], v[7:8]
	v_dual_mov_b32 v8, v6 :: v_dual_mov_b32 v7, v5
	s_or_b32 s37, vcc_lo, s37
	s_delay_alu instid0(SALU_CYCLE_1)
	s_and_not1_b32 exec_lo, exec_lo, s37
	s_cbranch_execnz .LBB107_32
; %bb.33:                               ;   in Loop: Header=BB107_13 Depth=1
	s_or_b32 exec_lo, exec_lo, s37
.LBB107_34:                             ;   in Loop: Header=BB107_13 Depth=1
	s_delay_alu instid0(SALU_CYCLE_1) | instskip(SKIP_4) | instid1(VALU_DEP_3)
	s_or_b32 exec_lo, exec_lo, s36
	v_mul_f64 v[3:4], v[9:10], v[3:4]
	v_mov_b32_e32 v5, 0
	v_bfrev_b32_e32 v6, 1
	s_mov_b32 s36, exec_lo
	v_fma_f64 v[1:2], v[11:12], v[1:2], v[3:4]
.LBB107_35:                             ;   Parent Loop BB107_13 Depth=1
                                        ; =>  This Inner Loop Header: Depth=2
	s_ctz_i32_b32 s37, s36
	s_delay_alu instid0(VALU_DEP_1) | instid1(SALU_CYCLE_1)
	v_readlane_b32 s39, v2, s37
	s_delay_alu instid0(VALU_DEP_2) | instskip(SKIP_1) | instid1(SALU_CYCLE_1)
	v_readlane_b32 s38, v1, s37
	s_lshl_b32 s37, 1, s37
	s_and_not1_b32 s36, s36, s37
	s_delay_alu instid0(VALU_DEP_1)
	v_add_f64 v[5:6], v[5:6], s[38:39]
	s_cmp_lg_u32 s36, 0
	s_cbranch_scc1 .LBB107_35
; %bb.36:                               ;   in Loop: Header=BB107_13 Depth=1
	v_mbcnt_lo_u32_b32 v1, exec_lo, 0
	s_mov_b32 s36, exec_lo
	s_delay_alu instid0(VALU_DEP_1)
	v_cmpx_eq_u32_e32 0, v1
	s_xor_b32 s36, exec_lo, s36
	s_cbranch_execz .LBB107_12
; %bb.37:                               ;   in Loop: Header=BB107_13 Depth=1
	global_load_b64 v[3:4], v17, s[34:35] offset:8
	s_mov_b32 s36, 0
.LBB107_38:                             ;   Parent Loop BB107_13 Depth=1
                                        ; =>  This Inner Loop Header: Depth=2
	s_waitcnt vmcnt(0)
	v_add_f64 v[1:2], v[3:4], v[5:6]
	global_atomic_cmpswap_b64 v[1:2], v17, v[1:4], s[34:35] offset:8 glc
	s_waitcnt vmcnt(0)
	v_cmp_eq_u64_e32 vcc_lo, v[1:2], v[3:4]
	v_dual_mov_b32 v4, v2 :: v_dual_mov_b32 v3, v1
	s_or_b32 s36, vcc_lo, s36
	s_delay_alu instid0(SALU_CYCLE_1)
	s_and_not1_b32 exec_lo, exec_lo, s36
	s_cbranch_execnz .LBB107_38
; %bb.39:                               ;   in Loop: Header=BB107_13 Depth=1
	s_or_b32 exec_lo, exec_lo, s36
	s_branch .LBB107_12
.LBB107_40:
	s_lshl_b64 s[2:3], s[18:19], 3
	s_waitcnt lgkmcnt(0)
	v_add_co_u32 v13, vcc_lo, s26, v15
	s_add_u32 s2, s8, s2
	s_addc_u32 s3, s9, s3
	v_add_co_ci_u32_e32 v14, vcc_lo, s27, v16, vcc_lo
	s_load_b64 s[2:3], s[2:3], 0x0
	s_waitcnt lgkmcnt(0)
	s_sub_u32 s4, s2, s24
	s_subb_u32 s5, s3, 0
	s_mov_b32 s3, exec_lo
	v_cmpx_gt_i64_e64 s[4:5], v[13:14]
	s_cbranch_execz .LBB107_52
; %bb.41:
	v_mul_f64 v[15:16], 0x80000000, v[11:12]
	v_mul_f64 v[17:18], v[9:10], 0
	s_add_u32 s6, s18, -1
	s_addc_u32 s7, s19, -1
	s_add_u32 s26, s18, -2
	v_cmp_gt_i64_e64 s2, s[6:7], s[16:17]
	s_addc_u32 s27, s19, -1
	s_delay_alu instid0(SALU_CYCLE_1)
	s_cmp_lg_u64 s[26:27], s[16:17]
	s_mov_b32 s26, 0
	s_cselect_b32 s25, -1, 0
	s_delay_alu instid0(VALU_DEP_1) | instid1(SALU_CYCLE_1)
	s_and_b32 s25, s2, s25
	s_branch .LBB107_43
.LBB107_42:                             ;   in Loop: Header=BB107_43 Depth=1
	s_or_b32 exec_lo, exec_lo, s2
	v_add_co_u32 v13, vcc_lo, 0x100, v13
	v_add_co_ci_u32_e32 v14, vcc_lo, 0, v14, vcc_lo
	s_delay_alu instid0(VALU_DEP_1) | instskip(SKIP_1) | instid1(SALU_CYCLE_1)
	v_cmp_le_i64_e32 vcc_lo, s[4:5], v[13:14]
	s_or_b32 s26, vcc_lo, s26
	s_and_not1_b32 exec_lo, exec_lo, s26
	s_cbranch_execz .LBB107_52
.LBB107_43:                             ; =>This Loop Header: Depth=1
                                        ;     Child Loop BB107_45 Depth 2
                                        ;     Child Loop BB107_49 Depth 2
	;; [unrolled: 1-line block ×3, first 2 shown]
	v_dual_mov_b32 v1, s16 :: v_dual_mov_b32 v2, s17
	v_dual_mov_b32 v3, s6 :: v_dual_mov_b32 v4, s7
	s_and_not1_b32 vcc_lo, exec_lo, s25
	s_cbranch_vccnz .LBB107_47
; %bb.44:                               ;   in Loop: Header=BB107_43 Depth=1
	v_dual_mov_b32 v1, s16 :: v_dual_mov_b32 v2, s17
	v_dual_mov_b32 v3, s6 :: v_dual_mov_b32 v4, s7
	s_mov_b32 s27, 0
	s_set_inst_prefetch_distance 0x1
	.p2align	6
.LBB107_45:                             ;   Parent Loop BB107_43 Depth=1
                                        ; =>  This Inner Loop Header: Depth=2
	s_delay_alu instid0(VALU_DEP_1) | instskip(NEXT) | instid1(VALU_DEP_2)
	v_add_co_u32 v5, vcc_lo, v3, v1
	v_add_co_ci_u32_e32 v6, vcc_lo, v4, v2, vcc_lo
	s_delay_alu instid0(VALU_DEP_1) | instskip(NEXT) | instid1(VALU_DEP_1)
	v_lshrrev_b32_e32 v7, 31, v6
	v_add_co_u32 v5, vcc_lo, v5, v7
	v_add_co_ci_u32_e32 v6, vcc_lo, 0, v6, vcc_lo
	s_delay_alu instid0(VALU_DEP_1) | instskip(NEXT) | instid1(VALU_DEP_1)
	v_ashrrev_i64 v[5:6], 1, v[5:6]
	v_lshlrev_b64 v[7:8], 3, v[5:6]
	s_delay_alu instid0(VALU_DEP_1) | instskip(NEXT) | instid1(VALU_DEP_2)
	v_add_co_u32 v7, vcc_lo, s8, v7
	v_add_co_ci_u32_e32 v8, vcc_lo, s9, v8, vcc_lo
	global_load_b64 v[7:8], v[7:8], off
	s_waitcnt vmcnt(0)
	v_sub_co_u32 v7, vcc_lo, v7, s24
	v_subrev_co_ci_u32_e32 v8, vcc_lo, 0, v8, vcc_lo
	s_delay_alu instid0(VALU_DEP_1) | instskip(SKIP_2) | instid1(VALU_DEP_2)
	v_cmp_gt_i64_e32 vcc_lo, v[7:8], v[13:14]
	v_dual_cndmask_b32 v4, v4, v6 :: v_dual_cndmask_b32 v3, v3, v5
	v_dual_cndmask_b32 v2, v6, v2 :: v_dual_cndmask_b32 v1, v5, v1
	v_add_co_u32 v5, vcc_lo, v3, -1
	s_delay_alu instid0(VALU_DEP_3) | instskip(NEXT) | instid1(VALU_DEP_3)
	v_add_co_ci_u32_e32 v6, vcc_lo, -1, v4, vcc_lo
	v_cmp_ge_i64_e32 vcc_lo, v[1:2], v[3:4]
	s_delay_alu instid0(VALU_DEP_2) | instskip(NEXT) | instid1(VALU_DEP_1)
	v_cmp_eq_u64_e64 s2, v[1:2], v[5:6]
	s_or_b32 s2, vcc_lo, s2
	s_delay_alu instid0(SALU_CYCLE_1) | instskip(NEXT) | instid1(SALU_CYCLE_1)
	s_and_b32 s2, exec_lo, s2
	s_or_b32 s27, s2, s27
	s_delay_alu instid0(SALU_CYCLE_1)
	s_and_not1_b32 exec_lo, exec_lo, s27
	s_cbranch_execnz .LBB107_45
; %bb.46:                               ;   in Loop: Header=BB107_43 Depth=1
	s_set_inst_prefetch_distance 0x2
	s_or_b32 exec_lo, exec_lo, s27
.LBB107_47:                             ;   in Loop: Header=BB107_43 Depth=1
	s_delay_alu instid0(VALU_DEP_1) | instskip(SKIP_2) | instid1(VALU_DEP_2)
	v_lshlrev_b64 v[5:6], 3, v[3:4]
	v_lshlrev_b64 v[7:8], 3, v[13:14]
	s_mov_b32 s2, exec_lo
	v_add_co_u32 v5, vcc_lo, s8, v5
	s_delay_alu instid0(VALU_DEP_3) | instskip(NEXT) | instid1(VALU_DEP_3)
	v_add_co_ci_u32_e32 v6, vcc_lo, s9, v6, vcc_lo
	v_add_co_u32 v19, vcc_lo, s10, v7
	s_delay_alu instid0(VALU_DEP_4)
	v_add_co_ci_u32_e32 v20, vcc_lo, s11, v8, vcc_lo
	global_load_b64 v[5:6], v[5:6], off
	global_load_b64 v[19:20], v[19:20], off
	s_waitcnt vmcnt(1)
	v_sub_co_u32 v5, vcc_lo, v5, s24
	v_subrev_co_ci_u32_e32 v6, vcc_lo, 0, v6, vcc_lo
	s_delay_alu instid0(VALU_DEP_1) | instskip(SKIP_4) | instid1(VALU_DEP_1)
	v_cmp_gt_i64_e32 vcc_lo, v[5:6], v[13:14]
	v_dual_cndmask_b32 v2, v4, v2 :: v_dual_cndmask_b32 v1, v3, v1
	s_waitcnt vmcnt(0)
	v_sub_co_u32 v5, vcc_lo, v19, s24
	v_subrev_co_ci_u32_e32 v6, vcc_lo, 0, v20, vcc_lo
	v_cmpx_ne_u64_e64 v[5:6], v[1:2]
	s_cbranch_execz .LBB107_42
; %bb.48:                               ;   in Loop: Header=BB107_43 Depth=1
	v_add_co_u32 v3, vcc_lo, s12, v7
	v_add_co_ci_u32_e32 v4, vcc_lo, s13, v8, vcc_lo
	v_lshlrev_b64 v[1:2], 4, v[1:2]
	v_lshlrev_b64 v[5:6], 4, v[5:6]
	s_mov_b32 s27, 0
	global_load_b64 v[23:24], v[3:4], off
	v_add_co_u32 v1, vcc_lo, s14, v1
	v_add_co_ci_u32_e32 v2, vcc_lo, s15, v2, vcc_lo
	v_add_co_u32 v19, vcc_lo, s20, v5
	v_add_co_ci_u32_e32 v20, vcc_lo, s21, v6, vcc_lo
	global_load_b128 v[1:4], v[1:2], off
	global_load_b64 v[7:8], v[19:20], off
	s_waitcnt vmcnt(2)
	v_fma_f64 v[21:22], v[11:12], v[23:24], v[17:18]
	v_fma_f64 v[23:24], v[9:10], v[23:24], v[15:16]
	s_waitcnt vmcnt(1)
	s_delay_alu instid0(VALU_DEP_2) | instskip(NEXT) | instid1(VALU_DEP_1)
	v_mul_f64 v[5:6], v[3:4], -v[21:22]
	v_fma_f64 v[25:26], v[23:24], v[1:2], v[5:6]
.LBB107_49:                             ;   Parent Loop BB107_43 Depth=1
                                        ; =>  This Inner Loop Header: Depth=2
	s_waitcnt vmcnt(0)
	s_delay_alu instid0(VALU_DEP_1)
	v_add_f64 v[5:6], v[7:8], v[25:26]
	global_atomic_cmpswap_b64 v[5:6], v[19:20], v[5:8], off glc
	s_waitcnt vmcnt(0)
	v_cmp_eq_u64_e32 vcc_lo, v[5:6], v[7:8]
	v_dual_mov_b32 v8, v6 :: v_dual_mov_b32 v7, v5
	s_or_b32 s27, vcc_lo, s27
	s_delay_alu instid0(SALU_CYCLE_1)
	s_and_not1_b32 exec_lo, exec_lo, s27
	s_cbranch_execnz .LBB107_49
; %bb.50:                               ;   in Loop: Header=BB107_43 Depth=1
	s_or_b32 exec_lo, exec_lo, s27
	global_load_b64 v[5:6], v[19:20], off offset:8
	v_mul_f64 v[3:4], v[23:24], v[3:4]
	s_mov_b32 s27, 0
	s_delay_alu instid0(VALU_DEP_1)
	v_fma_f64 v[1:2], v[21:22], v[1:2], v[3:4]
.LBB107_51:                             ;   Parent Loop BB107_43 Depth=1
                                        ; =>  This Inner Loop Header: Depth=2
	s_waitcnt vmcnt(0)
	s_delay_alu instid0(VALU_DEP_1)
	v_add_f64 v[3:4], v[5:6], v[1:2]
	global_atomic_cmpswap_b64 v[3:4], v[19:20], v[3:6], off offset:8 glc
	s_waitcnt vmcnt(0)
	v_cmp_eq_u64_e32 vcc_lo, v[3:4], v[5:6]
	v_dual_mov_b32 v6, v4 :: v_dual_mov_b32 v5, v3
	s_or_b32 s27, vcc_lo, s27
	s_delay_alu instid0(SALU_CYCLE_1)
	s_and_not1_b32 exec_lo, exec_lo, s27
	s_cbranch_execnz .LBB107_51
	s_branch .LBB107_42
.LBB107_52:
	s_or_b32 exec_lo, exec_lo, s3
	s_mov_b32 s2, 0
.LBB107_53:
	s_delay_alu instid0(SALU_CYCLE_1)
	s_and_b32 vcc_lo, exec_lo, s2
	s_cbranch_vccz .LBB107_216
; %bb.54:
	s_load_b32 s2, s[0:1], 0x7c
	s_mov_b32 s7, 0
	s_mov_b64 s[28:29], 0
	s_waitcnt lgkmcnt(0)
	s_and_b32 s6, s2, 0xffff
	s_delay_alu instid0(SALU_CYCLE_1) | instskip(NEXT) | instid1(VALU_DEP_1)
	v_cmp_lt_u64_e64 s2, s[6:7], s[22:23]
	s_and_b32 vcc_lo, exec_lo, s2
	s_cbranch_vccnz .LBB107_56
; %bb.55:
	v_cvt_f32_u32_e32 v1, s22
	s_sub_i32 s3, 0, s22
	s_delay_alu instid0(VALU_DEP_1) | instskip(SKIP_2) | instid1(VALU_DEP_1)
	v_rcp_iflag_f32_e32 v1, v1
	s_waitcnt_depctr 0xfff
	v_mul_f32_e32 v1, 0x4f7ffffe, v1
	v_cvt_u32_f32_e32 v1, v1
	s_delay_alu instid0(VALU_DEP_1) | instskip(NEXT) | instid1(VALU_DEP_1)
	v_readfirstlane_b32 s2, v1
	s_mul_i32 s3, s3, s2
	s_delay_alu instid0(SALU_CYCLE_1) | instskip(NEXT) | instid1(SALU_CYCLE_1)
	s_mul_hi_u32 s3, s2, s3
	s_add_i32 s2, s2, s3
	s_delay_alu instid0(SALU_CYCLE_1) | instskip(NEXT) | instid1(SALU_CYCLE_1)
	s_mul_hi_u32 s2, s6, s2
	s_mul_i32 s3, s2, s22
	s_add_i32 s4, s2, 1
	s_sub_i32 s3, s6, s3
	s_delay_alu instid0(SALU_CYCLE_1)
	s_sub_i32 s5, s3, s22
	s_cmp_ge_u32 s3, s22
	s_cselect_b32 s2, s4, s2
	s_cselect_b32 s3, s5, s3
	s_add_i32 s4, s2, 1
	s_cmp_ge_u32 s3, s22
	s_cselect_b32 s28, s4, s2
.LBB107_56:
	s_lshl_b64 s[2:3], s[16:17], 3
	v_sub_co_u32 v1, s7, v0, s24
	s_add_u32 s26, s8, s2
	s_addc_u32 s27, s9, s3
	s_load_b64 s[4:5], s[26:27], 0x0
	s_load_b128 s[0:3], s[0:1], 0x8
	v_sub_co_ci_u32_e64 v2, null, 0, 0, s7
	s_waitcnt lgkmcnt(0)
	v_add_co_u32 v14, vcc_lo, s4, v1
	s_delay_alu instid0(VALU_DEP_2) | instskip(SKIP_1) | instid1(VALU_DEP_3)
	v_add_co_ci_u32_e32 v15, vcc_lo, s5, v2, vcc_lo
	v_mov_b32_e32 v1, 0
	v_add_co_u32 v16, vcc_lo, 0x300, v14
	s_delay_alu instid0(VALU_DEP_3) | instskip(NEXT) | instid1(VALU_DEP_1)
	v_add_co_ci_u32_e32 v17, vcc_lo, 0, v15, vcc_lo
	v_cmp_le_i64_e32 vcc_lo, s[0:1], v[16:17]
	s_and_saveexec_b32 s0, vcc_lo
	s_delay_alu instid0(SALU_CYCLE_1)
	s_xor_b32 s7, exec_lo, s0
	s_cbranch_execnz .LBB107_59
; %bb.57:
	s_or_saveexec_b32 s1, s7
	v_lshlrev_b64 v[2:3], 3, v[14:15]
	s_xor_b32 exec_lo, exec_lo, s1
	s_cbranch_execnz .LBB107_63
.LBB107_58:
	s_or_b32 exec_lo, exec_lo, s1
	s_delay_alu instid0(SALU_CYCLE_1)
	s_mov_b32 s1, exec_lo
	v_cmpx_gt_i64_e64 s[2:3], v[0:1]
	s_cbranch_execnz .LBB107_64
	s_branch .LBB107_66
.LBB107_59:
	s_lshl_b64 s[0:1], s[18:19], 3
	s_mov_b32 s25, exec_lo
	s_add_u32 s0, s8, s0
	s_addc_u32 s1, s9, s1
	s_load_b64 s[0:1], s[0:1], 0x0
	s_waitcnt lgkmcnt(0)
	s_sub_u32 s30, s0, s4
	s_subb_u32 s31, s1, s5
	s_delay_alu instid0(SALU_CYCLE_1)
	v_cmpx_gt_i64_e64 s[30:31], v[0:1]
	s_cbranch_execz .LBB107_62
; %bb.60:
	v_mul_f64 v[2:3], 0x80000000, v[11:12]
	v_mul_f64 v[4:5], v[9:10], 0
	v_lshlrev_b64 v[6:7], 3, v[14:15]
	v_dual_mov_b32 v8, v27 :: v_dual_mov_b32 v19, v1
	v_mov_b32_e32 v18, v0
	s_mov_b32 s29, 0
	s_delay_alu instid0(VALU_DEP_3) | instskip(NEXT) | instid1(VALU_DEP_1)
	v_add_co_u32 v6, s0, s12, v6
	v_add_co_ci_u32_e64 v7, s0, s13, v7, s0
	.p2align	6
.LBB107_61:                             ; =>This Inner Loop Header: Depth=1
	global_load_b64 v[22:23], v[6:7], off
	v_add_co_u32 v18, s0, 0x100, v18
	s_delay_alu instid0(VALU_DEP_1) | instskip(SKIP_1) | instid1(VALU_DEP_1)
	v_add_co_ci_u32_e64 v19, s0, 0, v19, s0
	v_add_co_u32 v6, s0, 0x800, v6
	v_add_co_ci_u32_e64 v7, s0, 0, v7, s0
	s_delay_alu instid0(VALU_DEP_3) | instskip(NEXT) | instid1(VALU_DEP_1)
	v_cmp_le_i64_e64 s1, s[30:31], v[18:19]
	s_or_b32 s29, s1, s29
	s_waitcnt vmcnt(0)
	v_fma_f64 v[20:21], v[9:10], v[22:23], v[2:3]
	v_fma_f64 v[22:23], v[11:12], v[22:23], v[4:5]
	ds_store_b128 v8, v[20:23]
	v_add_nc_u32_e32 v8, 0x1000, v8
	s_and_not1_b32 exec_lo, exec_lo, s29
	s_cbranch_execnz .LBB107_61
.LBB107_62:
	s_or_b32 exec_lo, exec_lo, s25
                                        ; implicit-def: $vgpr11_vgpr12
                                        ; implicit-def: $vgpr9_vgpr10
	s_or_saveexec_b32 s1, s7
	v_lshlrev_b64 v[2:3], 3, v[14:15]
	s_xor_b32 exec_lo, exec_lo, s1
	s_cbranch_execz .LBB107_58
.LBB107_63:
	s_delay_alu instid0(VALU_DEP_1) | instskip(NEXT) | instid1(VALU_DEP_1)
	v_add_co_u32 v4, s0, s12, v2
	v_add_co_ci_u32_e64 v5, s0, s13, v3, s0
	v_mul_f64 v[30:31], 0x80000000, v[11:12]
	s_delay_alu instid0(VALU_DEP_3) | instskip(NEXT) | instid1(VALU_DEP_1)
	v_add_co_u32 v6, s0, 0x1000, v4
	v_add_co_ci_u32_e64 v7, s0, 0, v5, s0
	v_mul_f64 v[32:33], v[9:10], 0
	s_clause 0x3
	global_load_b64 v[18:19], v[4:5], off
	global_load_b64 v[20:21], v[4:5], off offset:2048
	global_load_b64 v[24:25], v[6:7], off
	global_load_b64 v[28:29], v[6:7], off offset:2048
	s_waitcnt vmcnt(3)
	v_fma_f64 v[4:5], v[9:10], v[18:19], v[30:31]
	v_fma_f64 v[6:7], v[11:12], v[18:19], v[32:33]
	s_waitcnt vmcnt(2)
	v_fma_f64 v[18:19], v[9:10], v[20:21], v[30:31]
	v_fma_f64 v[20:21], v[11:12], v[20:21], v[32:33]
	;; [unrolled: 3-line block ×4, first 2 shown]
	ds_store_b128 v27, v[4:7]
	ds_store_b128 v27, v[18:21] offset:4096
	ds_store_b128 v27, v[22:25] offset:8192
	;; [unrolled: 1-line block ×3, first 2 shown]
	s_or_b32 exec_lo, exec_lo, s1
	s_delay_alu instid0(SALU_CYCLE_1)
	s_mov_b32 s1, exec_lo
	v_cmpx_gt_i64_e64 s[2:3], v[0:1]
	s_cbranch_execz .LBB107_66
.LBB107_64:
	s_mov_b32 s12, 0
	v_lshl_add_u32 v10, v0, 4, 0x4000
	s_mov_b32 s13, s12
	s_mov_b32 s30, s12
	;; [unrolled: 1-line block ×3, first 2 shown]
	v_dual_mov_b32 v4, s12 :: v_dual_mov_b32 v5, s13
	v_dual_mov_b32 v6, s30 :: v_dual_mov_b32 v7, s31
	;; [unrolled: 1-line block ×3, first 2 shown]
.LBB107_65:                             ; =>This Inner Loop Header: Depth=1
	s_delay_alu instid0(VALU_DEP_1) | instskip(NEXT) | instid1(VALU_DEP_1)
	v_add_co_u32 v8, s0, 0x100, v8
	v_add_co_ci_u32_e64 v9, s0, 0, v9, s0
	ds_store_2addr_b64 v10, v[4:5], v[6:7] offset1:1
	v_add_nc_u32_e32 v10, 0x1000, v10
	v_cmp_le_i64_e64 s0, s[2:3], v[8:9]
	s_delay_alu instid0(VALU_DEP_1) | instskip(NEXT) | instid1(SALU_CYCLE_1)
	s_or_b32 s12, s0, s12
	s_and_not1_b32 exec_lo, exec_lo, s12
	s_cbranch_execnz .LBB107_65
.LBB107_66:
	s_or_b32 exec_lo, exec_lo, s1
	v_cmp_ge_i64_e64 s0, s[18:19], s[2:3]
	s_sub_u32 s1, s18, s2
	s_subb_u32 s7, s19, s3
	s_waitcnt lgkmcnt(0)
	s_barrier
	buffer_gl0_inv
	s_and_b32 s0, s0, exec_lo
	s_cselect_b32 s13, s7, 0
	s_cselect_b32 s12, s1, 0
	s_and_saveexec_b32 s0, vcc_lo
	s_delay_alu instid0(SALU_CYCLE_1)
	s_xor_b32 s7, exec_lo, s0
	s_cbranch_execz .LBB107_91
; %bb.67:
	s_lshl_b64 s[0:1], s[18:19], 3
	s_mov_b32 s25, exec_lo
	s_add_u32 s0, s8, s0
	s_addc_u32 s1, s9, s1
	s_load_b64 s[0:1], s[0:1], 0x0
	s_waitcnt lgkmcnt(0)
	s_sub_u32 s30, s0, s4
	s_subb_u32 s31, s1, s5
	s_delay_alu instid0(SALU_CYCLE_1)
	v_cmpx_gt_i64_e64 s[30:31], v[0:1]
	s_cbranch_execz .LBB107_90
; %bb.68:
	s_add_u32 s34, s18, -1
	s_addc_u32 s35, s19, -1
	s_add_u32 s36, s18, -2
	v_cmp_gt_i64_e64 s29, s[34:35], s[16:17]
	s_addc_u32 s37, s19, -1
	s_mov_b64 s[38:39], 0
	s_cmp_lg_u64 s[36:37], s[16:17]
	s_cselect_b32 s33, -1, 0
	s_delay_alu instid0(VALU_DEP_1) | instid1(SALU_CYCLE_1)
	s_and_b32 s29, s29, s33
	s_sub_u32 s36, s0, s24
	s_subb_u32 s37, s1, 0
	s_mov_b32 s1, 0
	s_branch .LBB107_71
.LBB107_69:                             ;   in Loop: Header=BB107_71 Depth=1
	s_or_b32 exec_lo, exec_lo, s0
.LBB107_70:                             ;   in Loop: Header=BB107_71 Depth=1
	s_delay_alu instid0(SALU_CYCLE_1) | instskip(SKIP_3) | instid1(VALU_DEP_1)
	s_or_b32 exec_lo, exec_lo, s33
	v_lshlrev_b64 v[6:7], 4, v[16:17]
	s_add_u32 s38, s38, 0x100
	s_addc_u32 s39, s39, 0
	v_add_co_u32 v6, vcc_lo, s14, v6
	s_delay_alu instid0(VALU_DEP_2) | instskip(SKIP_4) | instid1(VALU_DEP_2)
	v_add_co_ci_u32_e32 v7, vcc_lo, s15, v7, vcc_lo
	global_load_b128 v[6:9], v[6:7], off
	s_waitcnt vmcnt(0)
	v_mul_f64 v[10:11], v[8:9], v[18:19]
	v_mul_f64 v[8:9], v[8:9], v[2:3]
	v_fma_f64 v[2:3], v[2:3], v[6:7], v[10:11]
	s_delay_alu instid0(VALU_DEP_2) | instskip(SKIP_1) | instid1(VALU_DEP_1)
	v_fma_f64 v[4:5], v[4:5], v[6:7], v[8:9]
	v_add_co_u32 v6, s0, s38, v0
	v_add_co_ci_u32_e64 v7, null, s39, 0, s0
	s_delay_alu instid0(VALU_DEP_1)
	v_cmp_le_i64_e32 vcc_lo, s[30:31], v[6:7]
	v_lshlrev_b32_e32 v6, 4, v24
	s_or_b32 s1, vcc_lo, s1
	ds_store_b128 v6, v[2:5]
	s_and_not1_b32 exec_lo, exec_lo, s1
	s_cbranch_execz .LBB107_90
.LBB107_71:                             ; =>This Loop Header: Depth=1
                                        ;     Child Loop BB107_73 Depth 2
                                        ;     Child Loop BB107_80 Depth 2
	;; [unrolled: 1-line block ×5, first 2 shown]
	v_add_co_u32 v2, vcc_lo, s38, v14
	v_add_co_ci_u32_e32 v3, vcc_lo, s39, v15, vcc_lo
	v_dual_mov_b32 v4, s16 :: v_dual_mov_b32 v5, s17
	v_dual_mov_b32 v6, s34 :: v_dual_mov_b32 v7, s35
	s_and_not1_b32 vcc_lo, exec_lo, s29
	s_cbranch_vccnz .LBB107_75
; %bb.72:                               ;   in Loop: Header=BB107_71 Depth=1
	v_dual_mov_b32 v4, s16 :: v_dual_mov_b32 v5, s17
	v_dual_mov_b32 v6, s34 :: v_dual_mov_b32 v7, s35
	s_mov_b32 s33, 0
	s_set_inst_prefetch_distance 0x1
	.p2align	6
.LBB107_73:                             ;   Parent Loop BB107_71 Depth=1
                                        ; =>  This Inner Loop Header: Depth=2
	s_delay_alu instid0(VALU_DEP_1) | instskip(NEXT) | instid1(VALU_DEP_2)
	v_add_co_u32 v8, vcc_lo, v6, v4
	v_add_co_ci_u32_e32 v9, vcc_lo, v7, v5, vcc_lo
	s_delay_alu instid0(VALU_DEP_1) | instskip(NEXT) | instid1(VALU_DEP_1)
	v_lshrrev_b32_e32 v10, 31, v9
	v_add_co_u32 v8, vcc_lo, v8, v10
	v_add_co_ci_u32_e32 v9, vcc_lo, 0, v9, vcc_lo
	s_delay_alu instid0(VALU_DEP_1) | instskip(NEXT) | instid1(VALU_DEP_1)
	v_ashrrev_i64 v[8:9], 1, v[8:9]
	v_lshlrev_b64 v[10:11], 3, v[8:9]
	s_delay_alu instid0(VALU_DEP_1) | instskip(NEXT) | instid1(VALU_DEP_2)
	v_add_co_u32 v10, vcc_lo, s8, v10
	v_add_co_ci_u32_e32 v11, vcc_lo, s9, v11, vcc_lo
	global_load_b64 v[10:11], v[10:11], off
	s_waitcnt vmcnt(0)
	v_sub_co_u32 v10, vcc_lo, v10, s24
	v_subrev_co_ci_u32_e32 v11, vcc_lo, 0, v11, vcc_lo
	s_delay_alu instid0(VALU_DEP_1) | instskip(SKIP_2) | instid1(VALU_DEP_2)
	v_cmp_gt_i64_e32 vcc_lo, v[10:11], v[2:3]
	v_dual_cndmask_b32 v7, v7, v9 :: v_dual_cndmask_b32 v6, v6, v8
	v_dual_cndmask_b32 v5, v9, v5 :: v_dual_cndmask_b32 v4, v8, v4
	v_add_co_u32 v8, vcc_lo, v6, -1
	s_delay_alu instid0(VALU_DEP_3) | instskip(NEXT) | instid1(VALU_DEP_3)
	v_add_co_ci_u32_e32 v9, vcc_lo, -1, v7, vcc_lo
	v_cmp_ge_i64_e32 vcc_lo, v[4:5], v[6:7]
	s_delay_alu instid0(VALU_DEP_2) | instskip(NEXT) | instid1(VALU_DEP_1)
	v_cmp_eq_u64_e64 s0, v[4:5], v[8:9]
	s_or_b32 s0, vcc_lo, s0
	s_delay_alu instid0(SALU_CYCLE_1) | instskip(NEXT) | instid1(SALU_CYCLE_1)
	s_and_b32 s0, exec_lo, s0
	s_or_b32 s33, s0, s33
	s_delay_alu instid0(SALU_CYCLE_1)
	s_and_not1_b32 exec_lo, exec_lo, s33
	s_cbranch_execnz .LBB107_73
; %bb.74:                               ;   in Loop: Header=BB107_71 Depth=1
	s_set_inst_prefetch_distance 0x2
	s_or_b32 exec_lo, exec_lo, s33
.LBB107_75:                             ;   in Loop: Header=BB107_71 Depth=1
	s_delay_alu instid0(VALU_DEP_1) | instskip(SKIP_2) | instid1(VALU_DEP_3)
	v_lshlrev_b64 v[8:9], 3, v[6:7]
	v_lshlrev_b64 v[10:11], 3, v[2:3]
	v_add_co_u32 v24, null, s38, v0
                                        ; implicit-def: $vgpr18_vgpr19
	v_add_co_u32 v8, vcc_lo, s8, v8
	s_delay_alu instid0(VALU_DEP_4) | instskip(NEXT) | instid1(VALU_DEP_4)
	v_add_co_ci_u32_e32 v9, vcc_lo, s9, v9, vcc_lo
	v_add_co_u32 v10, vcc_lo, s10, v10
	v_add_co_ci_u32_e32 v11, vcc_lo, s11, v11, vcc_lo
	global_load_b64 v[8:9], v[8:9], off
	global_load_b64 v[10:11], v[10:11], off
	s_waitcnt vmcnt(1)
	v_sub_co_u32 v8, vcc_lo, v8, s24
	v_subrev_co_ci_u32_e32 v9, vcc_lo, 0, v9, vcc_lo
	s_waitcnt vmcnt(0)
	v_sub_co_u32 v16, s0, v10, s24
	s_delay_alu instid0(VALU_DEP_1) | instskip(NEXT) | instid1(VALU_DEP_3)
	v_subrev_co_ci_u32_e64 v17, s0, 0, v11, s0
	v_cmp_gt_i64_e32 vcc_lo, v[8:9], v[2:3]
	v_cmp_le_i64_e64 s0, s[36:37], v[2:3]
	v_lshlrev_b32_e32 v10, 4, v24
                                        ; implicit-def: $vgpr2_vgpr3
	v_dual_cndmask_b32 v7, v7, v5 :: v_dual_cndmask_b32 v6, v6, v4
	s_delay_alu instid0(VALU_DEP_1) | instskip(NEXT) | instid1(VALU_DEP_4)
	v_cmp_eq_u64_e32 vcc_lo, v[16:17], v[6:7]
	s_or_b32 s0, vcc_lo, s0
	s_delay_alu instid0(SALU_CYCLE_1) | instskip(NEXT) | instid1(SALU_CYCLE_1)
	s_and_saveexec_b32 s33, s0
	s_xor_b32 s0, exec_lo, s33
	s_cbranch_execz .LBB107_77
; %bb.76:                               ;   in Loop: Header=BB107_71 Depth=1
	ds_load_b128 v[2:5], v10
                                        ; implicit-def: $vgpr6_vgpr7
                                        ; implicit-def: $vgpr10
	s_waitcnt lgkmcnt(0)
	v_xor_b32_e32 v19, 0x80000000, v5
	v_mov_b32_e32 v18, v4
.LBB107_77:                             ;   in Loop: Header=BB107_71 Depth=1
	s_and_not1_saveexec_b32 s33, s0
	s_cbranch_execz .LBB107_70
; %bb.78:                               ;   in Loop: Header=BB107_71 Depth=1
	v_cmp_gt_i64_e32 vcc_lo, s[12:13], v[16:17]
	v_cmp_le_i64_e64 s0, s[18:19], v[16:17]
	v_lshlrev_b64 v[6:7], 4, v[6:7]
                                        ; implicit-def: $vgpr2_vgpr3
                                        ; implicit-def: $vgpr18_vgpr19
	s_delay_alu instid0(VALU_DEP_2) | instskip(NEXT) | instid1(SALU_CYCLE_1)
	s_or_b32 s0, vcc_lo, s0
	s_and_saveexec_b32 s40, s0
	s_delay_alu instid0(SALU_CYCLE_1)
	s_xor_b32 s0, exec_lo, s40
	s_cbranch_execz .LBB107_84
; %bb.79:                               ;   in Loop: Header=BB107_71 Depth=1
	s_delay_alu instid0(VALU_DEP_1) | instskip(SKIP_4) | instid1(VALU_DEP_1)
	v_add_co_u32 v2, vcc_lo, s14, v6
	v_add_co_ci_u32_e32 v3, vcc_lo, s15, v7, vcc_lo
	s_mov_b32 s40, 0
	global_load_b128 v[6:9], v[2:3], off
	v_lshlrev_b64 v[2:3], 4, v[16:17]
	v_add_co_u32 v20, vcc_lo, s20, v2
	s_delay_alu instid0(VALU_DEP_2)
	v_add_co_ci_u32_e32 v21, vcc_lo, s21, v3, vcc_lo
	ds_load_b128 v[2:5], v10
	global_load_b64 v[12:13], v[20:21], off
	s_waitcnt lgkmcnt(0)
	v_xor_b32_e32 v19, 0x80000000, v5
	v_mov_b32_e32 v18, v4
	s_waitcnt vmcnt(1)
	v_mul_f64 v[10:11], v[8:9], -v[4:5]
	s_delay_alu instid0(VALU_DEP_1)
	v_fma_f64 v[22:23], v[2:3], v[6:7], v[10:11]
.LBB107_80:                             ;   Parent Loop BB107_71 Depth=1
                                        ; =>  This Inner Loop Header: Depth=2
	s_waitcnt vmcnt(0)
	s_delay_alu instid0(VALU_DEP_1)
	v_add_f64 v[10:11], v[12:13], v[22:23]
	global_atomic_cmpswap_b64 v[10:11], v[20:21], v[10:13], off glc
	s_waitcnt vmcnt(0)
	v_cmp_eq_u64_e32 vcc_lo, v[10:11], v[12:13]
	v_dual_mov_b32 v13, v11 :: v_dual_mov_b32 v12, v10
	s_or_b32 s40, vcc_lo, s40
	s_delay_alu instid0(SALU_CYCLE_1)
	s_and_not1_b32 exec_lo, exec_lo, s40
	s_cbranch_execnz .LBB107_80
; %bb.81:                               ;   in Loop: Header=BB107_71 Depth=1
	s_or_b32 exec_lo, exec_lo, s40
	global_load_b64 v[10:11], v[20:21], off offset:8
	v_mul_f64 v[8:9], v[8:9], v[2:3]
	s_mov_b32 s40, 0
	s_delay_alu instid0(VALU_DEP_1)
	v_fma_f64 v[6:7], v[4:5], v[6:7], v[8:9]
.LBB107_82:                             ;   Parent Loop BB107_71 Depth=1
                                        ; =>  This Inner Loop Header: Depth=2
	s_waitcnt vmcnt(0)
	s_delay_alu instid0(VALU_DEP_1)
	v_add_f64 v[8:9], v[10:11], v[6:7]
	global_atomic_cmpswap_b64 v[8:9], v[20:21], v[8:11], off offset:8 glc
	s_waitcnt vmcnt(0)
	v_cmp_eq_u64_e32 vcc_lo, v[8:9], v[10:11]
	v_dual_mov_b32 v11, v9 :: v_dual_mov_b32 v10, v8
	s_or_b32 s40, vcc_lo, s40
	s_delay_alu instid0(SALU_CYCLE_1)
	s_and_not1_b32 exec_lo, exec_lo, s40
	s_cbranch_execnz .LBB107_82
; %bb.83:                               ;   in Loop: Header=BB107_71 Depth=1
	s_or_b32 exec_lo, exec_lo, s40
                                        ; implicit-def: $vgpr6_vgpr7
                                        ; implicit-def: $vgpr10
.LBB107_84:                             ;   in Loop: Header=BB107_71 Depth=1
	s_and_not1_saveexec_b32 s0, s0
	s_cbranch_execz .LBB107_69
; %bb.85:                               ;   in Loop: Header=BB107_71 Depth=1
	v_add_co_u32 v2, vcc_lo, s14, v6
	v_add_co_ci_u32_e32 v3, vcc_lo, s15, v7, vcc_lo
	v_subrev_nc_u32_e32 v12, s12, v16
	s_mov_b32 s40, 0
	global_load_b128 v[6:9], v[2:3], off
	ds_load_b128 v[2:5], v10
	v_lshl_add_u32 v20, v12, 4, 0x4000
	ds_load_b64 v[12:13], v20
	s_waitcnt lgkmcnt(1)
	v_xor_b32_e32 v19, 0x80000000, v5
	v_mov_b32_e32 v18, v4
	s_waitcnt vmcnt(0)
	v_mul_f64 v[10:11], v[8:9], -v[4:5]
	s_delay_alu instid0(VALU_DEP_1)
	v_fma_f64 v[10:11], v[2:3], v[6:7], v[10:11]
.LBB107_86:                             ;   Parent Loop BB107_71 Depth=1
                                        ; =>  This Inner Loop Header: Depth=2
	s_waitcnt lgkmcnt(0)
	s_delay_alu instid0(VALU_DEP_1)
	v_add_f64 v[21:22], v[12:13], v[10:11]
	ds_cmpstore_rtn_b64 v[21:22], v20, v[21:22], v[12:13]
	s_waitcnt lgkmcnt(0)
	v_cmp_eq_u64_e32 vcc_lo, v[21:22], v[12:13]
	v_dual_mov_b32 v12, v21 :: v_dual_mov_b32 v13, v22
	s_or_b32 s40, vcc_lo, s40
	s_delay_alu instid0(SALU_CYCLE_1)
	s_and_not1_b32 exec_lo, exec_lo, s40
	s_cbranch_execnz .LBB107_86
; %bb.87:                               ;   in Loop: Header=BB107_71 Depth=1
	s_or_b32 exec_lo, exec_lo, s40
	v_mul_f64 v[8:9], v[8:9], v[2:3]
	s_mov_b32 s40, 0
	s_delay_alu instid0(VALU_DEP_1)
	v_fma_f64 v[6:7], v[4:5], v[6:7], v[8:9]
	ds_load_b64 v[8:9], v20 offset:8
.LBB107_88:                             ;   Parent Loop BB107_71 Depth=1
                                        ; =>  This Inner Loop Header: Depth=2
	s_waitcnt lgkmcnt(0)
	v_add_f64 v[10:11], v[8:9], v[6:7]
	ds_cmpstore_rtn_b64 v[10:11], v20, v[10:11], v[8:9] offset:8
	s_waitcnt lgkmcnt(0)
	v_cmp_eq_u64_e32 vcc_lo, v[10:11], v[8:9]
	v_dual_mov_b32 v8, v10 :: v_dual_mov_b32 v9, v11
	s_or_b32 s40, vcc_lo, s40
	s_delay_alu instid0(SALU_CYCLE_1)
	s_and_not1_b32 exec_lo, exec_lo, s40
	s_cbranch_execnz .LBB107_88
; %bb.89:                               ;   in Loop: Header=BB107_71 Depth=1
	s_or_b32 exec_lo, exec_lo, s40
	s_branch .LBB107_69
.LBB107_90:
	s_or_b32 exec_lo, exec_lo, s25
                                        ; implicit-def: $vgpr16_vgpr17
                                        ; implicit-def: $vgpr14
                                        ; implicit-def: $vgpr2_vgpr3
.LBB107_91:
	s_and_not1_saveexec_b32 s1, s7
	s_cbranch_execz .LBB107_165
; %bb.92:
	s_add_u32 s30, s18, -1
	s_addc_u32 s31, s19, -1
	s_add_u32 s34, s18, -2
	v_cmp_le_i64_e64 s0, s[30:31], s[16:17]
	s_addc_u32 s35, s19, -1
	v_dual_mov_b32 v4, s16 :: v_dual_mov_b32 v5, s17
	s_cmp_eq_u64 s[34:35], s[16:17]
	v_dual_mov_b32 v6, s30 :: v_dual_mov_b32 v7, s31
	s_cselect_b32 s7, -1, 0
	s_delay_alu instid0(SALU_CYCLE_1) | instskip(NEXT) | instid1(SALU_CYCLE_1)
	s_or_b32 s7, s0, s7
	s_and_b32 vcc_lo, exec_lo, s7
	s_cbranch_vccnz .LBB107_96
; %bb.93:
	v_dual_mov_b32 v4, s16 :: v_dual_mov_b32 v5, s17
	v_dual_mov_b32 v6, s30 :: v_dual_mov_b32 v7, s31
	s_mov_b32 s25, 0
	s_set_inst_prefetch_distance 0x1
	.p2align	6
.LBB107_94:                             ; =>This Inner Loop Header: Depth=1
	s_delay_alu instid0(VALU_DEP_1) | instskip(NEXT) | instid1(VALU_DEP_2)
	v_add_co_u32 v8, vcc_lo, v6, v4
	v_add_co_ci_u32_e32 v9, vcc_lo, v7, v5, vcc_lo
	s_delay_alu instid0(VALU_DEP_1) | instskip(NEXT) | instid1(VALU_DEP_1)
	v_lshrrev_b32_e32 v10, 31, v9
	v_add_co_u32 v8, vcc_lo, v8, v10
	v_add_co_ci_u32_e32 v9, vcc_lo, 0, v9, vcc_lo
	s_delay_alu instid0(VALU_DEP_1) | instskip(NEXT) | instid1(VALU_DEP_1)
	v_ashrrev_i64 v[8:9], 1, v[8:9]
	v_lshlrev_b64 v[10:11], 3, v[8:9]
	s_delay_alu instid0(VALU_DEP_1) | instskip(NEXT) | instid1(VALU_DEP_2)
	v_add_co_u32 v10, vcc_lo, s8, v10
	v_add_co_ci_u32_e32 v11, vcc_lo, s9, v11, vcc_lo
	global_load_b64 v[10:11], v[10:11], off
	s_waitcnt vmcnt(0)
	v_sub_co_u32 v10, vcc_lo, v10, s24
	v_subrev_co_ci_u32_e32 v11, vcc_lo, 0, v11, vcc_lo
	s_delay_alu instid0(VALU_DEP_1) | instskip(SKIP_2) | instid1(VALU_DEP_2)
	v_cmp_gt_i64_e32 vcc_lo, v[10:11], v[14:15]
	v_dual_cndmask_b32 v7, v7, v9 :: v_dual_cndmask_b32 v6, v6, v8
	v_dual_cndmask_b32 v5, v9, v5 :: v_dual_cndmask_b32 v4, v8, v4
	v_add_co_u32 v8, vcc_lo, v6, -1
	s_delay_alu instid0(VALU_DEP_3) | instskip(NEXT) | instid1(VALU_DEP_3)
	v_add_co_ci_u32_e32 v9, vcc_lo, -1, v7, vcc_lo
	v_cmp_ge_i64_e32 vcc_lo, v[4:5], v[6:7]
	s_delay_alu instid0(VALU_DEP_2) | instskip(NEXT) | instid1(VALU_DEP_1)
	v_cmp_eq_u64_e64 s0, v[4:5], v[8:9]
	s_or_b32 s0, vcc_lo, s0
	s_delay_alu instid0(SALU_CYCLE_1) | instskip(NEXT) | instid1(SALU_CYCLE_1)
	s_and_b32 s0, exec_lo, s0
	s_or_b32 s25, s0, s25
	s_delay_alu instid0(SALU_CYCLE_1)
	s_and_not1_b32 exec_lo, exec_lo, s25
	s_cbranch_execnz .LBB107_94
; %bb.95:
	s_set_inst_prefetch_distance 0x2
	s_or_b32 exec_lo, exec_lo, s25
.LBB107_96:
	v_lshlrev_b64 v[8:9], 3, v[6:7]
	s_xor_b32 s7, s7, -1
	s_mov_b32 s25, exec_lo
	s_delay_alu instid0(VALU_DEP_1) | instskip(NEXT) | instid1(VALU_DEP_2)
	v_add_co_u32 v8, vcc_lo, s8, v8
	v_add_co_ci_u32_e32 v9, vcc_lo, s9, v9, vcc_lo
	v_add_co_u32 v18, vcc_lo, s10, v2
	v_add_co_ci_u32_e32 v19, vcc_lo, s11, v3, vcc_lo
	global_load_b64 v[8:9], v[8:9], off
	s_lshl_b64 s[10:11], s[18:19], 3
	global_load_b64 v[10:11], v[18:19], off
	s_add_u32 s10, s8, s10
	s_addc_u32 s11, s9, s11
	s_waitcnt vmcnt(1)
	v_sub_co_u32 v2, vcc_lo, v8, s24
	v_subrev_co_ci_u32_e32 v3, vcc_lo, 0, v9, vcc_lo
	s_delay_alu instid0(VALU_DEP_1) | instskip(SKIP_4) | instid1(VALU_DEP_1)
	v_cmp_gt_i64_e32 vcc_lo, v[2:3], v[14:15]
	v_dual_cndmask_b32 v3, v7, v5 :: v_dual_cndmask_b32 v2, v6, v4
	s_waitcnt vmcnt(0)
	v_sub_co_u32 v20, vcc_lo, v10, s24
	v_subrev_co_ci_u32_e32 v21, vcc_lo, 0, v11, vcc_lo
	v_cmpx_ne_u64_e64 v[20:21], v[2:3]
	s_cbranch_execz .LBB107_110
; %bb.97:
	s_load_b64 s[34:35], s[10:11], 0x0
	s_waitcnt lgkmcnt(0)
	s_sub_u32 s34, s34, s24
	s_subb_u32 s35, s35, 0
	s_delay_alu instid0(SALU_CYCLE_1)
	v_cmp_gt_i64_e32 vcc_lo, s[34:35], v[14:15]
	s_and_b32 exec_lo, exec_lo, vcc_lo
	s_cbranch_execz .LBB107_110
; %bb.98:
	v_cmp_gt_i64_e32 vcc_lo, s[12:13], v[20:21]
	v_cmp_le_i64_e64 s0, s[18:19], v[20:21]
	v_lshlrev_b64 v[2:3], 4, v[2:3]
	s_delay_alu instid0(VALU_DEP_2) | instskip(NEXT) | instid1(SALU_CYCLE_1)
	s_or_b32 s0, vcc_lo, s0
	s_and_saveexec_b32 s29, s0
	s_delay_alu instid0(SALU_CYCLE_1)
	s_xor_b32 s0, exec_lo, s29
	s_cbranch_execz .LBB107_104
; %bb.99:
	s_delay_alu instid0(VALU_DEP_1)
	v_add_co_u32 v2, vcc_lo, s14, v2
	v_add_co_ci_u32_e32 v3, vcc_lo, s15, v3, vcc_lo
	v_lshlrev_b64 v[6:7], 4, v[20:21]
	s_mov_b32 s29, 0
	global_load_b128 v[2:5], v[2:3], off
	v_add_co_u32 v22, vcc_lo, s20, v6
	v_add_co_ci_u32_e32 v23, vcc_lo, s21, v7, vcc_lo
	ds_load_b128 v[6:9], v27
	global_load_b64 v[12:13], v[22:23], off
	s_waitcnt vmcnt(1) lgkmcnt(0)
	v_mul_f64 v[10:11], v[4:5], -v[8:9]
	s_delay_alu instid0(VALU_DEP_1)
	v_fma_f64 v[24:25], v[6:7], v[2:3], v[10:11]
.LBB107_100:                            ; =>This Inner Loop Header: Depth=1
	s_waitcnt vmcnt(0)
	s_delay_alu instid0(VALU_DEP_1)
	v_add_f64 v[10:11], v[12:13], v[24:25]
	global_atomic_cmpswap_b64 v[10:11], v[22:23], v[10:13], off glc
	s_waitcnt vmcnt(0)
	v_cmp_eq_u64_e32 vcc_lo, v[10:11], v[12:13]
	v_dual_mov_b32 v13, v11 :: v_dual_mov_b32 v12, v10
	s_or_b32 s29, vcc_lo, s29
	s_delay_alu instid0(SALU_CYCLE_1)
	s_and_not1_b32 exec_lo, exec_lo, s29
	s_cbranch_execnz .LBB107_100
; %bb.101:
	s_or_b32 exec_lo, exec_lo, s29
	global_load_b64 v[10:11], v[22:23], off offset:8
	v_mul_f64 v[4:5], v[4:5], v[6:7]
	s_mov_b32 s29, 0
	s_delay_alu instid0(VALU_DEP_1)
	v_fma_f64 v[2:3], v[8:9], v[2:3], v[4:5]
.LBB107_102:                            ; =>This Inner Loop Header: Depth=1
	s_waitcnt vmcnt(0)
	s_delay_alu instid0(VALU_DEP_1)
	v_add_f64 v[8:9], v[10:11], v[2:3]
	global_atomic_cmpswap_b64 v[4:5], v[22:23], v[8:11], off offset:8 glc
	s_waitcnt vmcnt(0)
	v_cmp_eq_u64_e32 vcc_lo, v[4:5], v[10:11]
	v_dual_mov_b32 v11, v5 :: v_dual_mov_b32 v10, v4
	s_or_b32 s29, vcc_lo, s29
	s_delay_alu instid0(SALU_CYCLE_1)
	s_and_not1_b32 exec_lo, exec_lo, s29
	s_cbranch_execnz .LBB107_102
; %bb.103:
	s_or_b32 exec_lo, exec_lo, s29
                                        ; implicit-def: $vgpr2_vgpr3
.LBB107_104:
	s_and_not1_saveexec_b32 s0, s0
	s_cbranch_execz .LBB107_110
; %bb.105:
	v_add_co_u32 v2, vcc_lo, s14, v2
	v_add_co_ci_u32_e32 v3, vcc_lo, s15, v3, vcc_lo
	ds_load_b128 v[6:9], v27
	v_subrev_nc_u32_e32 v12, s12, v20
	s_mov_b32 s0, 0
	global_load_b128 v[2:5], v[2:3], off
	v_lshl_add_u32 v22, v12, 4, 0x4000
	ds_load_b64 v[12:13], v22
	s_waitcnt vmcnt(0) lgkmcnt(1)
	v_mul_f64 v[10:11], v[4:5], -v[8:9]
	s_delay_alu instid0(VALU_DEP_1)
	v_fma_f64 v[10:11], v[6:7], v[2:3], v[10:11]
.LBB107_106:                            ; =>This Inner Loop Header: Depth=1
	s_waitcnt lgkmcnt(0)
	s_delay_alu instid0(VALU_DEP_1)
	v_add_f64 v[23:24], v[12:13], v[10:11]
	ds_cmpstore_rtn_b64 v[23:24], v22, v[23:24], v[12:13]
	s_waitcnt lgkmcnt(0)
	v_cmp_eq_u64_e32 vcc_lo, v[23:24], v[12:13]
	v_dual_mov_b32 v12, v23 :: v_dual_mov_b32 v13, v24
	s_or_b32 s0, vcc_lo, s0
	s_delay_alu instid0(SALU_CYCLE_1)
	s_and_not1_b32 exec_lo, exec_lo, s0
	s_cbranch_execnz .LBB107_106
; %bb.107:
	s_or_b32 exec_lo, exec_lo, s0
	v_mul_f64 v[4:5], v[4:5], v[6:7]
	s_mov_b32 s0, 0
	s_delay_alu instid0(VALU_DEP_1)
	v_fma_f64 v[2:3], v[8:9], v[2:3], v[4:5]
	ds_load_b64 v[4:5], v22 offset:8
.LBB107_108:                            ; =>This Inner Loop Header: Depth=1
	s_waitcnt lgkmcnt(0)
	v_add_f64 v[6:7], v[4:5], v[2:3]
	ds_cmpstore_rtn_b64 v[6:7], v22, v[6:7], v[4:5] offset:8
	s_waitcnt lgkmcnt(0)
	v_cmp_eq_u64_e32 vcc_lo, v[6:7], v[4:5]
	v_dual_mov_b32 v4, v6 :: v_dual_mov_b32 v5, v7
	s_or_b32 s0, vcc_lo, s0
	s_delay_alu instid0(SALU_CYCLE_1)
	s_and_not1_b32 exec_lo, exec_lo, s0
	s_cbranch_execnz .LBB107_108
; %bb.109:
	s_or_b32 exec_lo, exec_lo, s0
.LBB107_110:
	s_delay_alu instid0(SALU_CYCLE_1)
	s_or_b32 exec_lo, exec_lo, s25
	v_lshlrev_b64 v[2:3], 4, v[20:21]
	ds_load_b128 v[6:9], v27
	v_cndmask_b32_e64 v26, 0, 1, s7
	v_add_co_u32 v2, vcc_lo, s14, v2
	v_add_co_ci_u32_e32 v3, vcc_lo, s15, v3, vcc_lo
	global_load_b128 v[2:5], v[2:3], off
	s_waitcnt vmcnt(0) lgkmcnt(0)
	v_mul_f64 v[10:11], v[4:5], -v[8:9]
	v_mul_f64 v[4:5], v[4:5], v[6:7]
	s_delay_alu instid0(VALU_DEP_2) | instskip(NEXT) | instid1(VALU_DEP_2)
	v_fma_f64 v[10:11], v[6:7], v[2:3], v[10:11]
	v_fma_f64 v[12:13], v[8:9], v[2:3], v[4:5]
	v_add_co_u32 v2, vcc_lo, 0x100, v14
	v_add_co_ci_u32_e32 v3, vcc_lo, 0, v15, vcc_lo
	v_dual_mov_b32 v4, s16 :: v_dual_mov_b32 v5, s17
	v_dual_mov_b32 v6, s30 :: v_dual_mov_b32 v7, s31
	s_and_not1_b32 vcc_lo, exec_lo, s7
	ds_store_b128 v27, v[10:13]
	s_cbranch_vccnz .LBB107_114
; %bb.111:
	v_dual_mov_b32 v4, s16 :: v_dual_mov_b32 v5, s17
	v_dual_mov_b32 v6, s30 :: v_dual_mov_b32 v7, s31
	s_mov_b32 s7, 0
	s_set_inst_prefetch_distance 0x1
	.p2align	6
.LBB107_112:                            ; =>This Inner Loop Header: Depth=1
	s_delay_alu instid0(VALU_DEP_1) | instskip(NEXT) | instid1(VALU_DEP_2)
	v_add_co_u32 v8, vcc_lo, v6, v4
	v_add_co_ci_u32_e32 v9, vcc_lo, v7, v5, vcc_lo
	s_delay_alu instid0(VALU_DEP_1) | instskip(NEXT) | instid1(VALU_DEP_1)
	v_lshrrev_b32_e32 v10, 31, v9
	v_add_co_u32 v8, vcc_lo, v8, v10
	v_add_co_ci_u32_e32 v9, vcc_lo, 0, v9, vcc_lo
	s_delay_alu instid0(VALU_DEP_1) | instskip(NEXT) | instid1(VALU_DEP_1)
	v_ashrrev_i64 v[8:9], 1, v[8:9]
	v_lshlrev_b64 v[10:11], 3, v[8:9]
	s_delay_alu instid0(VALU_DEP_1) | instskip(NEXT) | instid1(VALU_DEP_2)
	v_add_co_u32 v10, vcc_lo, s8, v10
	v_add_co_ci_u32_e32 v11, vcc_lo, s9, v11, vcc_lo
	global_load_b64 v[10:11], v[10:11], off
	s_waitcnt vmcnt(0)
	v_sub_co_u32 v10, vcc_lo, v10, s24
	v_subrev_co_ci_u32_e32 v11, vcc_lo, 0, v11, vcc_lo
	s_delay_alu instid0(VALU_DEP_1) | instskip(SKIP_2) | instid1(VALU_DEP_2)
	v_cmp_gt_i64_e32 vcc_lo, v[10:11], v[2:3]
	v_dual_cndmask_b32 v7, v7, v9 :: v_dual_cndmask_b32 v6, v6, v8
	v_dual_cndmask_b32 v5, v9, v5 :: v_dual_cndmask_b32 v4, v8, v4
	v_add_co_u32 v8, vcc_lo, v6, -1
	s_delay_alu instid0(VALU_DEP_3) | instskip(NEXT) | instid1(VALU_DEP_3)
	v_add_co_ci_u32_e32 v9, vcc_lo, -1, v7, vcc_lo
	v_cmp_ge_i64_e32 vcc_lo, v[4:5], v[6:7]
	s_delay_alu instid0(VALU_DEP_2) | instskip(NEXT) | instid1(VALU_DEP_1)
	v_cmp_eq_u64_e64 s0, v[4:5], v[8:9]
	s_or_b32 s0, vcc_lo, s0
	s_delay_alu instid0(SALU_CYCLE_1) | instskip(NEXT) | instid1(SALU_CYCLE_1)
	s_and_b32 s0, exec_lo, s0
	s_or_b32 s7, s0, s7
	s_delay_alu instid0(SALU_CYCLE_1)
	s_and_not1_b32 exec_lo, exec_lo, s7
	s_cbranch_execnz .LBB107_112
; %bb.113:
	s_set_inst_prefetch_distance 0x2
	s_or_b32 exec_lo, exec_lo, s7
.LBB107_114:
	v_lshlrev_b64 v[8:9], 3, v[6:7]
	s_mov_b32 s7, exec_lo
	s_delay_alu instid0(VALU_DEP_1) | instskip(NEXT) | instid1(VALU_DEP_2)
	v_add_co_u32 v8, vcc_lo, s8, v8
	v_add_co_ci_u32_e32 v9, vcc_lo, s9, v9, vcc_lo
	global_load_b64 v[8:9], v[8:9], off
	global_load_b64 v[10:11], v[18:19], off offset:2048
	s_waitcnt vmcnt(1)
	v_sub_co_u32 v8, vcc_lo, v8, s24
	v_subrev_co_ci_u32_e32 v9, vcc_lo, 0, v9, vcc_lo
	s_delay_alu instid0(VALU_DEP_1) | instskip(SKIP_4) | instid1(VALU_DEP_1)
	v_cmp_gt_i64_e32 vcc_lo, v[8:9], v[2:3]
	v_dual_cndmask_b32 v5, v7, v5 :: v_dual_cndmask_b32 v4, v6, v4
	s_waitcnt vmcnt(0)
	v_sub_co_u32 v20, vcc_lo, v10, s24
	v_subrev_co_ci_u32_e32 v21, vcc_lo, 0, v11, vcc_lo
	v_cmpx_ne_u64_e64 v[20:21], v[4:5]
	s_cbranch_execz .LBB107_128
; %bb.115:
	s_load_b64 s[34:35], s[10:11], 0x0
	s_waitcnt lgkmcnt(0)
	s_sub_u32 s34, s34, s24
	s_subb_u32 s35, s35, 0
	s_delay_alu instid0(SALU_CYCLE_1)
	v_cmp_gt_i64_e32 vcc_lo, s[34:35], v[2:3]
	s_and_b32 exec_lo, exec_lo, vcc_lo
	s_cbranch_execz .LBB107_128
; %bb.116:
	v_cmp_gt_i64_e32 vcc_lo, s[12:13], v[20:21]
	v_cmp_le_i64_e64 s0, s[18:19], v[20:21]
	v_lshlrev_b64 v[2:3], 4, v[4:5]
	s_delay_alu instid0(VALU_DEP_2) | instskip(NEXT) | instid1(SALU_CYCLE_1)
	s_or_b32 s0, vcc_lo, s0
	s_and_saveexec_b32 s25, s0
	s_delay_alu instid0(SALU_CYCLE_1)
	s_xor_b32 s0, exec_lo, s25
	s_cbranch_execz .LBB107_122
; %bb.117:
	s_delay_alu instid0(VALU_DEP_1)
	v_add_co_u32 v2, vcc_lo, s14, v2
	v_add_co_ci_u32_e32 v3, vcc_lo, s15, v3, vcc_lo
	v_lshlrev_b64 v[6:7], 4, v[20:21]
	s_mov_b32 s25, 0
	global_load_b128 v[2:5], v[2:3], off
	v_add_co_u32 v22, vcc_lo, s20, v6
	v_add_co_ci_u32_e32 v23, vcc_lo, s21, v7, vcc_lo
	ds_load_b128 v[6:9], v27 offset:4096
	global_load_b64 v[12:13], v[22:23], off
	s_waitcnt vmcnt(1) lgkmcnt(0)
	v_mul_f64 v[10:11], v[4:5], -v[8:9]
	s_delay_alu instid0(VALU_DEP_1)
	v_fma_f64 v[24:25], v[6:7], v[2:3], v[10:11]
.LBB107_118:                            ; =>This Inner Loop Header: Depth=1
	s_waitcnt vmcnt(0)
	s_delay_alu instid0(VALU_DEP_1)
	v_add_f64 v[10:11], v[12:13], v[24:25]
	global_atomic_cmpswap_b64 v[10:11], v[22:23], v[10:13], off glc
	s_waitcnt vmcnt(0)
	v_cmp_eq_u64_e32 vcc_lo, v[10:11], v[12:13]
	v_dual_mov_b32 v13, v11 :: v_dual_mov_b32 v12, v10
	s_or_b32 s25, vcc_lo, s25
	s_delay_alu instid0(SALU_CYCLE_1)
	s_and_not1_b32 exec_lo, exec_lo, s25
	s_cbranch_execnz .LBB107_118
; %bb.119:
	s_or_b32 exec_lo, exec_lo, s25
	global_load_b64 v[10:11], v[22:23], off offset:8
	v_mul_f64 v[4:5], v[4:5], v[6:7]
	s_mov_b32 s25, 0
	s_delay_alu instid0(VALU_DEP_1)
	v_fma_f64 v[2:3], v[8:9], v[2:3], v[4:5]
.LBB107_120:                            ; =>This Inner Loop Header: Depth=1
	s_waitcnt vmcnt(0)
	s_delay_alu instid0(VALU_DEP_1)
	v_add_f64 v[8:9], v[10:11], v[2:3]
	global_atomic_cmpswap_b64 v[4:5], v[22:23], v[8:11], off offset:8 glc
	s_waitcnt vmcnt(0)
	v_cmp_eq_u64_e32 vcc_lo, v[4:5], v[10:11]
	v_dual_mov_b32 v11, v5 :: v_dual_mov_b32 v10, v4
	s_or_b32 s25, vcc_lo, s25
	s_delay_alu instid0(SALU_CYCLE_1)
	s_and_not1_b32 exec_lo, exec_lo, s25
	s_cbranch_execnz .LBB107_120
; %bb.121:
	s_or_b32 exec_lo, exec_lo, s25
                                        ; implicit-def: $vgpr2_vgpr3
.LBB107_122:
	s_and_not1_saveexec_b32 s0, s0
	s_cbranch_execz .LBB107_128
; %bb.123:
	v_add_co_u32 v2, vcc_lo, s14, v2
	v_add_co_ci_u32_e32 v3, vcc_lo, s15, v3, vcc_lo
	ds_load_b128 v[6:9], v27 offset:4096
	v_subrev_nc_u32_e32 v12, s12, v20
	s_mov_b32 s0, 0
	global_load_b128 v[2:5], v[2:3], off
	v_lshl_add_u32 v22, v12, 4, 0x4000
	ds_load_b64 v[12:13], v22
	s_waitcnt vmcnt(0) lgkmcnt(1)
	v_mul_f64 v[10:11], v[4:5], -v[8:9]
	s_delay_alu instid0(VALU_DEP_1)
	v_fma_f64 v[10:11], v[6:7], v[2:3], v[10:11]
.LBB107_124:                            ; =>This Inner Loop Header: Depth=1
	s_waitcnt lgkmcnt(0)
	s_delay_alu instid0(VALU_DEP_1)
	v_add_f64 v[23:24], v[12:13], v[10:11]
	ds_cmpstore_rtn_b64 v[23:24], v22, v[23:24], v[12:13]
	s_waitcnt lgkmcnt(0)
	v_cmp_eq_u64_e32 vcc_lo, v[23:24], v[12:13]
	v_dual_mov_b32 v12, v23 :: v_dual_mov_b32 v13, v24
	s_or_b32 s0, vcc_lo, s0
	s_delay_alu instid0(SALU_CYCLE_1)
	s_and_not1_b32 exec_lo, exec_lo, s0
	s_cbranch_execnz .LBB107_124
; %bb.125:
	s_or_b32 exec_lo, exec_lo, s0
	v_mul_f64 v[4:5], v[4:5], v[6:7]
	s_mov_b32 s0, 0
	s_delay_alu instid0(VALU_DEP_1)
	v_fma_f64 v[2:3], v[8:9], v[2:3], v[4:5]
	ds_load_b64 v[4:5], v22 offset:8
.LBB107_126:                            ; =>This Inner Loop Header: Depth=1
	s_waitcnt lgkmcnt(0)
	v_add_f64 v[6:7], v[4:5], v[2:3]
	ds_cmpstore_rtn_b64 v[6:7], v22, v[6:7], v[4:5] offset:8
	s_waitcnt lgkmcnt(0)
	v_cmp_eq_u64_e32 vcc_lo, v[6:7], v[4:5]
	v_dual_mov_b32 v4, v6 :: v_dual_mov_b32 v5, v7
	s_or_b32 s0, vcc_lo, s0
	s_delay_alu instid0(SALU_CYCLE_1)
	s_and_not1_b32 exec_lo, exec_lo, s0
	s_cbranch_execnz .LBB107_126
; %bb.127:
	s_or_b32 exec_lo, exec_lo, s0
.LBB107_128:
	s_delay_alu instid0(SALU_CYCLE_1)
	s_or_b32 exec_lo, exec_lo, s7
	v_lshlrev_b64 v[2:3], 4, v[20:21]
	ds_load_b128 v[6:9], v27 offset:4096
	v_add_co_u32 v2, vcc_lo, s14, v2
	v_add_co_ci_u32_e32 v3, vcc_lo, s15, v3, vcc_lo
	v_cmp_ne_u32_e32 vcc_lo, 1, v26
	global_load_b128 v[2:5], v[2:3], off
	s_and_b32 vcc_lo, exec_lo, vcc_lo
	s_waitcnt vmcnt(0) lgkmcnt(0)
	v_mul_f64 v[10:11], v[4:5], -v[8:9]
	v_mul_f64 v[4:5], v[4:5], v[6:7]
	s_delay_alu instid0(VALU_DEP_2) | instskip(NEXT) | instid1(VALU_DEP_2)
	v_fma_f64 v[10:11], v[6:7], v[2:3], v[10:11]
	v_fma_f64 v[12:13], v[8:9], v[2:3], v[4:5]
	v_add_co_u32 v2, s0, 0x200, v14
	s_delay_alu instid0(VALU_DEP_1)
	v_add_co_ci_u32_e64 v3, s0, 0, v15, s0
	v_dual_mov_b32 v4, s16 :: v_dual_mov_b32 v5, s17
	v_dual_mov_b32 v6, s30 :: v_dual_mov_b32 v7, s31
	ds_store_b128 v27, v[10:13] offset:4096
	s_cbranch_vccnz .LBB107_132
; %bb.129:
	v_dual_mov_b32 v4, s16 :: v_dual_mov_b32 v5, s17
	v_dual_mov_b32 v6, s30 :: v_dual_mov_b32 v7, s31
	s_mov_b32 s7, 0
	s_set_inst_prefetch_distance 0x1
	.p2align	6
.LBB107_130:                            ; =>This Inner Loop Header: Depth=1
	s_delay_alu instid0(VALU_DEP_1) | instskip(NEXT) | instid1(VALU_DEP_2)
	v_add_co_u32 v8, vcc_lo, v6, v4
	v_add_co_ci_u32_e32 v9, vcc_lo, v7, v5, vcc_lo
	s_delay_alu instid0(VALU_DEP_1) | instskip(NEXT) | instid1(VALU_DEP_1)
	v_lshrrev_b32_e32 v10, 31, v9
	v_add_co_u32 v8, vcc_lo, v8, v10
	v_add_co_ci_u32_e32 v9, vcc_lo, 0, v9, vcc_lo
	s_delay_alu instid0(VALU_DEP_1) | instskip(NEXT) | instid1(VALU_DEP_1)
	v_ashrrev_i64 v[8:9], 1, v[8:9]
	v_lshlrev_b64 v[10:11], 3, v[8:9]
	s_delay_alu instid0(VALU_DEP_1) | instskip(NEXT) | instid1(VALU_DEP_2)
	v_add_co_u32 v10, vcc_lo, s8, v10
	v_add_co_ci_u32_e32 v11, vcc_lo, s9, v11, vcc_lo
	global_load_b64 v[10:11], v[10:11], off
	s_waitcnt vmcnt(0)
	v_sub_co_u32 v10, vcc_lo, v10, s24
	v_subrev_co_ci_u32_e32 v11, vcc_lo, 0, v11, vcc_lo
	s_delay_alu instid0(VALU_DEP_1) | instskip(SKIP_2) | instid1(VALU_DEP_2)
	v_cmp_gt_i64_e32 vcc_lo, v[10:11], v[2:3]
	v_dual_cndmask_b32 v7, v7, v9 :: v_dual_cndmask_b32 v6, v6, v8
	v_dual_cndmask_b32 v5, v9, v5 :: v_dual_cndmask_b32 v4, v8, v4
	v_add_co_u32 v8, vcc_lo, v6, -1
	s_delay_alu instid0(VALU_DEP_3) | instskip(NEXT) | instid1(VALU_DEP_3)
	v_add_co_ci_u32_e32 v9, vcc_lo, -1, v7, vcc_lo
	v_cmp_ge_i64_e32 vcc_lo, v[4:5], v[6:7]
	s_delay_alu instid0(VALU_DEP_2) | instskip(NEXT) | instid1(VALU_DEP_1)
	v_cmp_eq_u64_e64 s0, v[4:5], v[8:9]
	s_or_b32 s0, vcc_lo, s0
	s_delay_alu instid0(SALU_CYCLE_1) | instskip(NEXT) | instid1(SALU_CYCLE_1)
	s_and_b32 s0, exec_lo, s0
	s_or_b32 s7, s0, s7
	s_delay_alu instid0(SALU_CYCLE_1)
	s_and_not1_b32 exec_lo, exec_lo, s7
	s_cbranch_execnz .LBB107_130
; %bb.131:
	s_set_inst_prefetch_distance 0x2
	s_or_b32 exec_lo, exec_lo, s7
.LBB107_132:
	v_lshlrev_b64 v[8:9], 3, v[6:7]
	s_mov_b32 s7, exec_lo
	s_delay_alu instid0(VALU_DEP_1) | instskip(NEXT) | instid1(VALU_DEP_2)
	v_add_co_u32 v8, vcc_lo, s8, v8
	v_add_co_ci_u32_e32 v9, vcc_lo, s9, v9, vcc_lo
	v_add_co_u32 v14, vcc_lo, 0x1000, v18
	v_add_co_ci_u32_e32 v15, vcc_lo, 0, v19, vcc_lo
	global_load_b64 v[8:9], v[8:9], off
	global_load_b64 v[10:11], v[14:15], off
	s_waitcnt vmcnt(1)
	v_sub_co_u32 v8, vcc_lo, v8, s24
	v_subrev_co_ci_u32_e32 v9, vcc_lo, 0, v9, vcc_lo
	s_delay_alu instid0(VALU_DEP_1) | instskip(SKIP_4) | instid1(VALU_DEP_1)
	v_cmp_gt_i64_e32 vcc_lo, v[8:9], v[2:3]
	v_dual_cndmask_b32 v5, v7, v5 :: v_dual_cndmask_b32 v4, v6, v4
	s_waitcnt vmcnt(0)
	v_sub_co_u32 v18, vcc_lo, v10, s24
	v_subrev_co_ci_u32_e32 v19, vcc_lo, 0, v11, vcc_lo
	v_cmpx_ne_u64_e64 v[18:19], v[4:5]
	s_cbranch_execz .LBB107_146
; %bb.133:
	s_load_b64 s[34:35], s[10:11], 0x0
	s_waitcnt lgkmcnt(0)
	s_sub_u32 s34, s34, s24
	s_subb_u32 s35, s35, 0
	s_delay_alu instid0(SALU_CYCLE_1)
	v_cmp_gt_i64_e32 vcc_lo, s[34:35], v[2:3]
	s_and_b32 exec_lo, exec_lo, vcc_lo
	s_cbranch_execz .LBB107_146
; %bb.134:
	v_cmp_gt_i64_e32 vcc_lo, s[12:13], v[18:19]
	v_cmp_le_i64_e64 s0, s[18:19], v[18:19]
	v_lshlrev_b64 v[2:3], 4, v[4:5]
	s_delay_alu instid0(VALU_DEP_2) | instskip(NEXT) | instid1(SALU_CYCLE_1)
	s_or_b32 s0, vcc_lo, s0
	s_and_saveexec_b32 s25, s0
	s_delay_alu instid0(SALU_CYCLE_1)
	s_xor_b32 s0, exec_lo, s25
	s_cbranch_execz .LBB107_140
; %bb.135:
	s_delay_alu instid0(VALU_DEP_1)
	v_add_co_u32 v2, vcc_lo, s14, v2
	v_add_co_ci_u32_e32 v3, vcc_lo, s15, v3, vcc_lo
	v_lshlrev_b64 v[6:7], 4, v[18:19]
	s_mov_b32 s25, 0
	global_load_b128 v[2:5], v[2:3], off
	v_add_co_u32 v20, vcc_lo, s20, v6
	v_add_co_ci_u32_e32 v21, vcc_lo, s21, v7, vcc_lo
	ds_load_b128 v[6:9], v27 offset:8192
	global_load_b64 v[12:13], v[20:21], off
	s_waitcnt vmcnt(1) lgkmcnt(0)
	v_mul_f64 v[10:11], v[4:5], -v[8:9]
	s_delay_alu instid0(VALU_DEP_1)
	v_fma_f64 v[22:23], v[6:7], v[2:3], v[10:11]
.LBB107_136:                            ; =>This Inner Loop Header: Depth=1
	s_waitcnt vmcnt(0)
	s_delay_alu instid0(VALU_DEP_1)
	v_add_f64 v[10:11], v[12:13], v[22:23]
	global_atomic_cmpswap_b64 v[10:11], v[20:21], v[10:13], off glc
	s_waitcnt vmcnt(0)
	v_cmp_eq_u64_e32 vcc_lo, v[10:11], v[12:13]
	v_dual_mov_b32 v13, v11 :: v_dual_mov_b32 v12, v10
	s_or_b32 s25, vcc_lo, s25
	s_delay_alu instid0(SALU_CYCLE_1)
	s_and_not1_b32 exec_lo, exec_lo, s25
	s_cbranch_execnz .LBB107_136
; %bb.137:
	s_or_b32 exec_lo, exec_lo, s25
	global_load_b64 v[10:11], v[20:21], off offset:8
	v_mul_f64 v[4:5], v[4:5], v[6:7]
	s_mov_b32 s25, 0
	s_delay_alu instid0(VALU_DEP_1)
	v_fma_f64 v[2:3], v[8:9], v[2:3], v[4:5]
.LBB107_138:                            ; =>This Inner Loop Header: Depth=1
	s_waitcnt vmcnt(0)
	s_delay_alu instid0(VALU_DEP_1)
	v_add_f64 v[8:9], v[10:11], v[2:3]
	global_atomic_cmpswap_b64 v[4:5], v[20:21], v[8:11], off offset:8 glc
	s_waitcnt vmcnt(0)
	v_cmp_eq_u64_e32 vcc_lo, v[4:5], v[10:11]
	v_dual_mov_b32 v11, v5 :: v_dual_mov_b32 v10, v4
	s_or_b32 s25, vcc_lo, s25
	s_delay_alu instid0(SALU_CYCLE_1)
	s_and_not1_b32 exec_lo, exec_lo, s25
	s_cbranch_execnz .LBB107_138
; %bb.139:
	s_or_b32 exec_lo, exec_lo, s25
                                        ; implicit-def: $vgpr2_vgpr3
.LBB107_140:
	s_and_not1_saveexec_b32 s0, s0
	s_cbranch_execz .LBB107_146
; %bb.141:
	v_add_co_u32 v2, vcc_lo, s14, v2
	v_add_co_ci_u32_e32 v3, vcc_lo, s15, v3, vcc_lo
	ds_load_b128 v[6:9], v27 offset:8192
	v_subrev_nc_u32_e32 v12, s12, v18
	s_mov_b32 s0, 0
	global_load_b128 v[2:5], v[2:3], off
	v_lshl_add_u32 v20, v12, 4, 0x4000
	ds_load_b64 v[12:13], v20
	s_waitcnt vmcnt(0) lgkmcnt(1)
	v_mul_f64 v[10:11], v[4:5], -v[8:9]
	s_delay_alu instid0(VALU_DEP_1)
	v_fma_f64 v[10:11], v[6:7], v[2:3], v[10:11]
.LBB107_142:                            ; =>This Inner Loop Header: Depth=1
	s_waitcnt lgkmcnt(0)
	s_delay_alu instid0(VALU_DEP_1)
	v_add_f64 v[21:22], v[12:13], v[10:11]
	ds_cmpstore_rtn_b64 v[21:22], v20, v[21:22], v[12:13]
	s_waitcnt lgkmcnt(0)
	v_cmp_eq_u64_e32 vcc_lo, v[21:22], v[12:13]
	v_dual_mov_b32 v12, v21 :: v_dual_mov_b32 v13, v22
	s_or_b32 s0, vcc_lo, s0
	s_delay_alu instid0(SALU_CYCLE_1)
	s_and_not1_b32 exec_lo, exec_lo, s0
	s_cbranch_execnz .LBB107_142
; %bb.143:
	s_or_b32 exec_lo, exec_lo, s0
	v_mul_f64 v[4:5], v[4:5], v[6:7]
	s_mov_b32 s0, 0
	s_delay_alu instid0(VALU_DEP_1)
	v_fma_f64 v[2:3], v[8:9], v[2:3], v[4:5]
	ds_load_b64 v[4:5], v20 offset:8
.LBB107_144:                            ; =>This Inner Loop Header: Depth=1
	s_waitcnt lgkmcnt(0)
	v_add_f64 v[6:7], v[4:5], v[2:3]
	ds_cmpstore_rtn_b64 v[6:7], v20, v[6:7], v[4:5] offset:8
	s_waitcnt lgkmcnt(0)
	v_cmp_eq_u64_e32 vcc_lo, v[6:7], v[4:5]
	v_dual_mov_b32 v4, v6 :: v_dual_mov_b32 v5, v7
	s_or_b32 s0, vcc_lo, s0
	s_delay_alu instid0(SALU_CYCLE_1)
	s_and_not1_b32 exec_lo, exec_lo, s0
	s_cbranch_execnz .LBB107_144
; %bb.145:
	s_or_b32 exec_lo, exec_lo, s0
.LBB107_146:
	s_delay_alu instid0(SALU_CYCLE_1)
	s_or_b32 exec_lo, exec_lo, s7
	v_lshlrev_b64 v[2:3], 4, v[18:19]
	ds_load_b128 v[6:9], v27 offset:8192
	v_add_co_u32 v2, vcc_lo, s14, v2
	v_add_co_ci_u32_e32 v3, vcc_lo, s15, v3, vcc_lo
	v_cmp_ne_u32_e32 vcc_lo, 1, v26
	global_load_b128 v[2:5], v[2:3], off
	s_and_b32 vcc_lo, exec_lo, vcc_lo
	s_waitcnt vmcnt(0) lgkmcnt(0)
	v_mul_f64 v[10:11], v[4:5], -v[8:9]
	v_mul_f64 v[4:5], v[4:5], v[6:7]
	s_delay_alu instid0(VALU_DEP_2) | instskip(NEXT) | instid1(VALU_DEP_2)
	v_fma_f64 v[6:7], v[6:7], v[2:3], v[10:11]
	v_fma_f64 v[8:9], v[8:9], v[2:3], v[4:5]
	v_dual_mov_b32 v2, s16 :: v_dual_mov_b32 v3, s17
	v_dual_mov_b32 v4, s30 :: v_dual_mov_b32 v5, s31
	ds_store_b128 v27, v[6:9] offset:8192
	s_cbranch_vccnz .LBB107_150
; %bb.147:
	v_dual_mov_b32 v2, s16 :: v_dual_mov_b32 v3, s17
	v_dual_mov_b32 v4, s30 :: v_dual_mov_b32 v5, s31
	s_mov_b32 s7, 0
	s_set_inst_prefetch_distance 0x1
	.p2align	6
.LBB107_148:                            ; =>This Inner Loop Header: Depth=1
	s_delay_alu instid0(VALU_DEP_1) | instskip(NEXT) | instid1(VALU_DEP_2)
	v_add_co_u32 v6, vcc_lo, v4, v2
	v_add_co_ci_u32_e32 v7, vcc_lo, v5, v3, vcc_lo
	s_delay_alu instid0(VALU_DEP_1) | instskip(NEXT) | instid1(VALU_DEP_1)
	v_lshrrev_b32_e32 v8, 31, v7
	v_add_co_u32 v6, vcc_lo, v6, v8
	v_add_co_ci_u32_e32 v7, vcc_lo, 0, v7, vcc_lo
	s_delay_alu instid0(VALU_DEP_1) | instskip(NEXT) | instid1(VALU_DEP_1)
	v_ashrrev_i64 v[6:7], 1, v[6:7]
	v_lshlrev_b64 v[8:9], 3, v[6:7]
	s_delay_alu instid0(VALU_DEP_1) | instskip(NEXT) | instid1(VALU_DEP_2)
	v_add_co_u32 v8, vcc_lo, s8, v8
	v_add_co_ci_u32_e32 v9, vcc_lo, s9, v9, vcc_lo
	global_load_b64 v[8:9], v[8:9], off
	s_waitcnt vmcnt(0)
	v_sub_co_u32 v8, vcc_lo, v8, s24
	v_subrev_co_ci_u32_e32 v9, vcc_lo, 0, v9, vcc_lo
	s_delay_alu instid0(VALU_DEP_1) | instskip(SKIP_2) | instid1(VALU_DEP_2)
	v_cmp_gt_i64_e32 vcc_lo, v[8:9], v[16:17]
	v_dual_cndmask_b32 v5, v5, v7 :: v_dual_cndmask_b32 v4, v4, v6
	v_dual_cndmask_b32 v3, v7, v3 :: v_dual_cndmask_b32 v2, v6, v2
	v_add_co_u32 v6, vcc_lo, v4, -1
	s_delay_alu instid0(VALU_DEP_3) | instskip(NEXT) | instid1(VALU_DEP_3)
	v_add_co_ci_u32_e32 v7, vcc_lo, -1, v5, vcc_lo
	v_cmp_ge_i64_e32 vcc_lo, v[2:3], v[4:5]
	s_delay_alu instid0(VALU_DEP_2) | instskip(NEXT) | instid1(VALU_DEP_1)
	v_cmp_eq_u64_e64 s0, v[2:3], v[6:7]
	s_or_b32 s0, vcc_lo, s0
	s_delay_alu instid0(SALU_CYCLE_1) | instskip(NEXT) | instid1(SALU_CYCLE_1)
	s_and_b32 s0, exec_lo, s0
	s_or_b32 s7, s0, s7
	s_delay_alu instid0(SALU_CYCLE_1)
	s_and_not1_b32 exec_lo, exec_lo, s7
	s_cbranch_execnz .LBB107_148
; %bb.149:
	s_set_inst_prefetch_distance 0x2
	s_or_b32 exec_lo, exec_lo, s7
.LBB107_150:
	v_lshlrev_b64 v[6:7], 3, v[4:5]
	s_mov_b32 s7, exec_lo
	s_delay_alu instid0(VALU_DEP_1) | instskip(NEXT) | instid1(VALU_DEP_2)
	v_add_co_u32 v6, vcc_lo, s8, v6
	v_add_co_ci_u32_e32 v7, vcc_lo, s9, v7, vcc_lo
	global_load_b64 v[6:7], v[6:7], off
	global_load_b64 v[8:9], v[14:15], off offset:2048
	s_waitcnt vmcnt(1)
	v_sub_co_u32 v6, vcc_lo, v6, s24
	v_subrev_co_ci_u32_e32 v7, vcc_lo, 0, v7, vcc_lo
	s_delay_alu instid0(VALU_DEP_1) | instskip(SKIP_4) | instid1(VALU_DEP_1)
	v_cmp_gt_i64_e32 vcc_lo, v[6:7], v[16:17]
	v_dual_cndmask_b32 v3, v5, v3 :: v_dual_cndmask_b32 v2, v4, v2
	s_waitcnt vmcnt(0)
	v_sub_co_u32 v14, vcc_lo, v8, s24
	v_subrev_co_ci_u32_e32 v15, vcc_lo, 0, v9, vcc_lo
	v_cmpx_ne_u64_e64 v[14:15], v[2:3]
	s_cbranch_execz .LBB107_164
; %bb.151:
	s_load_b64 s[10:11], s[10:11], 0x0
	s_waitcnt lgkmcnt(0)
	s_sub_u32 s10, s10, s24
	s_subb_u32 s11, s11, 0
	s_delay_alu instid0(SALU_CYCLE_1)
	v_cmp_gt_i64_e32 vcc_lo, s[10:11], v[16:17]
	s_and_b32 exec_lo, exec_lo, vcc_lo
	s_cbranch_execz .LBB107_164
; %bb.152:
	v_cmp_gt_i64_e32 vcc_lo, s[12:13], v[14:15]
	v_cmp_le_i64_e64 s0, s[18:19], v[14:15]
	v_lshlrev_b64 v[2:3], 4, v[2:3]
	s_delay_alu instid0(VALU_DEP_2) | instskip(NEXT) | instid1(SALU_CYCLE_1)
	s_or_b32 s0, vcc_lo, s0
	s_and_saveexec_b32 s10, s0
	s_delay_alu instid0(SALU_CYCLE_1)
	s_xor_b32 s0, exec_lo, s10
	s_cbranch_execz .LBB107_158
; %bb.153:
	s_delay_alu instid0(VALU_DEP_1)
	v_add_co_u32 v2, vcc_lo, s14, v2
	v_add_co_ci_u32_e32 v3, vcc_lo, s15, v3, vcc_lo
	v_lshlrev_b64 v[6:7], 4, v[14:15]
	s_mov_b32 s10, 0
	global_load_b128 v[2:5], v[2:3], off
	v_add_co_u32 v16, vcc_lo, s20, v6
	v_add_co_ci_u32_e32 v17, vcc_lo, s21, v7, vcc_lo
	ds_load_b128 v[6:9], v27 offset:12288
	global_load_b64 v[12:13], v[16:17], off
	s_waitcnt vmcnt(1) lgkmcnt(0)
	v_mul_f64 v[10:11], v[4:5], -v[8:9]
	s_delay_alu instid0(VALU_DEP_1)
	v_fma_f64 v[18:19], v[6:7], v[2:3], v[10:11]
.LBB107_154:                            ; =>This Inner Loop Header: Depth=1
	s_waitcnt vmcnt(0)
	s_delay_alu instid0(VALU_DEP_1)
	v_add_f64 v[10:11], v[12:13], v[18:19]
	global_atomic_cmpswap_b64 v[10:11], v[16:17], v[10:13], off glc
	s_waitcnt vmcnt(0)
	v_cmp_eq_u64_e32 vcc_lo, v[10:11], v[12:13]
	v_dual_mov_b32 v13, v11 :: v_dual_mov_b32 v12, v10
	s_or_b32 s10, vcc_lo, s10
	s_delay_alu instid0(SALU_CYCLE_1)
	s_and_not1_b32 exec_lo, exec_lo, s10
	s_cbranch_execnz .LBB107_154
; %bb.155:
	s_or_b32 exec_lo, exec_lo, s10
	global_load_b64 v[10:11], v[16:17], off offset:8
	v_mul_f64 v[4:5], v[4:5], v[6:7]
	s_mov_b32 s10, 0
	s_delay_alu instid0(VALU_DEP_1)
	v_fma_f64 v[2:3], v[8:9], v[2:3], v[4:5]
.LBB107_156:                            ; =>This Inner Loop Header: Depth=1
	s_waitcnt vmcnt(0)
	s_delay_alu instid0(VALU_DEP_1)
	v_add_f64 v[8:9], v[10:11], v[2:3]
	global_atomic_cmpswap_b64 v[4:5], v[16:17], v[8:11], off offset:8 glc
	s_waitcnt vmcnt(0)
	v_cmp_eq_u64_e32 vcc_lo, v[4:5], v[10:11]
	v_dual_mov_b32 v11, v5 :: v_dual_mov_b32 v10, v4
	s_or_b32 s10, vcc_lo, s10
	s_delay_alu instid0(SALU_CYCLE_1)
	s_and_not1_b32 exec_lo, exec_lo, s10
	s_cbranch_execnz .LBB107_156
; %bb.157:
	s_or_b32 exec_lo, exec_lo, s10
                                        ; implicit-def: $vgpr2_vgpr3
.LBB107_158:
	s_and_not1_saveexec_b32 s0, s0
	s_cbranch_execz .LBB107_164
; %bb.159:
	v_add_co_u32 v2, vcc_lo, s14, v2
	v_add_co_ci_u32_e32 v3, vcc_lo, s15, v3, vcc_lo
	ds_load_b128 v[6:9], v27 offset:12288
	v_subrev_nc_u32_e32 v12, s12, v14
	s_mov_b32 s0, 0
	global_load_b128 v[2:5], v[2:3], off
	v_lshl_add_u32 v16, v12, 4, 0x4000
	ds_load_b64 v[12:13], v16
	s_waitcnt vmcnt(0) lgkmcnt(1)
	v_mul_f64 v[10:11], v[4:5], -v[8:9]
	s_delay_alu instid0(VALU_DEP_1)
	v_fma_f64 v[10:11], v[6:7], v[2:3], v[10:11]
.LBB107_160:                            ; =>This Inner Loop Header: Depth=1
	s_waitcnt lgkmcnt(0)
	s_delay_alu instid0(VALU_DEP_1)
	v_add_f64 v[17:18], v[12:13], v[10:11]
	ds_cmpstore_rtn_b64 v[17:18], v16, v[17:18], v[12:13]
	s_waitcnt lgkmcnt(0)
	v_cmp_eq_u64_e32 vcc_lo, v[17:18], v[12:13]
	v_dual_mov_b32 v12, v17 :: v_dual_mov_b32 v13, v18
	s_or_b32 s0, vcc_lo, s0
	s_delay_alu instid0(SALU_CYCLE_1)
	s_and_not1_b32 exec_lo, exec_lo, s0
	s_cbranch_execnz .LBB107_160
; %bb.161:
	s_or_b32 exec_lo, exec_lo, s0
	v_mul_f64 v[4:5], v[4:5], v[6:7]
	s_mov_b32 s0, 0
	s_delay_alu instid0(VALU_DEP_1)
	v_fma_f64 v[2:3], v[8:9], v[2:3], v[4:5]
	ds_load_b64 v[4:5], v16 offset:8
.LBB107_162:                            ; =>This Inner Loop Header: Depth=1
	s_waitcnt lgkmcnt(0)
	v_add_f64 v[6:7], v[4:5], v[2:3]
	ds_cmpstore_rtn_b64 v[6:7], v16, v[6:7], v[4:5] offset:8
	s_waitcnt lgkmcnt(0)
	v_cmp_eq_u64_e32 vcc_lo, v[6:7], v[4:5]
	v_dual_mov_b32 v4, v6 :: v_dual_mov_b32 v5, v7
	s_or_b32 s0, vcc_lo, s0
	s_delay_alu instid0(SALU_CYCLE_1)
	s_and_not1_b32 exec_lo, exec_lo, s0
	s_cbranch_execnz .LBB107_162
; %bb.163:
	s_or_b32 exec_lo, exec_lo, s0
.LBB107_164:
	s_delay_alu instid0(SALU_CYCLE_1)
	s_or_b32 exec_lo, exec_lo, s7
	v_lshlrev_b64 v[2:3], 4, v[14:15]
	ds_load_b128 v[6:9], v27 offset:12288
	v_add_co_u32 v2, vcc_lo, s14, v2
	v_add_co_ci_u32_e32 v3, vcc_lo, s15, v3, vcc_lo
	global_load_b128 v[2:5], v[2:3], off
	s_waitcnt vmcnt(0) lgkmcnt(0)
	v_mul_f64 v[10:11], v[4:5], -v[8:9]
	v_mul_f64 v[12:13], v[4:5], v[6:7]
	s_delay_alu instid0(VALU_DEP_2) | instskip(NEXT) | instid1(VALU_DEP_2)
	v_fma_f64 v[4:5], v[6:7], v[2:3], v[10:11]
	v_fma_f64 v[6:7], v[8:9], v[2:3], v[12:13]
	ds_store_b128 v27, v[4:7] offset:12288
.LBB107_165:
	s_or_b32 exec_lo, exec_lo, s1
	v_cmp_lt_i64_e64 s0, s[18:19], s[2:3]
	s_waitcnt lgkmcnt(0)
	s_barrier
	buffer_gl0_inv
	s_and_b32 s0, s0, exec_lo
	s_cselect_b32 s1, s18, s2
	s_cselect_b32 s0, s19, s3
	s_sub_u32 s2, s1, s22
	s_subb_u32 s3, s0, s23
	s_mov_b32 s0, exec_lo
	v_cmpx_gt_i64_e64 s[2:3], v[0:1]
	s_cbranch_execz .LBB107_172
; %bb.166:
	s_lshl_b64 s[10:11], s[12:13], 4
	v_dual_mov_b32 v11, v1 :: v_dual_mov_b32 v10, v0
	s_add_u32 s7, s20, s10
	s_addc_u32 s10, s21, s11
	s_mov_b32 s11, 0
	s_set_inst_prefetch_distance 0x1
	.p2align	6
.LBB107_167:                            ; =>This Loop Header: Depth=1
                                        ;     Child Loop BB107_168 Depth 2
                                        ;     Child Loop BB107_170 Depth 2
	v_lshlrev_b64 v[2:3], 4, v[10:11]
	s_mov_b32 s12, 0
	s_delay_alu instid0(VALU_DEP_1) | instskip(NEXT) | instid1(VALU_DEP_2)
	v_add_co_u32 v12, vcc_lo, s7, v2
	v_add_co_ci_u32_e32 v13, vcc_lo, s10, v3, vcc_lo
	v_lshl_add_u32 v2, v10, 4, 0x4000
	global_load_b64 v[8:9], v[12:13], off
	ds_load_2addr_b64 v[2:5], v2 offset1:1
.LBB107_168:                            ;   Parent Loop BB107_167 Depth=1
                                        ; =>  This Inner Loop Header: Depth=2
	s_waitcnt vmcnt(0) lgkmcnt(0)
	v_add_f64 v[6:7], v[8:9], v[2:3]
	global_atomic_cmpswap_b64 v[6:7], v[12:13], v[6:9], off glc
	s_waitcnt vmcnt(0)
	v_cmp_eq_u64_e32 vcc_lo, v[6:7], v[8:9]
	v_dual_mov_b32 v9, v7 :: v_dual_mov_b32 v8, v6
	s_or_b32 s12, vcc_lo, s12
	s_delay_alu instid0(SALU_CYCLE_1)
	s_and_not1_b32 exec_lo, exec_lo, s12
	s_cbranch_execnz .LBB107_168
; %bb.169:                              ;   in Loop: Header=BB107_167 Depth=1
	s_or_b32 exec_lo, exec_lo, s12
	global_load_b64 v[8:9], v[12:13], off offset:8
	s_mov_b32 s12, 0
.LBB107_170:                            ;   Parent Loop BB107_167 Depth=1
                                        ; =>  This Inner Loop Header: Depth=2
	s_waitcnt vmcnt(0)
	v_add_f64 v[6:7], v[8:9], v[4:5]
	global_atomic_cmpswap_b64 v[2:3], v[12:13], v[6:9], off offset:8 glc
	s_waitcnt vmcnt(0)
	v_cmp_eq_u64_e32 vcc_lo, v[2:3], v[8:9]
	v_dual_mov_b32 v9, v3 :: v_dual_mov_b32 v8, v2
	s_or_b32 s12, vcc_lo, s12
	s_delay_alu instid0(SALU_CYCLE_1)
	s_and_not1_b32 exec_lo, exec_lo, s12
	s_cbranch_execnz .LBB107_170
; %bb.171:                              ;   in Loop: Header=BB107_167 Depth=1
	s_or_b32 exec_lo, exec_lo, s12
	v_add_co_u32 v10, vcc_lo, 0x100, v10
	v_add_co_ci_u32_e32 v11, vcc_lo, 0, v11, vcc_lo
	s_delay_alu instid0(VALU_DEP_1) | instskip(SKIP_1) | instid1(SALU_CYCLE_1)
	v_cmp_le_i64_e32 vcc_lo, s[2:3], v[10:11]
	s_or_b32 s11, vcc_lo, s11
	s_and_not1_b32 exec_lo, exec_lo, s11
	s_cbranch_execnz .LBB107_167
.LBB107_172:
	s_set_inst_prefetch_distance 0x2
	s_or_b32 exec_lo, exec_lo, s0
	s_add_i32 s0, s28, -1
	v_add_co_u32 v10, s10, s16, v0
	s_ashr_i32 s3, s0, 1
	v_add_co_ci_u32_e64 v11, null, s17, 0, s10
	s_or_b32 s0, s3, s0
	s_delay_alu instid0(SALU_CYCLE_1) | instskip(SKIP_4) | instid1(SALU_CYCLE_1)
	s_ashr_i32 s3, s0, 2
	s_barrier
	s_or_b32 s0, s3, s0
	buffer_gl0_inv
	s_ashr_i32 s3, s0, 4
	s_or_b32 s0, s3, s0
	s_delay_alu instid0(SALU_CYCLE_1) | instskip(NEXT) | instid1(SALU_CYCLE_1)
	s_ashr_i32 s3, s0, 8
	s_or_b32 s0, s3, s0
	s_delay_alu instid0(SALU_CYCLE_1) | instskip(NEXT) | instid1(SALU_CYCLE_1)
	s_ashr_i32 s3, s0, 16
	s_or_b32 s3, s3, s0
	s_mov_b32 s0, -1
	s_add_i32 s3, s3, 1
	s_delay_alu instid0(SALU_CYCLE_1) | instskip(NEXT) | instid1(SALU_CYCLE_1)
	s_ashr_i32 s7, s3, 1
	s_cmp_gt_i32 s7, 1
	s_cbranch_scc1 .LBB107_185
; %bb.173:
	s_mov_b32 s0, exec_lo
	v_cmpx_gt_i64_e64 s[18:19], v[10:11]
	s_cbranch_execz .LBB107_184
; %bb.174:
	s_sub_i32 s1, s1, s18
	v_dual_mov_b32 v13, v11 :: v_dual_mov_b32 v12, v10
	s_lshl_b32 s11, s4, 4
	s_lshl_b32 s1, s1, 4
	s_mov_b32 s10, 0
	s_addk_i32 s1, 0x4000
	s_sub_i32 s11, 0, s11
.LBB107_175:                            ; =>This Loop Header: Depth=1
                                        ;     Child Loop BB107_177 Depth 2
                                        ;     Child Loop BB107_180 Depth 2
	;; [unrolled: 1-line block ×3, first 2 shown]
	v_lshlrev_b64 v[2:3], 3, v[12:13]
	v_mov_b32_e32 v14, 0
	v_mov_b32_e32 v15, 0
	s_delay_alu instid0(VALU_DEP_2) | instskip(SKIP_1) | instid1(VALU_DEP_4)
	v_mov_b32_e32 v6, v14
	s_mov_b32 s12, exec_lo
	v_add_co_u32 v2, vcc_lo, s8, v2
	s_delay_alu instid0(VALU_DEP_3)
	v_mov_b32_e32 v7, v15
	v_add_co_ci_u32_e32 v3, vcc_lo, s9, v3, vcc_lo
	global_load_b128 v[2:5], v[2:3], off
	s_waitcnt vmcnt(0)
	v_cmpx_lt_i64_e64 v[2:3], v[4:5]
	s_cbranch_execz .LBB107_179
; %bb.176:                              ;   in Loop: Header=BB107_175 Depth=1
	v_mov_b32_e32 v14, 0
	v_sub_co_u32 v4, vcc_lo, v4, s4
	v_mov_b32_e32 v15, 0
	v_subrev_co_ci_u32_e32 v5, vcc_lo, s5, v5, vcc_lo
	v_sub_co_u32 v8, vcc_lo, v2, s4
	v_subrev_co_ci_u32_e32 v9, vcc_lo, s5, v3, vcc_lo
	v_lshl_add_u32 v2, v2, 4, s11
	v_dual_mov_b32 v6, v14 :: v_dual_mov_b32 v7, v15
	s_mov_b32 s13, 0
.LBB107_177:                            ;   Parent Loop BB107_175 Depth=1
                                        ; =>  This Inner Loop Header: Depth=2
	ds_load_b128 v[16:19], v2
	v_add_co_u32 v8, vcc_lo, v8, 1
	v_add_co_ci_u32_e32 v9, vcc_lo, 0, v9, vcc_lo
	v_add_nc_u32_e32 v2, 16, v2
	s_delay_alu instid0(VALU_DEP_2)
	v_cmp_ge_i64_e32 vcc_lo, v[8:9], v[4:5]
	s_or_b32 s13, vcc_lo, s13
	s_waitcnt lgkmcnt(0)
	v_add_f64 v[6:7], v[6:7], v[16:17]
	v_add_f64 v[14:15], v[14:15], v[18:19]
	s_and_not1_b32 exec_lo, exec_lo, s13
	s_cbranch_execnz .LBB107_177
; %bb.178:                              ;   in Loop: Header=BB107_175 Depth=1
	s_or_b32 exec_lo, exec_lo, s13
.LBB107_179:                            ;   in Loop: Header=BB107_175 Depth=1
	s_delay_alu instid0(SALU_CYCLE_1) | instskip(SKIP_2) | instid1(VALU_DEP_1)
	s_or_b32 exec_lo, exec_lo, s12
	v_lshlrev_b64 v[2:3], 4, v[12:13]
	s_mov_b32 s12, 0
	v_add_co_u32 v16, vcc_lo, s20, v2
	s_delay_alu instid0(VALU_DEP_2)
	v_add_co_ci_u32_e32 v17, vcc_lo, s21, v3, vcc_lo
	v_lshl_add_u32 v2, v12, 4, s1
	global_load_b64 v[8:9], v[16:17], off
	ds_load_2addr_b64 v[2:5], v2 offset1:1
	s_waitcnt lgkmcnt(0)
	v_add_f64 v[2:3], v[6:7], v[2:3]
.LBB107_180:                            ;   Parent Loop BB107_175 Depth=1
                                        ; =>  This Inner Loop Header: Depth=2
	s_waitcnt vmcnt(0)
	s_delay_alu instid0(VALU_DEP_1)
	v_add_f64 v[6:7], v[8:9], v[2:3]
	global_atomic_cmpswap_b64 v[6:7], v[16:17], v[6:9], off glc
	s_waitcnt vmcnt(0)
	v_cmp_eq_u64_e32 vcc_lo, v[6:7], v[8:9]
	v_dual_mov_b32 v9, v7 :: v_dual_mov_b32 v8, v6
	s_or_b32 s12, vcc_lo, s12
	s_delay_alu instid0(SALU_CYCLE_1)
	s_and_not1_b32 exec_lo, exec_lo, s12
	s_cbranch_execnz .LBB107_180
; %bb.181:                              ;   in Loop: Header=BB107_175 Depth=1
	s_or_b32 exec_lo, exec_lo, s12
	global_load_b64 v[6:7], v[16:17], off offset:8
	v_add_f64 v[2:3], v[14:15], v[4:5]
	s_mov_b32 s12, 0
.LBB107_182:                            ;   Parent Loop BB107_175 Depth=1
                                        ; =>  This Inner Loop Header: Depth=2
	s_waitcnt vmcnt(0)
	s_delay_alu instid0(VALU_DEP_1)
	v_add_f64 v[4:5], v[6:7], v[2:3]
	global_atomic_cmpswap_b64 v[4:5], v[16:17], v[4:7], off offset:8 glc
	s_waitcnt vmcnt(0)
	v_cmp_eq_u64_e32 vcc_lo, v[4:5], v[6:7]
	v_dual_mov_b32 v7, v5 :: v_dual_mov_b32 v6, v4
	s_or_b32 s12, vcc_lo, s12
	s_delay_alu instid0(SALU_CYCLE_1)
	s_and_not1_b32 exec_lo, exec_lo, s12
	s_cbranch_execnz .LBB107_182
; %bb.183:                              ;   in Loop: Header=BB107_175 Depth=1
	s_or_b32 exec_lo, exec_lo, s12
	v_add_co_u32 v12, vcc_lo, v12, s6
	v_add_co_ci_u32_e32 v13, vcc_lo, 0, v13, vcc_lo
	s_delay_alu instid0(VALU_DEP_1) | instskip(SKIP_1) | instid1(SALU_CYCLE_1)
	v_cmp_le_i64_e32 vcc_lo, s[18:19], v[12:13]
	s_or_b32 s10, vcc_lo, s10
	s_and_not1_b32 exec_lo, exec_lo, s10
	s_cbranch_execnz .LBB107_175
.LBB107_184:
	s_or_b32 exec_lo, exec_lo, s0
	s_mov_b32 s0, 0
.LBB107_185:
	s_delay_alu instid0(SALU_CYCLE_1)
	s_and_not1_b32 vcc_lo, exec_lo, s0
	s_cbranch_vccnz .LBB107_216
; %bb.186:
	v_cvt_f32_u32_e32 v6, s7
	s_sub_i32 s1, 0, s7
                                        ; implicit-def: $vgpr12_vgpr13
	s_mov_b32 s0, exec_lo
	v_mov_b32_e32 v15, 0
	s_delay_alu instid0(VALU_DEP_2) | instskip(SKIP_2) | instid1(VALU_DEP_1)
	v_rcp_iflag_f32_e32 v2, v6
	s_waitcnt_depctr 0xfff
	v_mul_f32_e32 v2, 0x4f7ffffe, v2
	v_cvt_u32_f32_e32 v2, v2
	s_delay_alu instid0(VALU_DEP_1) | instskip(NEXT) | instid1(VALU_DEP_1)
	v_mul_lo_u32 v3, s1, v2
	v_mul_hi_u32 v3, v2, v3
	s_delay_alu instid0(VALU_DEP_1) | instskip(NEXT) | instid1(VALU_DEP_1)
	v_add_nc_u32_e32 v2, v2, v3
	v_mul_hi_u32 v2, v0, v2
	s_delay_alu instid0(VALU_DEP_1) | instskip(SKIP_1) | instid1(VALU_DEP_2)
	v_mul_lo_u32 v3, v2, s7
	v_add_nc_u32_e32 v4, 1, v2
	v_sub_nc_u32_e32 v3, v0, v3
	s_delay_alu instid0(VALU_DEP_1) | instskip(SKIP_1) | instid1(VALU_DEP_2)
	v_subrev_nc_u32_e32 v5, s7, v3
	v_cmp_le_u32_e32 vcc_lo, s7, v3
	v_dual_cndmask_b32 v2, v2, v4 :: v_dual_cndmask_b32 v3, v3, v5
	s_delay_alu instid0(VALU_DEP_1) | instskip(NEXT) | instid1(VALU_DEP_2)
	v_add_nc_u32_e32 v4, 1, v2
	v_cmp_le_u32_e32 vcc_lo, s7, v3
	s_delay_alu instid0(VALU_DEP_2) | instskip(NEXT) | instid1(VALU_DEP_1)
	v_cndmask_b32_e32 v14, v2, v4, vcc_lo
	v_lshlrev_b64 v[2:3], 3, v[14:15]
	s_delay_alu instid0(VALU_DEP_1) | instskip(NEXT) | instid1(VALU_DEP_2)
	v_add_co_u32 v2, vcc_lo, s26, v2
	v_add_co_ci_u32_e32 v3, vcc_lo, s27, v3, vcc_lo
	global_load_b128 v[2:5], v[2:3], off
	s_waitcnt vmcnt(0)
	v_sub_co_u32 v7, vcc_lo, v2, s4
	v_subrev_co_ci_u32_e32 v8, vcc_lo, s5, v3, vcc_lo
	v_mov_b32_e32 v3, v15
	v_sub_co_u32 v9, vcc_lo, v4, s4
	v_subrev_co_ci_u32_e32 v18, vcc_lo, s5, v5, vcc_lo
	s_delay_alu instid0(VALU_DEP_2) | instskip(NEXT) | instid1(VALU_DEP_2)
	v_sub_co_u32 v5, vcc_lo, v9, v7
	v_sub_co_ci_u32_e32 v4, vcc_lo, v18, v8, vcc_lo
	s_delay_alu instid0(VALU_DEP_1)
	v_cmpx_ne_u64_e32 0, v[3:4]
	s_xor_b32 s5, exec_lo, s0
	s_cbranch_execz .LBB107_188
; %bb.187:
	v_cvt_f32_ubyte0_e32 v3, 0
	s_sub_u32 s0, 0, s7
	s_subb_u32 s6, 0, 0
	s_delay_alu instid0(VALU_DEP_1) | instskip(NEXT) | instid1(VALU_DEP_1)
	v_fmamk_f32 v3, v3, 0x4f800000, v6
	v_rcp_f32_e32 v3, v3
	s_waitcnt_depctr 0xfff
	v_mul_f32_e32 v3, 0x5f7ffffc, v3
	s_delay_alu instid0(VALU_DEP_1) | instskip(NEXT) | instid1(VALU_DEP_1)
	v_mul_f32_e32 v6, 0x2f800000, v3
	v_trunc_f32_e32 v6, v6
	s_delay_alu instid0(VALU_DEP_1) | instskip(SKIP_1) | instid1(VALU_DEP_2)
	v_fmamk_f32 v3, v6, 0xcf800000, v3
	v_cvt_u32_f32_e32 v6, v6
	v_cvt_u32_f32_e32 v3, v3
	s_delay_alu instid0(VALU_DEP_2) | instskip(NEXT) | instid1(VALU_DEP_2)
	v_mul_lo_u32 v12, s0, v6
	v_mul_hi_u32 v13, s0, v3
	v_mul_lo_u32 v16, s6, v3
	s_delay_alu instid0(VALU_DEP_2) | instskip(SKIP_1) | instid1(VALU_DEP_2)
	v_add_nc_u32_e32 v12, v13, v12
	v_mul_lo_u32 v13, s0, v3
	v_add_nc_u32_e32 v12, v12, v16
	s_delay_alu instid0(VALU_DEP_2) | instskip(NEXT) | instid1(VALU_DEP_2)
	v_mul_hi_u32 v16, v3, v13
	v_mul_lo_u32 v17, v3, v12
	v_mul_hi_u32 v19, v3, v12
	v_mul_hi_u32 v20, v6, v13
	v_mul_lo_u32 v13, v6, v13
	v_mul_hi_u32 v21, v6, v12
	v_mul_lo_u32 v12, v6, v12
	v_add_co_u32 v16, vcc_lo, v16, v17
	v_add_co_ci_u32_e32 v17, vcc_lo, 0, v19, vcc_lo
	s_delay_alu instid0(VALU_DEP_2) | instskip(NEXT) | instid1(VALU_DEP_2)
	v_add_co_u32 v13, vcc_lo, v16, v13
	v_add_co_ci_u32_e32 v13, vcc_lo, v17, v20, vcc_lo
	v_add_co_ci_u32_e32 v16, vcc_lo, 0, v21, vcc_lo
	v_ashrrev_i32_e32 v20, 31, v4
	s_delay_alu instid0(VALU_DEP_3) | instskip(NEXT) | instid1(VALU_DEP_3)
	v_add_co_u32 v12, vcc_lo, v13, v12
	v_add_co_ci_u32_e32 v13, vcc_lo, 0, v16, vcc_lo
	s_delay_alu instid0(VALU_DEP_2) | instskip(NEXT) | instid1(VALU_DEP_2)
	v_add_co_u32 v3, vcc_lo, v3, v12
	v_add_co_ci_u32_e32 v6, vcc_lo, v6, v13, vcc_lo
	s_delay_alu instid0(VALU_DEP_2) | instskip(SKIP_1) | instid1(VALU_DEP_3)
	v_mul_hi_u32 v12, s0, v3
	v_mul_lo_u32 v16, s6, v3
	v_mul_lo_u32 v13, s0, v6
	s_delay_alu instid0(VALU_DEP_1) | instskip(SKIP_1) | instid1(VALU_DEP_2)
	v_add_nc_u32_e32 v12, v12, v13
	v_mul_lo_u32 v13, s0, v3
	v_add_nc_u32_e32 v12, v12, v16
	s_delay_alu instid0(VALU_DEP_2) | instskip(NEXT) | instid1(VALU_DEP_2)
	v_mul_hi_u32 v16, v3, v13
	v_mul_lo_u32 v17, v3, v12
	v_mul_hi_u32 v19, v3, v12
	v_mul_hi_u32 v21, v6, v13
	v_mul_lo_u32 v13, v6, v13
	v_mul_hi_u32 v22, v6, v12
	v_mul_lo_u32 v12, v6, v12
	v_add_co_u32 v16, vcc_lo, v16, v17
	v_add_co_ci_u32_e32 v17, vcc_lo, 0, v19, vcc_lo
	s_delay_alu instid0(VALU_DEP_2) | instskip(NEXT) | instid1(VALU_DEP_2)
	v_add_co_u32 v13, vcc_lo, v16, v13
	v_add_co_ci_u32_e32 v13, vcc_lo, v17, v21, vcc_lo
	v_add_co_ci_u32_e32 v16, vcc_lo, 0, v22, vcc_lo
	v_add_co_u32 v5, vcc_lo, v5, v20
	v_add_co_ci_u32_e32 v4, vcc_lo, v4, v20, vcc_lo
	s_delay_alu instid0(VALU_DEP_4) | instskip(NEXT) | instid1(VALU_DEP_4)
	v_add_co_u32 v12, vcc_lo, v13, v12
	v_add_co_ci_u32_e32 v13, vcc_lo, 0, v16, vcc_lo
	s_delay_alu instid0(VALU_DEP_4) | instskip(NEXT) | instid1(VALU_DEP_3)
	v_xor_b32_e32 v16, v5, v20
	v_add_co_u32 v12, vcc_lo, v3, v12
	s_delay_alu instid0(VALU_DEP_3) | instskip(SKIP_1) | instid1(VALU_DEP_3)
	v_add_co_ci_u32_e32 v17, vcc_lo, v6, v13, vcc_lo
	v_xor_b32_e32 v19, v4, v20
	v_mul_hi_u32 v21, v16, v12
	s_delay_alu instid0(VALU_DEP_3) | instskip(NEXT) | instid1(VALU_DEP_3)
	v_mad_u64_u32 v[3:4], null, v16, v17, 0
	v_mad_u64_u32 v[5:6], null, v19, v12, 0
	;; [unrolled: 1-line block ×3, first 2 shown]
	s_delay_alu instid0(VALU_DEP_3) | instskip(NEXT) | instid1(VALU_DEP_4)
	v_add_co_u32 v3, vcc_lo, v21, v3
	v_add_co_ci_u32_e32 v4, vcc_lo, 0, v4, vcc_lo
	s_delay_alu instid0(VALU_DEP_2) | instskip(NEXT) | instid1(VALU_DEP_2)
	v_add_co_u32 v3, vcc_lo, v3, v5
	v_add_co_ci_u32_e32 v3, vcc_lo, v4, v6, vcc_lo
	v_add_co_ci_u32_e32 v4, vcc_lo, 0, v13, vcc_lo
	s_delay_alu instid0(VALU_DEP_2) | instskip(NEXT) | instid1(VALU_DEP_2)
	v_add_co_u32 v12, vcc_lo, v3, v12
	v_add_co_ci_u32_e32 v13, vcc_lo, 0, v4, vcc_lo
	s_delay_alu instid0(VALU_DEP_2) | instskip(NEXT) | instid1(VALU_DEP_1)
	v_mad_u64_u32 v[3:4], null, s7, v12, 0
	v_mad_u64_u32 v[5:6], null, s7, v13, v[4:5]
	s_delay_alu instid0(VALU_DEP_2) | instskip(NEXT) | instid1(VALU_DEP_2)
	v_sub_co_u32 v3, vcc_lo, v16, v3
	v_sub_co_ci_u32_e32 v4, vcc_lo, v19, v5, vcc_lo
	s_delay_alu instid0(VALU_DEP_2) | instskip(NEXT) | instid1(VALU_DEP_2)
	v_sub_co_u32 v5, vcc_lo, v3, s7
	v_subrev_co_ci_u32_e32 v6, vcc_lo, 0, v4, vcc_lo
	s_delay_alu instid0(VALU_DEP_2)
	v_cmp_le_u32_e32 vcc_lo, s7, v5
	v_cmp_eq_u32_e64 s0, 0, v4
	v_cndmask_b32_e64 v5, 0, -1, vcc_lo
	v_add_co_u32 v16, vcc_lo, v12, 2
	v_add_co_ci_u32_e32 v17, vcc_lo, 0, v13, vcc_lo
	v_cmp_le_u32_e32 vcc_lo, s7, v3
	v_cndmask_b32_e64 v3, 0, -1, vcc_lo
	v_cmp_eq_u32_e32 vcc_lo, 0, v6
	s_delay_alu instid0(VALU_DEP_2) | instskip(SKIP_3) | instid1(VALU_DEP_3)
	v_cndmask_b32_e64 v3, -1, v3, s0
	v_cndmask_b32_e32 v5, -1, v5, vcc_lo
	v_add_co_u32 v6, vcc_lo, v12, 1
	v_add_co_ci_u32_e32 v19, vcc_lo, 0, v13, vcc_lo
	v_cmp_ne_u32_e32 vcc_lo, 0, v5
	s_delay_alu instid0(VALU_DEP_2) | instskip(SKIP_1) | instid1(VALU_DEP_2)
	v_dual_cndmask_b32 v4, v19, v17 :: v_dual_cndmask_b32 v5, v6, v16
	v_cmp_ne_u32_e32 vcc_lo, 0, v3
	v_dual_cndmask_b32 v3, v13, v4 :: v_dual_cndmask_b32 v4, v12, v5
                                        ; implicit-def: $vgpr5
	s_delay_alu instid0(VALU_DEP_1) | instskip(NEXT) | instid1(VALU_DEP_2)
	v_xor_b32_e32 v3, v3, v20
	v_xor_b32_e32 v4, v4, v20
	s_delay_alu instid0(VALU_DEP_1) | instskip(NEXT) | instid1(VALU_DEP_3)
	v_sub_co_u32 v12, vcc_lo, v4, v20
	v_sub_co_ci_u32_e32 v13, vcc_lo, v3, v20, vcc_lo
.LBB107_188:
	s_and_not1_saveexec_b32 s0, s5
	s_cbranch_execz .LBB107_190
; %bb.189:
	v_cvt_f32_u32_e32 v3, s7
	v_mov_b32_e32 v13, 0
	s_delay_alu instid0(VALU_DEP_2) | instskip(SKIP_2) | instid1(VALU_DEP_1)
	v_rcp_iflag_f32_e32 v3, v3
	s_waitcnt_depctr 0xfff
	v_mul_f32_e32 v3, 0x4f7ffffe, v3
	v_cvt_u32_f32_e32 v3, v3
	s_delay_alu instid0(VALU_DEP_1) | instskip(NEXT) | instid1(VALU_DEP_1)
	v_mul_lo_u32 v4, s1, v3
	v_mul_hi_u32 v4, v3, v4
	s_delay_alu instid0(VALU_DEP_1) | instskip(NEXT) | instid1(VALU_DEP_1)
	v_add_nc_u32_e32 v3, v3, v4
	v_mul_hi_u32 v3, v5, v3
	s_delay_alu instid0(VALU_DEP_1) | instskip(NEXT) | instid1(VALU_DEP_1)
	v_mul_lo_u32 v4, v3, s7
	v_sub_nc_u32_e32 v4, v5, v4
	v_add_nc_u32_e32 v5, 1, v3
	s_delay_alu instid0(VALU_DEP_2) | instskip(SKIP_1) | instid1(VALU_DEP_2)
	v_subrev_nc_u32_e32 v6, s7, v4
	v_cmp_le_u32_e32 vcc_lo, s7, v4
	v_dual_cndmask_b32 v4, v4, v6 :: v_dual_cndmask_b32 v3, v3, v5
	s_delay_alu instid0(VALU_DEP_1) | instskip(NEXT) | instid1(VALU_DEP_2)
	v_cmp_le_u32_e32 vcc_lo, s7, v4
	v_add_nc_u32_e32 v5, 1, v3
	s_delay_alu instid0(VALU_DEP_1)
	v_cndmask_b32_e32 v12, v3, v5, vcc_lo
.LBB107_190:
	s_or_b32 exec_lo, exec_lo, s0
	v_mov_b32_e32 v5, 0
	v_mov_b32_e32 v6, 0
	s_delay_alu instid0(VALU_DEP_2) | instskip(SKIP_1) | instid1(VALU_DEP_2)
	v_mov_b32_e32 v3, v5
	s_mov_b32 s5, exec_lo
	v_mov_b32_e32 v4, v6
	v_cmpx_gt_i64_e64 s[22:23], v[14:15]
	s_cbranch_execz .LBB107_204
; %bb.191:
	s_add_i32 s0, s7, -1
	s_delay_alu instid0(SALU_CYCLE_1) | instskip(SKIP_1) | instid1(VALU_DEP_2)
	v_dual_mov_b32 v5, 0 :: v_dual_and_b32 v14, s0, v0
	v_mov_b32_e32 v6, 0
	v_mov_b32_e32 v3, v5
	s_mov_b32 s6, exec_lo
	s_delay_alu instid0(VALU_DEP_2)
	v_mov_b32_e32 v4, v6
	v_cmpx_lt_i64_e32 0, v[12:13]
	s_cbranch_execz .LBB107_201
; %bb.192:
	v_mov_b32_e32 v3, 0
	v_dual_mov_b32 v4, 0 :: v_dual_mov_b32 v15, 0
	s_mov_b32 s8, exec_lo
	v_mov_b32_e32 v16, 0
	s_delay_alu instid0(VALU_DEP_2)
	v_dual_mov_b32 v6, v4 :: v_dual_mov_b32 v5, v3
	v_cmpx_lt_u64_e32 3, v[12:13]
	s_cbranch_execz .LBB107_196
; %bb.193:
	v_add_nc_u32_e32 v3, v14, v2
	v_dual_mov_b32 v5, 0 :: v_dual_and_b32 v16, 0x7fffffff, v13
	v_dual_mov_b32 v6, 0 :: v_dual_and_b32 v15, -4, v12
	s_delay_alu instid0(VALU_DEP_3)
	v_subrev_nc_u32_e32 v3, s4, v3
	s_lshl_b32 s9, s7, 6
	s_lshl_b32 s10, s7, 4
	s_mov_b64 s[0:1], 0
	s_mov_b32 s11, 0
	v_lshlrev_b32_e32 v17, 4, v3
	v_dual_mov_b32 v3, v5 :: v_dual_mov_b32 v4, v6
	s_set_inst_prefetch_distance 0x1
	.p2align	6
.LBB107_194:                            ; =>This Inner Loop Header: Depth=1
	ds_load_b128 v[19:22], v17
	v_add_nc_u32_e32 v32, s10, v17
	s_add_u32 s0, s0, 4
	s_addc_u32 s1, s1, 0
	s_delay_alu instid0(SALU_CYCLE_1) | instskip(NEXT) | instid1(VALU_DEP_2)
	v_cmp_eq_u64_e32 vcc_lo, s[0:1], v[15:16]
	v_add_nc_u32_e32 v33, s10, v32
	s_or_b32 s11, vcc_lo, s11
	s_delay_alu instid0(VALU_DEP_1)
	v_add_nc_u32_e32 v23, s10, v33
	ds_load_b128 v[23:26], v23
	v_add_nc_u32_e32 v17, s9, v17
	s_waitcnt lgkmcnt(1)
	v_add_f64 v[28:29], v[3:4], v[19:20]
	v_add_f64 v[30:31], v[5:6], v[21:22]
	ds_load_b128 v[3:6], v32
	ds_load_b128 v[19:22], v33
	s_waitcnt lgkmcnt(1)
	v_add_f64 v[3:4], v[28:29], v[3:4]
	v_add_f64 v[5:6], v[30:31], v[5:6]
	s_waitcnt lgkmcnt(0)
	s_delay_alu instid0(VALU_DEP_2) | instskip(NEXT) | instid1(VALU_DEP_2)
	v_add_f64 v[3:4], v[3:4], v[19:20]
	v_add_f64 v[5:6], v[5:6], v[21:22]
	s_delay_alu instid0(VALU_DEP_2) | instskip(NEXT) | instid1(VALU_DEP_2)
	v_add_f64 v[3:4], v[3:4], v[23:24]
	v_add_f64 v[5:6], v[5:6], v[25:26]
	s_and_not1_b32 exec_lo, exec_lo, s11
	s_cbranch_execnz .LBB107_194
; %bb.195:
	s_set_inst_prefetch_distance 0x2
	s_or_b32 exec_lo, exec_lo, s11
.LBB107_196:
	s_delay_alu instid0(SALU_CYCLE_1) | instskip(SKIP_2) | instid1(VALU_DEP_1)
	s_or_b32 exec_lo, exec_lo, s8
	v_dual_mov_b32 v17, 0 :: v_dual_and_b32 v16, 3, v12
	s_mov_b32 s0, exec_lo
	v_cmpx_ne_u64_e32 0, v[16:17]
	s_cbranch_execz .LBB107_200
; %bb.197:
	v_mul_lo_u32 v15, s7, v15
	s_mov_b32 s1, 0
	s_delay_alu instid0(VALU_DEP_1) | instskip(NEXT) | instid1(VALU_DEP_1)
	v_add3_u32 v2, v14, v15, v2
	v_subrev_nc_u32_e32 v2, s4, v2
	s_lshl_b32 s4, s7, 4
	s_delay_alu instid0(VALU_DEP_1)
	v_lshlrev_b32_e32 v2, 4, v2
.LBB107_198:                            ; =>This Inner Loop Header: Depth=1
	ds_load_b128 v[19:22], v2
	v_add_co_u32 v16, vcc_lo, v16, -1
	v_add_co_ci_u32_e32 v17, vcc_lo, -1, v17, vcc_lo
	v_add_nc_u32_e32 v2, s4, v2
	s_delay_alu instid0(VALU_DEP_2)
	v_cmp_eq_u64_e32 vcc_lo, 0, v[16:17]
	s_or_b32 s1, vcc_lo, s1
	s_waitcnt lgkmcnt(0)
	v_add_f64 v[3:4], v[3:4], v[19:20]
	v_add_f64 v[5:6], v[5:6], v[21:22]
	s_and_not1_b32 exec_lo, exec_lo, s1
	s_cbranch_execnz .LBB107_198
; %bb.199:
	s_or_b32 exec_lo, exec_lo, s1
.LBB107_200:
	s_delay_alu instid0(SALU_CYCLE_1)
	s_or_b32 exec_lo, exec_lo, s0
.LBB107_201:
	s_delay_alu instid0(SALU_CYCLE_1) | instskip(SKIP_2) | instid1(VALU_DEP_1)
	s_or_b32 exec_lo, exec_lo, s6
	v_mad_u64_u32 v[16:17], null, v12, s7, v[7:8]
	s_mov_b32 s0, exec_lo
	v_dual_mov_b32 v15, 0 :: v_dual_mov_b32 v2, v17
	s_delay_alu instid0(VALU_DEP_1) | instskip(NEXT) | instid1(VALU_DEP_1)
	v_mad_u64_u32 v[7:8], null, v13, s7, v[2:3]
	v_mov_b32_e32 v2, v7
	s_delay_alu instid0(VALU_DEP_4) | instskip(NEXT) | instid1(VALU_DEP_2)
	v_sub_co_u32 v7, vcc_lo, v9, v16
	v_sub_co_ci_u32_e32 v8, vcc_lo, v18, v2, vcc_lo
	s_delay_alu instid0(VALU_DEP_1)
	v_cmpx_gt_i64_e64 v[7:8], v[14:15]
	s_cbranch_execz .LBB107_203
; %bb.202:
	v_add_lshl_u32 v2, v14, v16, 4
	ds_load_b128 v[12:15], v2
	s_waitcnt lgkmcnt(0)
	v_add_f64 v[3:4], v[3:4], v[12:13]
	v_add_f64 v[5:6], v[5:6], v[14:15]
.LBB107_203:
	s_or_b32 exec_lo, exec_lo, s0
.LBB107_204:
	s_delay_alu instid0(SALU_CYCLE_1)
	s_or_b32 exec_lo, exec_lo, s5
	v_cmp_gt_i64_e32 vcc_lo, s[22:23], v[0:1]
	s_barrier
	buffer_gl0_inv
	ds_store_b128 v27, v[3:6]
	s_waitcnt lgkmcnt(0)
	s_barrier
	buffer_gl0_inv
	s_and_b32 exec_lo, exec_lo, vcc_lo
	s_cbranch_execz .LBB107_216
; %bb.205:
	v_mul_lo_u32 v1, s7, v0
	v_mov_b32_e32 v4, 0
	v_mov_b32_e32 v5, 0
	s_cmp_lt_u32 s7, 8
	s_cbranch_scc1 .LBB107_208
; %bb.206:
	v_mov_b32_e32 v8, 0
	s_delay_alu instid0(VALU_DEP_4) | instskip(NEXT) | instid1(VALU_DEP_2)
	v_dual_mov_b32 v9, 0 :: v_dual_lshlrev_b32 v2, 4, v1
	v_mov_b32_e32 v4, v8
	s_and_b32 s0, s7, 0x7ffffff8
	s_mov_b32 s1, 0
	s_delay_alu instid0(VALU_DEP_2)
	v_mov_b32_e32 v5, v9
.LBB107_207:                            ; =>This Inner Loop Header: Depth=1
	ds_load_b128 v[12:15], v2
	ds_load_b128 v[16:19], v2 offset:16
	s_add_i32 s1, s1, 8
	s_delay_alu instid0(SALU_CYCLE_1) | instskip(SKIP_4) | instid1(VALU_DEP_2)
	s_cmp_eq_u32 s0, s1
	s_waitcnt lgkmcnt(1)
	v_add_f64 v[3:4], v[4:5], v[12:13]
	v_add_f64 v[5:6], v[8:9], v[14:15]
	s_waitcnt lgkmcnt(0)
	v_add_f64 v[7:8], v[3:4], v[16:17]
	s_delay_alu instid0(VALU_DEP_2)
	v_add_f64 v[16:17], v[5:6], v[18:19]
	ds_load_b128 v[3:6], v2 offset:32
	ds_load_b128 v[12:15], v2 offset:48
	s_waitcnt lgkmcnt(1)
	v_add_f64 v[3:4], v[7:8], v[3:4]
	v_add_f64 v[5:6], v[16:17], v[5:6]
	s_waitcnt lgkmcnt(0)
	s_delay_alu instid0(VALU_DEP_2) | instskip(NEXT) | instid1(VALU_DEP_2)
	v_add_f64 v[7:8], v[3:4], v[12:13]
	v_add_f64 v[16:17], v[5:6], v[14:15]
	ds_load_b128 v[3:6], v2 offset:64
	ds_load_b128 v[12:15], v2 offset:80
	s_waitcnt lgkmcnt(1)
	v_add_f64 v[3:4], v[7:8], v[3:4]
	v_add_f64 v[5:6], v[16:17], v[5:6]
	s_waitcnt lgkmcnt(0)
	s_delay_alu instid0(VALU_DEP_2) | instskip(NEXT) | instid1(VALU_DEP_2)
	v_add_f64 v[7:8], v[3:4], v[12:13]
	v_add_f64 v[16:17], v[5:6], v[14:15]
	ds_load_b128 v[3:6], v2 offset:96
	ds_load_b128 v[12:15], v2 offset:112
	v_add_nc_u32_e32 v2, 0x80, v2
	s_waitcnt lgkmcnt(1)
	v_add_f64 v[3:4], v[7:8], v[3:4]
	v_add_f64 v[6:7], v[16:17], v[5:6]
	s_waitcnt lgkmcnt(0)
	s_delay_alu instid0(VALU_DEP_2) | instskip(NEXT) | instid1(VALU_DEP_2)
	v_add_f64 v[4:5], v[3:4], v[12:13]
	v_add_f64 v[8:9], v[6:7], v[14:15]
	s_cbranch_scc0 .LBB107_207
	s_branch .LBB107_209
.LBB107_208:
	s_delay_alu instid0(VALU_DEP_1)
	v_dual_mov_b32 v9, v5 :: v_dual_mov_b32 v8, v4
	s_mov_b32 s0, 0
.LBB107_209:
	s_bfe_u32 s1, s3, 0x30001
	s_delay_alu instid0(SALU_CYCLE_1)
	s_cmp_eq_u32 s1, 0
	s_cbranch_scc1 .LBB107_212
; %bb.210:
	v_add_lshl_u32 v1, s0, v1, 4
.LBB107_211:                            ; =>This Inner Loop Header: Depth=1
	ds_load_b128 v[12:15], v1
	v_add_nc_u32_e32 v1, 16, v1
	s_add_i32 s1, s1, -1
	s_delay_alu instid0(SALU_CYCLE_1)
	s_cmp_lg_u32 s1, 0
	s_waitcnt lgkmcnt(0)
	v_add_f64 v[4:5], v[4:5], v[12:13]
	v_add_f64 v[8:9], v[8:9], v[14:15]
	s_cbranch_scc1 .LBB107_211
.LBB107_212:
	v_lshlrev_b64 v[1:2], 4, v[10:11]
	v_lshlrev_b32_e32 v0, 4, v0
	s_lshl_b32 s0, s2, 4
	s_delay_alu instid0(VALU_DEP_1) | instid1(SALU_CYCLE_1)
	v_add3_u32 v0, 0x4000, s0, v0
	s_delay_alu instid0(VALU_DEP_3) | instskip(NEXT) | instid1(VALU_DEP_4)
	v_add_co_u32 v10, vcc_lo, s20, v1
	v_add_co_ci_u32_e32 v11, vcc_lo, s21, v2, vcc_lo
	ds_load_2addr_b64 v[0:3], v0 offset1:1
	s_mov_b32 s0, 0
	global_load_b64 v[6:7], v[10:11], off
	s_waitcnt lgkmcnt(0)
	v_add_f64 v[0:1], v[4:5], v[0:1]
.LBB107_213:                            ; =>This Inner Loop Header: Depth=1
	s_waitcnt vmcnt(0)
	s_delay_alu instid0(VALU_DEP_1)
	v_add_f64 v[4:5], v[6:7], v[0:1]
	global_atomic_cmpswap_b64 v[4:5], v[10:11], v[4:7], off glc
	s_waitcnt vmcnt(0)
	v_cmp_eq_u64_e32 vcc_lo, v[4:5], v[6:7]
	v_dual_mov_b32 v7, v5 :: v_dual_mov_b32 v6, v4
	s_or_b32 s0, vcc_lo, s0
	s_delay_alu instid0(SALU_CYCLE_1)
	s_and_not1_b32 exec_lo, exec_lo, s0
	s_cbranch_execnz .LBB107_213
; %bb.214:
	s_or_b32 exec_lo, exec_lo, s0
	global_load_b64 v[4:5], v[10:11], off offset:8
	v_add_f64 v[0:1], v[8:9], v[2:3]
	s_mov_b32 s0, 0
.LBB107_215:                            ; =>This Inner Loop Header: Depth=1
	s_waitcnt vmcnt(0)
	s_delay_alu instid0(VALU_DEP_1)
	v_add_f64 v[2:3], v[4:5], v[0:1]
	global_atomic_cmpswap_b64 v[2:3], v[10:11], v[2:5], off offset:8 glc
	s_waitcnt vmcnt(0)
	v_cmp_eq_u64_e32 vcc_lo, v[2:3], v[4:5]
	v_dual_mov_b32 v5, v3 :: v_dual_mov_b32 v4, v2
	s_or_b32 s0, vcc_lo, s0
	s_delay_alu instid0(SALU_CYCLE_1)
	s_and_not1_b32 exec_lo, exec_lo, s0
	s_cbranch_execnz .LBB107_215
.LBB107_216:
	s_endpgm
	.section	.rodata,"a",@progbits
	.p2align	6, 0x0
	.amdhsa_kernel _ZN9rocsparseL27csrmvn_symm_adaptive_kernelIlld21rocsparse_complex_numIdES2_S2_EEvbT_S3_PKS3_NS_24const_host_device_scalarIT4_EES5_PKT0_PKT1_PKT2_S8_PT3_21rocsparse_index_base_b
		.amdhsa_group_segment_fixed_size 16384
		.amdhsa_private_segment_fixed_size 24
		.amdhsa_kernarg_size 368
		.amdhsa_user_sgpr_count 15
		.amdhsa_user_sgpr_dispatch_ptr 0
		.amdhsa_user_sgpr_queue_ptr 0
		.amdhsa_user_sgpr_kernarg_segment_ptr 1
		.amdhsa_user_sgpr_dispatch_id 0
		.amdhsa_user_sgpr_private_segment_size 0
		.amdhsa_wavefront_size32 1
		.amdhsa_uses_dynamic_stack 0
		.amdhsa_enable_private_segment 1
		.amdhsa_system_sgpr_workgroup_id_x 1
		.amdhsa_system_sgpr_workgroup_id_y 0
		.amdhsa_system_sgpr_workgroup_id_z 0
		.amdhsa_system_sgpr_workgroup_info 0
		.amdhsa_system_vgpr_workitem_id 0
		.amdhsa_next_free_vgpr 34
		.amdhsa_next_free_sgpr 41
		.amdhsa_reserve_vcc 1
		.amdhsa_float_round_mode_32 0
		.amdhsa_float_round_mode_16_64 0
		.amdhsa_float_denorm_mode_32 3
		.amdhsa_float_denorm_mode_16_64 3
		.amdhsa_dx10_clamp 1
		.amdhsa_ieee_mode 1
		.amdhsa_fp16_overflow 0
		.amdhsa_workgroup_processor_mode 1
		.amdhsa_memory_ordered 1
		.amdhsa_forward_progress 0
		.amdhsa_shared_vgpr_count 0
		.amdhsa_exception_fp_ieee_invalid_op 0
		.amdhsa_exception_fp_denorm_src 0
		.amdhsa_exception_fp_ieee_div_zero 0
		.amdhsa_exception_fp_ieee_overflow 0
		.amdhsa_exception_fp_ieee_underflow 0
		.amdhsa_exception_fp_ieee_inexact 0
		.amdhsa_exception_int_div_zero 0
	.end_amdhsa_kernel
	.section	.text._ZN9rocsparseL27csrmvn_symm_adaptive_kernelIlld21rocsparse_complex_numIdES2_S2_EEvbT_S3_PKS3_NS_24const_host_device_scalarIT4_EES5_PKT0_PKT1_PKT2_S8_PT3_21rocsparse_index_base_b,"axG",@progbits,_ZN9rocsparseL27csrmvn_symm_adaptive_kernelIlld21rocsparse_complex_numIdES2_S2_EEvbT_S3_PKS3_NS_24const_host_device_scalarIT4_EES5_PKT0_PKT1_PKT2_S8_PT3_21rocsparse_index_base_b,comdat
.Lfunc_end107:
	.size	_ZN9rocsparseL27csrmvn_symm_adaptive_kernelIlld21rocsparse_complex_numIdES2_S2_EEvbT_S3_PKS3_NS_24const_host_device_scalarIT4_EES5_PKT0_PKT1_PKT2_S8_PT3_21rocsparse_index_base_b, .Lfunc_end107-_ZN9rocsparseL27csrmvn_symm_adaptive_kernelIlld21rocsparse_complex_numIdES2_S2_EEvbT_S3_PKS3_NS_24const_host_device_scalarIT4_EES5_PKT0_PKT1_PKT2_S8_PT3_21rocsparse_index_base_b
                                        ; -- End function
	.section	.AMDGPU.csdata,"",@progbits
; Kernel info:
; codeLenInByte = 12644
; NumSgprs: 43
; NumVgprs: 34
; ScratchSize: 24
; MemoryBound: 0
; FloatMode: 240
; IeeeMode: 1
; LDSByteSize: 16384 bytes/workgroup (compile time only)
; SGPRBlocks: 5
; VGPRBlocks: 4
; NumSGPRsForWavesPerEU: 43
; NumVGPRsForWavesPerEU: 34
; Occupancy: 16
; WaveLimiterHint : 1
; COMPUTE_PGM_RSRC2:SCRATCH_EN: 1
; COMPUTE_PGM_RSRC2:USER_SGPR: 15
; COMPUTE_PGM_RSRC2:TRAP_HANDLER: 0
; COMPUTE_PGM_RSRC2:TGID_X_EN: 1
; COMPUTE_PGM_RSRC2:TGID_Y_EN: 0
; COMPUTE_PGM_RSRC2:TGID_Z_EN: 0
; COMPUTE_PGM_RSRC2:TIDIG_COMP_CNT: 0
	.section	.text._ZL33csrmvn_symm_large_adaptive_kernelIlld21rocsparse_complex_numIdES1_S1_EvbT_PKS2_N9rocsparse24const_host_device_scalarIT4_EES4_PKT0_PKT1_PKT2_S8_PT3_21rocsparse_index_base_b,"axG",@progbits,_ZL33csrmvn_symm_large_adaptive_kernelIlld21rocsparse_complex_numIdES1_S1_EvbT_PKS2_N9rocsparse24const_host_device_scalarIT4_EES4_PKT0_PKT1_PKT2_S8_PT3_21rocsparse_index_base_b,comdat
	.globl	_ZL33csrmvn_symm_large_adaptive_kernelIlld21rocsparse_complex_numIdES1_S1_EvbT_PKS2_N9rocsparse24const_host_device_scalarIT4_EES4_PKT0_PKT1_PKT2_S8_PT3_21rocsparse_index_base_b ; -- Begin function _ZL33csrmvn_symm_large_adaptive_kernelIlld21rocsparse_complex_numIdES1_S1_EvbT_PKS2_N9rocsparse24const_host_device_scalarIT4_EES4_PKT0_PKT1_PKT2_S8_PT3_21rocsparse_index_base_b
	.p2align	8
	.type	_ZL33csrmvn_symm_large_adaptive_kernelIlld21rocsparse_complex_numIdES1_S1_EvbT_PKS2_N9rocsparse24const_host_device_scalarIT4_EES4_PKT0_PKT1_PKT2_S8_PT3_21rocsparse_index_base_b,@function
_ZL33csrmvn_symm_large_adaptive_kernelIlld21rocsparse_complex_numIdES1_S1_EvbT_PKS2_N9rocsparse24const_host_device_scalarIT4_EES4_PKT0_PKT1_PKT2_S8_PT3_21rocsparse_index_base_b: ; @_ZL33csrmvn_symm_large_adaptive_kernelIlld21rocsparse_complex_numIdES1_S1_EvbT_PKS2_N9rocsparse24const_host_device_scalarIT4_EES4_PKT0_PKT1_PKT2_S8_PT3_21rocsparse_index_base_b
; %bb.0:
	s_clause 0x2
	s_load_b64 s[20:21], s[0:1], 0x60
	s_load_b128 s[8:11], s[0:1], 0x18
	s_load_b128 s[4:7], s[0:1], 0x48
	s_mov_b64 s[2:3], src_private_base
	v_mov_b32_e32 v1, 0
	s_mov_b32 s12, s15
	s_waitcnt lgkmcnt(0)
	s_bitcmp1_b32 s21, 0
	v_dual_mov_b32 v3, s8 :: v_dual_mov_b32 v6, s5
	s_cselect_b32 s2, -1, 0
	v_mov_b32_e32 v4, s9
	s_and_b32 vcc_lo, s2, exec_lo
	s_cselect_b32 s13, s3, s9
	v_cndmask_b32_e64 v1, s8, v1, s2
	v_dual_mov_b32 v5, s4 :: v_dual_mov_b32 v2, s13
	s_clause 0x1
	scratch_store_b64 off, v[3:4], off
	scratch_store_b64 off, v[5:6], off offset:8
	v_dual_mov_b32 v10, s10 :: v_dual_mov_b32 v11, s11
	flat_load_b64 v[8:9], v[1:2]
	s_xor_b32 s10, s2, -1
	s_cbranch_vccnz .LBB108_2
; %bb.1:
	v_dual_mov_b32 v1, s8 :: v_dual_mov_b32 v2, s9
	flat_load_b64 v[10:11], v[1:2] offset:8
.LBB108_2:
	s_and_b32 s8, s2, exec_lo
	s_cselect_b32 s3, s3, s5
	s_delay_alu instid0(SALU_CYCLE_1) | instskip(SKIP_2) | instid1(VALU_DEP_2)
	v_dual_mov_b32 v1, 8 :: v_dual_mov_b32 v2, s3
	v_dual_mov_b32 v3, s6 :: v_dual_mov_b32 v4, s7
	s_and_not1_b32 vcc_lo, exec_lo, s10
	v_cndmask_b32_e64 v1, s4, v1, s2
	flat_load_b64 v[1:2], v[1:2]
	s_cbranch_vccnz .LBB108_4
; %bb.3:
	v_dual_mov_b32 v3, s4 :: v_dual_mov_b32 v4, s5
	flat_load_b64 v[3:4], v[3:4] offset:8
.LBB108_4:
	s_waitcnt vmcnt(1) lgkmcnt(1)
	v_cmp_eq_f64_e32 vcc_lo, 0, v[8:9]
	v_cmp_eq_f64_e64 s2, 0, v[10:11]
	s_delay_alu instid0(VALU_DEP_1)
	s_and_b32 s4, vcc_lo, s2
	s_mov_b32 s2, -1
	s_and_saveexec_b32 s3, s4
	s_cbranch_execz .LBB108_6
; %bb.5:
	s_waitcnt vmcnt(0) lgkmcnt(0)
	v_cmp_neq_f64_e32 vcc_lo, 1.0, v[1:2]
	v_cmp_neq_f64_e64 s2, 0, v[3:4]
	s_delay_alu instid0(VALU_DEP_1) | instskip(NEXT) | instid1(SALU_CYCLE_1)
	s_or_b32 s2, vcc_lo, s2
	s_or_not1_b32 s2, s2, exec_lo
.LBB108_6:
	s_or_b32 exec_lo, exec_lo, s3
	s_and_saveexec_b32 s3, s2
	s_cbranch_execz .LBB108_51
; %bb.7:
	s_load_b64 s[2:3], s[0:1], 0x10
	s_mov_b32 s4, 0
	s_ashr_i32 s13, s12, 31
	s_mov_b32 s5, s4
	s_mov_b32 s6, s4
	;; [unrolled: 1-line block ×3, first 2 shown]
	s_waitcnt vmcnt(0) lgkmcnt(0)
	v_dual_mov_b32 v1, s4 :: v_dual_lshlrev_b32 v14, 4, v0
	v_dual_mov_b32 v2, s5 :: v_dual_mov_b32 v3, s6
	v_mov_b32_e32 v4, s7
	s_lshl_b64 s[6:7], s[12:13], 3
	ds_store_b128 v14, v[1:4]
	ds_store_b128 v14, v[1:4] offset:4096
	ds_store_b128 v14, v[1:4] offset:8192
	;; [unrolled: 1-line block ×3, first 2 shown]
	s_waitcnt lgkmcnt(0)
	s_waitcnt_vscnt null, 0x0
	s_barrier
	buffer_gl0_inv
	s_add_u32 s2, s2, s6
	s_addc_u32 s3, s3, s7
	s_load_b128 s[16:19], s[2:3], 0x0
	s_clause 0x1
	s_load_b64 s[6:7], s[0:1], 0x58
	s_load_b256 s[8:15], s[0:1], 0x28
	v_sub_co_u32 v15, s1, v0, s20
	s_delay_alu instid0(VALU_DEP_1) | instskip(SKIP_2) | instid1(VALU_DEP_1)
	v_sub_co_ci_u32_e64 v16, null, 0, 0, s1
	s_waitcnt lgkmcnt(0)
	v_cmp_lt_i64_e64 s0, s[16:17], s[18:19]
	s_and_b32 vcc_lo, exec_lo, s0
	s_cbranch_vccnz .LBB108_9
; %bb.8:
	s_lshl_b64 s[0:1], s[16:17], 3
	s_delay_alu instid0(SALU_CYCLE_1)
	s_add_u32 s0, s8, s0
	s_addc_u32 s1, s9, s1
	s_load_b64 s[22:23], s[0:1], 0x0
	s_and_not1_b32 vcc_lo, exec_lo, s4
	s_cbranch_vccz .LBB108_10
	s_branch .LBB108_39
.LBB108_9:
                                        ; implicit-def: $sgpr22_sgpr23
.LBB108_10:
	s_lshl_b64 s[0:1], s[16:17], 3
	v_cmp_gt_u32_e64 s2, 16, v0
	s_add_u32 s0, s8, s0
	s_addc_u32 s1, s9, s1
	v_cmp_gt_u32_e64 s3, 4, v0
	s_waitcnt lgkmcnt(0)
	s_load_b64 s[22:23], s[0:1], 0x0
	v_cmp_gt_u32_e64 s0, 0x100, v0
	v_cmp_gt_u32_e64 s1, 64, v0
	v_cmp_eq_u32_e64 s4, 0, v0
	v_mov_b32_e32 v17, 0
	s_add_u32 s21, s8, 8
	s_addc_u32 s30, s9, 0
	s_mov_b64 s[24:25], s[16:17]
	s_waitcnt lgkmcnt(0)
	s_mov_b64 s[26:27], s[22:23]
	s_branch .LBB108_12
.LBB108_11:                             ;   in Loop: Header=BB108_12 Depth=1
	s_or_b32 exec_lo, exec_lo, s5
	s_add_u32 s24, s24, 1
	s_addc_u32 s25, s25, 0
	s_delay_alu instid0(SALU_CYCLE_1) | instskip(NEXT) | instid1(VALU_DEP_1)
	v_cmp_ge_i64_e64 s5, s[24:25], s[18:19]
	s_and_b32 vcc_lo, exec_lo, s5
	s_cbranch_vccnz .LBB108_39
.LBB108_12:                             ; =>This Loop Header: Depth=1
                                        ;     Child Loop BB108_14 Depth 2
                                        ;     Child Loop BB108_28 Depth 2
	;; [unrolled: 1-line block ×5, first 2 shown]
	s_lshl_b64 s[28:29], s[24:25], 3
	s_mov_b64 s[34:35], s[26:27]
	s_add_u32 s28, s21, s28
	s_addc_u32 s29, s30, s29
	v_mov_b32_e32 v2, 0
	s_load_b64 s[26:27], s[28:29], 0x0
	v_mov_b32_e32 v3, 0
	v_add_co_u32 v4, vcc_lo, s34, v15
	v_add_co_ci_u32_e32 v5, vcc_lo, s35, v16, vcc_lo
	s_delay_alu instid0(VALU_DEP_3) | instskip(SKIP_4) | instid1(SALU_CYCLE_1)
	v_dual_mov_b32 v0, v2 :: v_dual_mov_b32 v1, v3
	s_mov_b32 s31, exec_lo
	s_waitcnt lgkmcnt(0)
	s_sub_u32 s28, s26, s20
	s_subb_u32 s29, s27, 0
	v_cmpx_gt_i64_e64 s[28:29], v[4:5]
	s_cbranch_execz .LBB108_16
; %bb.13:                               ;   in Loop: Header=BB108_12 Depth=1
	v_lshlrev_b64 v[0:1], 3, v[4:5]
	v_mov_b32_e32 v2, 0
	v_mov_b32_e32 v3, 0
	s_mov_b32 s33, 0
	s_delay_alu instid0(VALU_DEP_3) | instskip(NEXT) | instid1(VALU_DEP_4)
	v_add_co_u32 v6, vcc_lo, s10, v0
	v_add_co_ci_u32_e32 v7, vcc_lo, s11, v1, vcc_lo
	v_add_co_u32 v12, vcc_lo, s12, v0
	v_add_co_ci_u32_e32 v13, vcc_lo, s13, v1, vcc_lo
	v_dual_mov_b32 v0, v2 :: v_dual_mov_b32 v1, v3
	s_set_inst_prefetch_distance 0x1
	.p2align	6
.LBB108_14:                             ;   Parent Loop BB108_12 Depth=1
                                        ; =>  This Inner Loop Header: Depth=2
	global_load_b64 v[18:19], v[6:7], off
	s_waitcnt vmcnt(0)
	v_sub_co_u32 v18, vcc_lo, v18, s20
	v_subrev_co_ci_u32_e32 v19, vcc_lo, 0, v19, vcc_lo
	s_delay_alu instid0(VALU_DEP_1) | instskip(NEXT) | instid1(VALU_DEP_1)
	v_lshlrev_b64 v[18:19], 4, v[18:19]
	v_add_co_u32 v18, vcc_lo, s14, v18
	s_delay_alu instid0(VALU_DEP_2)
	v_add_co_ci_u32_e32 v19, vcc_lo, s15, v19, vcc_lo
	v_add_co_u32 v4, vcc_lo, 0x100, v4
	global_load_b64 v[22:23], v[12:13], off
	global_load_b128 v[18:21], v[18:19], off
	v_add_co_ci_u32_e32 v5, vcc_lo, 0, v5, vcc_lo
	v_add_co_u32 v6, vcc_lo, 0x800, v6
	v_add_co_ci_u32_e32 v7, vcc_lo, 0, v7, vcc_lo
	s_delay_alu instid0(VALU_DEP_3) | instskip(SKIP_1) | instid1(VALU_DEP_1)
	v_cmp_le_i64_e32 vcc_lo, s[28:29], v[4:5]
	v_add_co_u32 v12, s5, 0x800, v12
	v_add_co_ci_u32_e64 v13, s5, 0, v13, s5
	s_or_b32 s33, vcc_lo, s33
	s_waitcnt vmcnt(0)
	v_fma_f64 v[0:1], v[22:23], v[18:19], v[0:1]
	v_fma_f64 v[2:3], v[18:19], 0, v[2:3]
	s_delay_alu instid0(VALU_DEP_2) | instskip(NEXT) | instid1(VALU_DEP_2)
	v_fma_f64 v[0:1], 0x80000000, v[20:21], v[0:1]
	v_fma_f64 v[2:3], v[22:23], v[20:21], v[2:3]
	s_and_not1_b32 exec_lo, exec_lo, s33
	s_cbranch_execnz .LBB108_14
; %bb.15:                               ;   in Loop: Header=BB108_12 Depth=1
	s_set_inst_prefetch_distance 0x2
	s_or_b32 exec_lo, exec_lo, s33
.LBB108_16:                             ;   in Loop: Header=BB108_12 Depth=1
	s_delay_alu instid0(SALU_CYCLE_1)
	s_or_b32 exec_lo, exec_lo, s31
	ds_store_b128 v14, v[0:3]
	s_waitcnt lgkmcnt(0)
	s_barrier
	buffer_gl0_inv
	s_and_saveexec_b32 s5, s0
	s_cbranch_execz .LBB108_18
; %bb.17:                               ;   in Loop: Header=BB108_12 Depth=1
	ds_load_b128 v[0:3], v14 offset:4096
	ds_load_b128 v[4:7], v14 offset:8192
	ds_load_b128 v[18:21], v14 offset:12288
	ds_load_b128 v[22:25], v14
	s_waitcnt lgkmcnt(2)
	v_add_f64 v[0:1], v[4:5], v[0:1]
	v_add_f64 v[2:3], v[6:7], v[2:3]
	s_waitcnt lgkmcnt(1)
	s_delay_alu instid0(VALU_DEP_2) | instskip(NEXT) | instid1(VALU_DEP_2)
	v_add_f64 v[0:1], v[0:1], v[18:19]
	v_add_f64 v[2:3], v[2:3], v[20:21]
	s_waitcnt lgkmcnt(0)
	s_delay_alu instid0(VALU_DEP_2) | instskip(NEXT) | instid1(VALU_DEP_2)
	v_add_f64 v[0:1], v[0:1], v[22:23]
	v_add_f64 v[2:3], v[2:3], v[24:25]
	ds_store_b128 v14, v[0:3]
.LBB108_18:                             ;   in Loop: Header=BB108_12 Depth=1
	s_or_b32 exec_lo, exec_lo, s5
	s_waitcnt lgkmcnt(0)
	s_barrier
	buffer_gl0_inv
	s_and_saveexec_b32 s5, s1
	s_cbranch_execz .LBB108_20
; %bb.19:                               ;   in Loop: Header=BB108_12 Depth=1
	ds_load_b128 v[0:3], v14 offset:1024
	ds_load_b128 v[4:7], v14 offset:2048
	ds_load_b128 v[18:21], v14 offset:3072
	ds_load_b128 v[22:25], v14
	s_waitcnt lgkmcnt(2)
	v_add_f64 v[0:1], v[4:5], v[0:1]
	v_add_f64 v[2:3], v[6:7], v[2:3]
	s_waitcnt lgkmcnt(1)
	s_delay_alu instid0(VALU_DEP_2) | instskip(NEXT) | instid1(VALU_DEP_2)
	v_add_f64 v[0:1], v[0:1], v[18:19]
	v_add_f64 v[2:3], v[2:3], v[20:21]
	s_waitcnt lgkmcnt(0)
	s_delay_alu instid0(VALU_DEP_2) | instskip(NEXT) | instid1(VALU_DEP_2)
	v_add_f64 v[0:1], v[0:1], v[22:23]
	v_add_f64 v[2:3], v[2:3], v[24:25]
	ds_store_b128 v14, v[0:3]
.LBB108_20:                             ;   in Loop: Header=BB108_12 Depth=1
	s_or_b32 exec_lo, exec_lo, s5
	;; [unrolled: 24-line block ×5, first 2 shown]
	s_waitcnt lgkmcnt(0)
	s_barrier
	buffer_gl0_inv
	s_and_saveexec_b32 s5, s4
	s_cbranch_execz .LBB108_11
; %bb.27:                               ;   in Loop: Header=BB108_12 Depth=1
	ds_load_b128 v[0:3], v17
	v_mov_b32_e32 v12, 0
	v_bfrev_b32_e32 v13, 1
	s_mov_b32 s28, exec_lo
	s_waitcnt lgkmcnt(0)
	v_mul_f64 v[4:5], v[2:3], -v[10:11]
	s_delay_alu instid0(VALU_DEP_1)
	v_fma_f64 v[4:5], v[8:9], v[0:1], v[4:5]
.LBB108_28:                             ;   Parent Loop BB108_12 Depth=1
                                        ; =>  This Inner Loop Header: Depth=2
	s_ctz_i32_b32 s29, s28
	s_delay_alu instid0(VALU_DEP_1) | instid1(SALU_CYCLE_1)
	v_readlane_b32 s35, v5, s29
	s_delay_alu instid0(VALU_DEP_2) | instskip(SKIP_1) | instid1(SALU_CYCLE_1)
	v_readlane_b32 s34, v4, s29
	s_lshl_b32 s29, 1, s29
	s_and_not1_b32 s28, s28, s29
	s_delay_alu instid0(VALU_DEP_1)
	v_add_f64 v[12:13], v[12:13], s[34:35]
	s_cmp_lg_u32 s28, 0
	s_cbranch_scc1 .LBB108_28
; %bb.29:                               ;   in Loop: Header=BB108_12 Depth=1
	v_mbcnt_lo_u32_b32 v4, exec_lo, 0
	s_lshl_b64 s[28:29], s[24:25], 4
	s_mov_b32 s31, exec_lo
	s_add_u32 s28, s6, s28
	s_addc_u32 s29, s7, s29
	v_cmpx_eq_u32_e32 0, v4
	s_xor_b32 s31, exec_lo, s31
	s_cbranch_execz .LBB108_33
; %bb.30:                               ;   in Loop: Header=BB108_12 Depth=1
	global_load_b64 v[6:7], v17, s[28:29]
	s_mov_b32 s33, 0
.LBB108_31:                             ;   Parent Loop BB108_12 Depth=1
                                        ; =>  This Inner Loop Header: Depth=2
	s_waitcnt vmcnt(0)
	v_add_f64 v[4:5], v[6:7], v[12:13]
	global_atomic_cmpswap_b64 v[4:5], v17, v[4:7], s[28:29] glc
	s_waitcnt vmcnt(0)
	v_cmp_eq_u64_e32 vcc_lo, v[4:5], v[6:7]
	v_dual_mov_b32 v7, v5 :: v_dual_mov_b32 v6, v4
	s_or_b32 s33, vcc_lo, s33
	s_delay_alu instid0(SALU_CYCLE_1)
	s_and_not1_b32 exec_lo, exec_lo, s33
	s_cbranch_execnz .LBB108_31
; %bb.32:                               ;   in Loop: Header=BB108_12 Depth=1
	s_or_b32 exec_lo, exec_lo, s33
.LBB108_33:                             ;   in Loop: Header=BB108_12 Depth=1
	s_delay_alu instid0(SALU_CYCLE_1) | instskip(SKIP_4) | instid1(VALU_DEP_3)
	s_or_b32 exec_lo, exec_lo, s31
	v_mul_f64 v[2:3], v[8:9], v[2:3]
	v_mov_b32_e32 v4, 0
	v_bfrev_b32_e32 v5, 1
	s_mov_b32 s31, exec_lo
	v_fma_f64 v[0:1], v[10:11], v[0:1], v[2:3]
.LBB108_34:                             ;   Parent Loop BB108_12 Depth=1
                                        ; =>  This Inner Loop Header: Depth=2
	s_ctz_i32_b32 s33, s31
	s_delay_alu instid0(VALU_DEP_1) | instid1(SALU_CYCLE_1)
	v_readlane_b32 s35, v1, s33
	s_delay_alu instid0(VALU_DEP_2) | instskip(SKIP_1) | instid1(SALU_CYCLE_1)
	v_readlane_b32 s34, v0, s33
	s_lshl_b32 s33, 1, s33
	s_and_not1_b32 s31, s31, s33
	s_delay_alu instid0(VALU_DEP_1)
	v_add_f64 v[4:5], v[4:5], s[34:35]
	s_cmp_lg_u32 s31, 0
	s_cbranch_scc1 .LBB108_34
; %bb.35:                               ;   in Loop: Header=BB108_12 Depth=1
	v_mbcnt_lo_u32_b32 v0, exec_lo, 0
	s_mov_b32 s31, exec_lo
	s_delay_alu instid0(VALU_DEP_1)
	v_cmpx_eq_u32_e32 0, v0
	s_xor_b32 s31, exec_lo, s31
	s_cbranch_execz .LBB108_11
; %bb.36:                               ;   in Loop: Header=BB108_12 Depth=1
	global_load_b64 v[2:3], v17, s[28:29] offset:8
	s_mov_b32 s31, 0
.LBB108_37:                             ;   Parent Loop BB108_12 Depth=1
                                        ; =>  This Inner Loop Header: Depth=2
	s_waitcnt vmcnt(0)
	v_add_f64 v[0:1], v[2:3], v[4:5]
	global_atomic_cmpswap_b64 v[0:1], v17, v[0:3], s[28:29] offset:8 glc
	s_waitcnt vmcnt(0)
	v_cmp_eq_u64_e32 vcc_lo, v[0:1], v[2:3]
	v_dual_mov_b32 v3, v1 :: v_dual_mov_b32 v2, v0
	s_or_b32 s31, vcc_lo, s31
	s_delay_alu instid0(SALU_CYCLE_1)
	s_and_not1_b32 exec_lo, exec_lo, s31
	s_cbranch_execnz .LBB108_37
; %bb.38:                               ;   in Loop: Header=BB108_12 Depth=1
	s_or_b32 exec_lo, exec_lo, s31
	s_branch .LBB108_11
.LBB108_39:
	s_lshl_b64 s[0:1], s[18:19], 3
	s_waitcnt lgkmcnt(0)
	v_add_co_u32 v12, vcc_lo, s22, v15
	s_add_u32 s0, s8, s0
	s_addc_u32 s1, s9, s1
	v_add_co_ci_u32_e32 v13, vcc_lo, s23, v16, vcc_lo
	s_load_b64 s[0:1], s[0:1], 0x0
	s_waitcnt lgkmcnt(0)
	s_sub_u32 s2, s0, s20
	s_subb_u32 s3, s1, 0
	s_delay_alu instid0(SALU_CYCLE_1)
	v_cmp_gt_i64_e32 vcc_lo, s[2:3], v[12:13]
	s_and_b32 exec_lo, exec_lo, vcc_lo
	s_cbranch_execz .LBB108_51
; %bb.40:
	v_mul_f64 v[14:15], 0x80000000, v[10:11]
	v_mul_f64 v[16:17], v[8:9], 0
	s_add_u32 s4, s18, -1
	s_addc_u32 s5, s19, -1
	s_add_u32 s0, s18, -2
	v_cmp_gt_i64_e64 s21, s[4:5], s[16:17]
	s_addc_u32 s1, s19, -1
	s_mov_b32 s18, 0
	s_cmp_lg_u64 s[0:1], s[16:17]
	s_cselect_b32 s0, -1, 0
	s_delay_alu instid0(VALU_DEP_1) | instid1(SALU_CYCLE_1)
	s_and_b32 s1, s21, s0
	s_branch .LBB108_42
.LBB108_41:                             ;   in Loop: Header=BB108_42 Depth=1
	s_or_b32 exec_lo, exec_lo, s0
	v_add_co_u32 v12, vcc_lo, 0x100, v12
	v_add_co_ci_u32_e32 v13, vcc_lo, 0, v13, vcc_lo
	s_delay_alu instid0(VALU_DEP_1) | instskip(SKIP_1) | instid1(SALU_CYCLE_1)
	v_cmp_le_i64_e32 vcc_lo, s[2:3], v[12:13]
	s_or_b32 s18, vcc_lo, s18
	s_and_not1_b32 exec_lo, exec_lo, s18
	s_cbranch_execz .LBB108_51
.LBB108_42:                             ; =>This Loop Header: Depth=1
                                        ;     Child Loop BB108_44 Depth 2
                                        ;     Child Loop BB108_48 Depth 2
	;; [unrolled: 1-line block ×3, first 2 shown]
	v_dual_mov_b32 v0, s16 :: v_dual_mov_b32 v1, s17
	v_dual_mov_b32 v2, s4 :: v_dual_mov_b32 v3, s5
	s_and_not1_b32 vcc_lo, exec_lo, s1
	s_cbranch_vccnz .LBB108_46
; %bb.43:                               ;   in Loop: Header=BB108_42 Depth=1
	v_dual_mov_b32 v0, s16 :: v_dual_mov_b32 v1, s17
	v_dual_mov_b32 v2, s4 :: v_dual_mov_b32 v3, s5
	s_mov_b32 s19, 0
	s_set_inst_prefetch_distance 0x1
	.p2align	6
.LBB108_44:                             ;   Parent Loop BB108_42 Depth=1
                                        ; =>  This Inner Loop Header: Depth=2
	s_delay_alu instid0(VALU_DEP_1) | instskip(NEXT) | instid1(VALU_DEP_2)
	v_add_co_u32 v4, vcc_lo, v2, v0
	v_add_co_ci_u32_e32 v5, vcc_lo, v3, v1, vcc_lo
	s_delay_alu instid0(VALU_DEP_1) | instskip(NEXT) | instid1(VALU_DEP_1)
	v_lshrrev_b32_e32 v6, 31, v5
	v_add_co_u32 v4, vcc_lo, v4, v6
	v_add_co_ci_u32_e32 v5, vcc_lo, 0, v5, vcc_lo
	s_delay_alu instid0(VALU_DEP_1) | instskip(NEXT) | instid1(VALU_DEP_1)
	v_ashrrev_i64 v[4:5], 1, v[4:5]
	v_lshlrev_b64 v[6:7], 3, v[4:5]
	s_delay_alu instid0(VALU_DEP_1) | instskip(NEXT) | instid1(VALU_DEP_2)
	v_add_co_u32 v6, vcc_lo, s8, v6
	v_add_co_ci_u32_e32 v7, vcc_lo, s9, v7, vcc_lo
	global_load_b64 v[6:7], v[6:7], off
	s_waitcnt vmcnt(0)
	v_sub_co_u32 v6, vcc_lo, v6, s20
	v_subrev_co_ci_u32_e32 v7, vcc_lo, 0, v7, vcc_lo
	s_delay_alu instid0(VALU_DEP_1) | instskip(SKIP_2) | instid1(VALU_DEP_2)
	v_cmp_gt_i64_e32 vcc_lo, v[6:7], v[12:13]
	v_dual_cndmask_b32 v3, v3, v5 :: v_dual_cndmask_b32 v2, v2, v4
	v_dual_cndmask_b32 v1, v5, v1 :: v_dual_cndmask_b32 v0, v4, v0
	v_add_co_u32 v4, vcc_lo, v2, -1
	s_delay_alu instid0(VALU_DEP_3) | instskip(NEXT) | instid1(VALU_DEP_3)
	v_add_co_ci_u32_e32 v5, vcc_lo, -1, v3, vcc_lo
	v_cmp_ge_i64_e32 vcc_lo, v[0:1], v[2:3]
	s_delay_alu instid0(VALU_DEP_2) | instskip(NEXT) | instid1(VALU_DEP_1)
	v_cmp_eq_u64_e64 s0, v[0:1], v[4:5]
	s_or_b32 s0, vcc_lo, s0
	s_delay_alu instid0(SALU_CYCLE_1) | instskip(NEXT) | instid1(SALU_CYCLE_1)
	s_and_b32 s0, exec_lo, s0
	s_or_b32 s19, s0, s19
	s_delay_alu instid0(SALU_CYCLE_1)
	s_and_not1_b32 exec_lo, exec_lo, s19
	s_cbranch_execnz .LBB108_44
; %bb.45:                               ;   in Loop: Header=BB108_42 Depth=1
	s_set_inst_prefetch_distance 0x2
	s_or_b32 exec_lo, exec_lo, s19
.LBB108_46:                             ;   in Loop: Header=BB108_42 Depth=1
	s_delay_alu instid0(VALU_DEP_1) | instskip(SKIP_2) | instid1(VALU_DEP_2)
	v_lshlrev_b64 v[4:5], 3, v[2:3]
	v_lshlrev_b64 v[6:7], 3, v[12:13]
	s_mov_b32 s0, exec_lo
	v_add_co_u32 v4, vcc_lo, s8, v4
	s_delay_alu instid0(VALU_DEP_3) | instskip(NEXT) | instid1(VALU_DEP_3)
	v_add_co_ci_u32_e32 v5, vcc_lo, s9, v5, vcc_lo
	v_add_co_u32 v18, vcc_lo, s10, v6
	s_delay_alu instid0(VALU_DEP_4)
	v_add_co_ci_u32_e32 v19, vcc_lo, s11, v7, vcc_lo
	global_load_b64 v[4:5], v[4:5], off
	global_load_b64 v[18:19], v[18:19], off
	s_waitcnt vmcnt(1)
	v_sub_co_u32 v4, vcc_lo, v4, s20
	v_subrev_co_ci_u32_e32 v5, vcc_lo, 0, v5, vcc_lo
	s_delay_alu instid0(VALU_DEP_1) | instskip(SKIP_4) | instid1(VALU_DEP_1)
	v_cmp_gt_i64_e32 vcc_lo, v[4:5], v[12:13]
	v_dual_cndmask_b32 v1, v3, v1 :: v_dual_cndmask_b32 v0, v2, v0
	s_waitcnt vmcnt(0)
	v_sub_co_u32 v4, vcc_lo, v18, s20
	v_subrev_co_ci_u32_e32 v5, vcc_lo, 0, v19, vcc_lo
	v_cmpx_ne_u64_e64 v[4:5], v[0:1]
	s_cbranch_execz .LBB108_41
; %bb.47:                               ;   in Loop: Header=BB108_42 Depth=1
	v_add_co_u32 v2, vcc_lo, s12, v6
	v_add_co_ci_u32_e32 v3, vcc_lo, s13, v7, vcc_lo
	v_lshlrev_b64 v[0:1], 4, v[0:1]
	v_lshlrev_b64 v[4:5], 4, v[4:5]
	s_mov_b32 s19, 0
	global_load_b64 v[22:23], v[2:3], off
	v_add_co_u32 v0, vcc_lo, s14, v0
	v_add_co_ci_u32_e32 v1, vcc_lo, s15, v1, vcc_lo
	v_add_co_u32 v18, vcc_lo, s6, v4
	v_add_co_ci_u32_e32 v19, vcc_lo, s7, v5, vcc_lo
	global_load_b128 v[0:3], v[0:1], off
	global_load_b64 v[6:7], v[18:19], off
	s_waitcnt vmcnt(2)
	v_fma_f64 v[20:21], v[10:11], v[22:23], v[16:17]
	v_fma_f64 v[22:23], v[8:9], v[22:23], v[14:15]
	s_waitcnt vmcnt(1)
	s_delay_alu instid0(VALU_DEP_2) | instskip(NEXT) | instid1(VALU_DEP_1)
	v_mul_f64 v[4:5], v[2:3], -v[20:21]
	v_fma_f64 v[24:25], v[22:23], v[0:1], v[4:5]
.LBB108_48:                             ;   Parent Loop BB108_42 Depth=1
                                        ; =>  This Inner Loop Header: Depth=2
	s_waitcnt vmcnt(0)
	s_delay_alu instid0(VALU_DEP_1)
	v_add_f64 v[4:5], v[6:7], v[24:25]
	global_atomic_cmpswap_b64 v[4:5], v[18:19], v[4:7], off glc
	s_waitcnt vmcnt(0)
	v_cmp_eq_u64_e32 vcc_lo, v[4:5], v[6:7]
	v_dual_mov_b32 v7, v5 :: v_dual_mov_b32 v6, v4
	s_or_b32 s19, vcc_lo, s19
	s_delay_alu instid0(SALU_CYCLE_1)
	s_and_not1_b32 exec_lo, exec_lo, s19
	s_cbranch_execnz .LBB108_48
; %bb.49:                               ;   in Loop: Header=BB108_42 Depth=1
	s_or_b32 exec_lo, exec_lo, s19
	global_load_b64 v[4:5], v[18:19], off offset:8
	v_mul_f64 v[2:3], v[22:23], v[2:3]
	s_mov_b32 s19, 0
	s_delay_alu instid0(VALU_DEP_1)
	v_fma_f64 v[0:1], v[20:21], v[0:1], v[2:3]
.LBB108_50:                             ;   Parent Loop BB108_42 Depth=1
                                        ; =>  This Inner Loop Header: Depth=2
	s_waitcnt vmcnt(0)
	s_delay_alu instid0(VALU_DEP_1)
	v_add_f64 v[2:3], v[4:5], v[0:1]
	global_atomic_cmpswap_b64 v[2:3], v[18:19], v[2:5], off offset:8 glc
	s_waitcnt vmcnt(0)
	v_cmp_eq_u64_e32 vcc_lo, v[2:3], v[4:5]
	v_dual_mov_b32 v5, v3 :: v_dual_mov_b32 v4, v2
	s_or_b32 s19, vcc_lo, s19
	s_delay_alu instid0(SALU_CYCLE_1)
	s_and_not1_b32 exec_lo, exec_lo, s19
	s_cbranch_execnz .LBB108_50
	s_branch .LBB108_41
.LBB108_51:
	s_endpgm
	.section	.rodata,"a",@progbits
	.p2align	6, 0x0
	.amdhsa_kernel _ZL33csrmvn_symm_large_adaptive_kernelIlld21rocsparse_complex_numIdES1_S1_EvbT_PKS2_N9rocsparse24const_host_device_scalarIT4_EES4_PKT0_PKT1_PKT2_S8_PT3_21rocsparse_index_base_b
		.amdhsa_group_segment_fixed_size 16384
		.amdhsa_private_segment_fixed_size 24
		.amdhsa_kernarg_size 104
		.amdhsa_user_sgpr_count 15
		.amdhsa_user_sgpr_dispatch_ptr 0
		.amdhsa_user_sgpr_queue_ptr 0
		.amdhsa_user_sgpr_kernarg_segment_ptr 1
		.amdhsa_user_sgpr_dispatch_id 0
		.amdhsa_user_sgpr_private_segment_size 0
		.amdhsa_wavefront_size32 1
		.amdhsa_uses_dynamic_stack 0
		.amdhsa_enable_private_segment 1
		.amdhsa_system_sgpr_workgroup_id_x 1
		.amdhsa_system_sgpr_workgroup_id_y 0
		.amdhsa_system_sgpr_workgroup_id_z 0
		.amdhsa_system_sgpr_workgroup_info 0
		.amdhsa_system_vgpr_workitem_id 0
		.amdhsa_next_free_vgpr 26
		.amdhsa_next_free_sgpr 36
		.amdhsa_reserve_vcc 1
		.amdhsa_float_round_mode_32 0
		.amdhsa_float_round_mode_16_64 0
		.amdhsa_float_denorm_mode_32 3
		.amdhsa_float_denorm_mode_16_64 3
		.amdhsa_dx10_clamp 1
		.amdhsa_ieee_mode 1
		.amdhsa_fp16_overflow 0
		.amdhsa_workgroup_processor_mode 1
		.amdhsa_memory_ordered 1
		.amdhsa_forward_progress 0
		.amdhsa_shared_vgpr_count 0
		.amdhsa_exception_fp_ieee_invalid_op 0
		.amdhsa_exception_fp_denorm_src 0
		.amdhsa_exception_fp_ieee_div_zero 0
		.amdhsa_exception_fp_ieee_overflow 0
		.amdhsa_exception_fp_ieee_underflow 0
		.amdhsa_exception_fp_ieee_inexact 0
		.amdhsa_exception_int_div_zero 0
	.end_amdhsa_kernel
	.section	.text._ZL33csrmvn_symm_large_adaptive_kernelIlld21rocsparse_complex_numIdES1_S1_EvbT_PKS2_N9rocsparse24const_host_device_scalarIT4_EES4_PKT0_PKT1_PKT2_S8_PT3_21rocsparse_index_base_b,"axG",@progbits,_ZL33csrmvn_symm_large_adaptive_kernelIlld21rocsparse_complex_numIdES1_S1_EvbT_PKS2_N9rocsparse24const_host_device_scalarIT4_EES4_PKT0_PKT1_PKT2_S8_PT3_21rocsparse_index_base_b,comdat
.Lfunc_end108:
	.size	_ZL33csrmvn_symm_large_adaptive_kernelIlld21rocsparse_complex_numIdES1_S1_EvbT_PKS2_N9rocsparse24const_host_device_scalarIT4_EES4_PKT0_PKT1_PKT2_S8_PT3_21rocsparse_index_base_b, .Lfunc_end108-_ZL33csrmvn_symm_large_adaptive_kernelIlld21rocsparse_complex_numIdES1_S1_EvbT_PKS2_N9rocsparse24const_host_device_scalarIT4_EES4_PKT0_PKT1_PKT2_S8_PT3_21rocsparse_index_base_b
                                        ; -- End function
	.section	.AMDGPU.csdata,"",@progbits
; Kernel info:
; codeLenInByte = 2912
; NumSgprs: 38
; NumVgprs: 26
; ScratchSize: 24
; MemoryBound: 0
; FloatMode: 240
; IeeeMode: 1
; LDSByteSize: 16384 bytes/workgroup (compile time only)
; SGPRBlocks: 4
; VGPRBlocks: 3
; NumSGPRsForWavesPerEU: 38
; NumVGPRsForWavesPerEU: 26
; Occupancy: 16
; WaveLimiterHint : 1
; COMPUTE_PGM_RSRC2:SCRATCH_EN: 1
; COMPUTE_PGM_RSRC2:USER_SGPR: 15
; COMPUTE_PGM_RSRC2:TRAP_HANDLER: 0
; COMPUTE_PGM_RSRC2:TGID_X_EN: 1
; COMPUTE_PGM_RSRC2:TGID_Y_EN: 0
; COMPUTE_PGM_RSRC2:TGID_Z_EN: 0
; COMPUTE_PGM_RSRC2:TIDIG_COMP_CNT: 0
	.section	.text._ZN9rocsparseL22csrmvn_adaptive_kernelIii21rocsparse_complex_numIfES1_IdES3_S3_EEvbT_PKS4_PjPKT0_NS_24const_host_device_scalarIT4_EES6_SA_PKT1_PKT2_SD_PT3_21rocsparse_index_base_b,"axG",@progbits,_ZN9rocsparseL22csrmvn_adaptive_kernelIii21rocsparse_complex_numIfES1_IdES3_S3_EEvbT_PKS4_PjPKT0_NS_24const_host_device_scalarIT4_EES6_SA_PKT1_PKT2_SD_PT3_21rocsparse_index_base_b,comdat
	.globl	_ZN9rocsparseL22csrmvn_adaptive_kernelIii21rocsparse_complex_numIfES1_IdES3_S3_EEvbT_PKS4_PjPKT0_NS_24const_host_device_scalarIT4_EES6_SA_PKT1_PKT2_SD_PT3_21rocsparse_index_base_b ; -- Begin function _ZN9rocsparseL22csrmvn_adaptive_kernelIii21rocsparse_complex_numIfES1_IdES3_S3_EEvbT_PKS4_PjPKT0_NS_24const_host_device_scalarIT4_EES6_SA_PKT1_PKT2_SD_PT3_21rocsparse_index_base_b
	.p2align	8
	.type	_ZN9rocsparseL22csrmvn_adaptive_kernelIii21rocsparse_complex_numIfES1_IdES3_S3_EEvbT_PKS4_PjPKT0_NS_24const_host_device_scalarIT4_EES6_SA_PKT1_PKT2_SD_PT3_21rocsparse_index_base_b,@function
_ZN9rocsparseL22csrmvn_adaptive_kernelIii21rocsparse_complex_numIfES1_IdES3_S3_EEvbT_PKS4_PjPKT0_NS_24const_host_device_scalarIT4_EES6_SA_PKT1_PKT2_SD_PT3_21rocsparse_index_base_b: ; @_ZN9rocsparseL22csrmvn_adaptive_kernelIii21rocsparse_complex_numIfES1_IdES3_S3_EEvbT_PKS4_PjPKT0_NS_24const_host_device_scalarIT4_EES6_SA_PKT1_PKT2_SD_PT3_21rocsparse_index_base_b
; %bb.0:
	s_clause 0x2
	s_load_b64 s[28:29], s[0:1], 0x68
	s_load_b128 s[8:11], s[0:1], 0x20
	s_load_b128 s[4:7], s[0:1], 0x50
	s_mov_b64 s[2:3], src_private_base
	v_mov_b32_e32 v1, 0
	s_mov_b32 s34, s15
	s_waitcnt lgkmcnt(0)
	s_bitcmp1_b32 s29, 0
	v_dual_mov_b32 v3, s8 :: v_dual_mov_b32 v6, s5
	s_cselect_b32 s2, -1, 0
	v_mov_b32_e32 v4, s9
	s_and_b32 vcc_lo, s2, exec_lo
	s_cselect_b32 s12, s3, s9
	v_cndmask_b32_e64 v1, s8, v1, s2
	v_dual_mov_b32 v5, s4 :: v_dual_mov_b32 v2, s12
	s_clause 0x1
	scratch_store_b64 off, v[3:4], off
	scratch_store_b64 off, v[5:6], off offset:8
	v_dual_mov_b32 v16, s11 :: v_dual_mov_b32 v15, s10
	flat_load_b64 v[13:14], v[1:2]
	s_xor_b32 s10, s2, -1
	s_cbranch_vccnz .LBB109_2
; %bb.1:
	v_dual_mov_b32 v1, s8 :: v_dual_mov_b32 v2, s9
	flat_load_b64 v[15:16], v[1:2] offset:8
.LBB109_2:
	s_and_b32 s8, s2, exec_lo
	s_cselect_b32 s3, s3, s5
	s_delay_alu instid0(SALU_CYCLE_1) | instskip(SKIP_2) | instid1(VALU_DEP_2)
	v_dual_mov_b32 v1, 8 :: v_dual_mov_b32 v2, s3
	v_dual_mov_b32 v12, s7 :: v_dual_mov_b32 v11, s6
	s_and_not1_b32 vcc_lo, exec_lo, s10
	v_cndmask_b32_e64 v1, s4, v1, s2
	flat_load_b64 v[9:10], v[1:2]
	s_cbranch_vccnz .LBB109_4
; %bb.3:
	v_dual_mov_b32 v1, s4 :: v_dual_mov_b32 v2, s5
	flat_load_b64 v[11:12], v[1:2] offset:8
.LBB109_4:
	s_waitcnt vmcnt(1) lgkmcnt(1)
	v_cmp_eq_f64_e32 vcc_lo, 0, v[13:14]
	v_cmp_eq_f64_e64 s2, 0, v[15:16]
	s_delay_alu instid0(VALU_DEP_1)
	s_and_b32 s4, vcc_lo, s2
	s_mov_b32 s2, -1
	s_and_saveexec_b32 s3, s4
	s_cbranch_execz .LBB109_6
; %bb.5:
	s_waitcnt vmcnt(0) lgkmcnt(0)
	v_cmp_neq_f64_e32 vcc_lo, 1.0, v[9:10]
	v_cmp_neq_f64_e64 s2, 0, v[11:12]
	s_delay_alu instid0(VALU_DEP_1) | instskip(NEXT) | instid1(SALU_CYCLE_1)
	s_or_b32 s2, vcc_lo, s2
	s_or_not1_b32 s2, s2, exec_lo
.LBB109_6:
	s_or_b32 exec_lo, exec_lo, s3
	s_and_saveexec_b32 s3, s2
	s_cbranch_execz .LBB109_121
; %bb.7:
	s_clause 0x1
	s_load_b128 s[20:23], s[0:1], 0x0
	s_load_b64 s[4:5], s[0:1], 0x18
	s_waitcnt lgkmcnt(0)
	s_bitcmp1_b32 s20, 0
	s_cselect_b32 s29, -1, 0
	s_ashr_i32 s35, s34, 31
	s_delay_alu instid0(SALU_CYCLE_1) | instskip(NEXT) | instid1(SALU_CYCLE_1)
	s_lshl_b64 s[36:37], s[34:35], 2
	s_add_u32 s2, s22, s36
	s_addc_u32 s3, s23, s37
	s_load_b64 s[24:25], s[2:3], 0x0
	s_clause 0x1
	s_load_b256 s[12:19], s[0:1], 0x30
	s_load_b64 s[22:23], s[0:1], 0x60
	s_mov_b32 s3, -1
	s_waitcnt lgkmcnt(0)
	s_sub_i32 s2, s25, s24
	s_add_u32 s4, s4, s36
	s_addc_u32 s5, s5, s37
	s_ashr_i32 s31, s24, 31
	s_mov_b32 s30, s24
	s_delay_alu instid0(SALU_CYCLE_1) | instskip(NEXT) | instid1(SALU_CYCLE_1)
	s_lshl_b64 s[6:7], s[30:31], 2
	s_add_u32 s26, s12, s6
	s_addc_u32 s27, s13, s7
	s_load_b32 s11, s[4:5], 0x0
	s_load_b32 s20, s[26:27], 0x0
	s_cmp_lt_i32 s2, 2
	s_cbranch_scc0 .LBB109_77
; %bb.8:
	s_cmp_lg_u32 s2, 1
	s_cselect_b32 s2, -1, 0
	s_waitcnt lgkmcnt(0)
	s_cmp_lg_u32 s11, 0
	s_cselect_b32 s3, -1, 0
	s_delay_alu instid0(SALU_CYCLE_1) | instskip(NEXT) | instid1(SALU_CYCLE_1)
	s_or_b32 s2, s2, s3
	s_and_b32 vcc_lo, exec_lo, s2
	s_mov_b32 s2, -1
	s_cbranch_vccnz .LBB109_37
; %bb.9:
	s_cmp_le_i32 s25, s24
	s_cbranch_scc1 .LBB109_36
; %bb.10:
	s_waitcnt vmcnt(0)
	v_cmp_neq_f64_e64 s9, 0, v[9:10]
	v_cmp_neq_f64_e64 s10, 0, v[11:12]
	v_subrev_nc_u32_e32 v8, s28, v0
	v_dual_mov_b32 v20, 0 :: v_dual_lshlrev_b32 v19, 4, v0
	v_cmp_gt_u32_e32 vcc_lo, 0x80, v0
	v_cmp_gt_u32_e64 s2, 64, v0
	v_cmp_gt_u32_e64 s3, 32, v0
	;; [unrolled: 1-line block ×6, first 2 shown]
	v_cmp_eq_u32_e64 s8, 0, v0
	s_mov_b32 s41, s20
	s_mov_b32 s38, s24
	s_or_b32 s33, s9, s10
	s_add_u32 s35, s12, 4
	s_addc_u32 s40, s13, 0
	s_add_u32 s42, s16, 4
	s_addc_u32 s43, s17, 0
	s_branch .LBB109_13
.LBB109_11:                             ;   in Loop: Header=BB109_13 Depth=1
	s_or_b32 exec_lo, exec_lo, s10
	s_lshl_b64 s[44:45], s[38:39], 4
	s_delay_alu instid0(SALU_CYCLE_1)
	s_add_u32 s44, s22, s44
	s_addc_u32 s45, s23, s45
	s_waitcnt lgkmcnt(0)
	global_store_b128 v20, v[1:4], s[44:45]
.LBB109_12:                             ;   in Loop: Header=BB109_13 Depth=1
	s_or_b32 exec_lo, exec_lo, s9
	s_add_i32 s38, s38, 1
	s_delay_alu instid0(SALU_CYCLE_1)
	s_cmp_ge_i32 s38, s25
	s_cbranch_scc1 .LBB109_36
.LBB109_13:                             ; =>This Loop Header: Depth=1
                                        ;     Child Loop BB109_15 Depth 2
	s_ashr_i32 s39, s38, 31
	s_mov_b32 s9, s41
	s_lshl_b64 s[44:45], s[38:39], 2
	v_mov_b32_e32 v3, 0
	s_add_u32 s44, s35, s44
	s_addc_u32 s45, s40, s45
	v_dual_mov_b32 v4, 0 :: v_dual_add_nc_u32 v5, s9, v8
	s_load_b32 s41, s[44:45], 0x0
	v_mov_b32_e32 v1, v3
	s_mov_b32 s44, exec_lo
	s_delay_alu instid0(VALU_DEP_2) | instskip(SKIP_2) | instid1(SALU_CYCLE_1)
	v_mov_b32_e32 v2, v4
	s_waitcnt lgkmcnt(0)
	s_sub_i32 s45, s41, s28
	v_cmpx_gt_i32_e64 s45, v5
	s_cbranch_execz .LBB109_17
; %bb.14:                               ;   in Loop: Header=BB109_13 Depth=1
	v_ashrrev_i32_e32 v6, 31, v5
	v_mov_b32_e32 v3, 0
	v_mov_b32_e32 v4, 0
	s_mov_b32 s46, 0
	s_delay_alu instid0(VALU_DEP_3) | instskip(SKIP_1) | instid1(VALU_DEP_2)
	v_lshlrev_b64 v[1:2], 3, v[5:6]
	v_lshlrev_b64 v[17:18], 2, v[5:6]
	v_add_co_u32 v6, s9, s42, v1
	s_delay_alu instid0(VALU_DEP_1) | instskip(NEXT) | instid1(VALU_DEP_3)
	v_add_co_ci_u32_e64 v7, s9, s43, v2, s9
	v_add_co_u32 v17, s9, s14, v17
	s_delay_alu instid0(VALU_DEP_1)
	v_add_co_ci_u32_e64 v18, s9, s15, v18, s9
	v_dual_mov_b32 v1, v3 :: v_dual_mov_b32 v2, v4
.LBB109_15:                             ;   Parent Loop BB109_13 Depth=1
                                        ; =>  This Inner Loop Header: Depth=2
	global_load_b32 v21, v[17:18], off
	global_load_b64 v[25:26], v[6:7], off offset:-4
	v_add_nc_u32_e32 v5, 0x100, v5
	v_add_co_u32 v17, s10, 0x400, v17
	s_delay_alu instid0(VALU_DEP_1)
	v_add_co_ci_u32_e64 v18, s10, 0, v18, s10
	s_waitcnt vmcnt(1)
	v_subrev_nc_u32_e32 v21, s28, v21
	s_waitcnt vmcnt(0)
	v_cndmask_b32_e64 v26, v26, -v26, s29
	v_cvt_f64_f32_e32 v[28:29], v25
	s_delay_alu instid0(VALU_DEP_3) | instskip(NEXT) | instid1(VALU_DEP_3)
	v_ashrrev_i32_e32 v22, 31, v21
	v_cvt_f64_f32_e32 v[26:27], v26
	s_delay_alu instid0(VALU_DEP_2) | instskip(NEXT) | instid1(VALU_DEP_1)
	v_lshlrev_b64 v[21:22], 4, v[21:22]
	v_add_co_u32 v21, s9, s18, v21
	s_delay_alu instid0(VALU_DEP_1) | instskip(SKIP_1) | instid1(VALU_DEP_1)
	v_add_co_ci_u32_e64 v22, s9, s19, v22, s9
	v_add_co_u32 v6, s9, 0x800, v6
	v_add_co_ci_u32_e64 v7, s9, 0, v7, s9
	global_load_b128 v[21:24], v[21:22], off
	v_cmp_le_i32_e64 s9, s45, v5
	s_delay_alu instid0(VALU_DEP_1) | instskip(SKIP_2) | instid1(VALU_DEP_2)
	s_or_b32 s46, s9, s46
	v_mul_f64 v[30:31], -v[15:16], v[26:27]
	v_mul_f64 v[25:26], v[13:14], v[26:27]
	v_fma_f64 v[30:31], v[13:14], v[28:29], v[30:31]
	s_delay_alu instid0(VALU_DEP_2) | instskip(SKIP_1) | instid1(VALU_DEP_2)
	v_fma_f64 v[25:26], v[15:16], v[28:29], v[25:26]
	s_waitcnt vmcnt(0)
	v_fma_f64 v[1:2], v[30:31], v[21:22], v[1:2]
	s_delay_alu instid0(VALU_DEP_2) | instskip(NEXT) | instid1(VALU_DEP_2)
	v_fma_f64 v[3:4], v[25:26], v[21:22], v[3:4]
	v_fma_f64 v[1:2], -v[25:26], v[23:24], v[1:2]
	s_delay_alu instid0(VALU_DEP_2)
	v_fma_f64 v[3:4], v[30:31], v[23:24], v[3:4]
	s_and_not1_b32 exec_lo, exec_lo, s46
	s_cbranch_execnz .LBB109_15
; %bb.16:                               ;   in Loop: Header=BB109_13 Depth=1
	s_or_b32 exec_lo, exec_lo, s46
.LBB109_17:                             ;   in Loop: Header=BB109_13 Depth=1
	s_delay_alu instid0(SALU_CYCLE_1)
	s_or_b32 exec_lo, exec_lo, s44
	ds_store_b128 v19, v[1:4]
	s_waitcnt lgkmcnt(0)
	s_waitcnt_vscnt null, 0x0
	s_barrier
	buffer_gl0_inv
	s_and_saveexec_b32 s9, vcc_lo
	s_cbranch_execz .LBB109_19
; %bb.18:                               ;   in Loop: Header=BB109_13 Depth=1
	ds_load_b128 v[1:4], v19 offset:2048
	ds_load_b128 v[21:24], v19
	s_waitcnt lgkmcnt(0)
	v_add_f64 v[1:2], v[1:2], v[21:22]
	v_add_f64 v[3:4], v[3:4], v[23:24]
	ds_store_b128 v19, v[1:4]
.LBB109_19:                             ;   in Loop: Header=BB109_13 Depth=1
	s_or_b32 exec_lo, exec_lo, s9
	s_waitcnt lgkmcnt(0)
	s_barrier
	buffer_gl0_inv
	s_and_saveexec_b32 s9, s2
	s_cbranch_execz .LBB109_21
; %bb.20:                               ;   in Loop: Header=BB109_13 Depth=1
	ds_load_b128 v[1:4], v19 offset:1024
	ds_load_b128 v[21:24], v19
	s_waitcnt lgkmcnt(0)
	v_add_f64 v[1:2], v[1:2], v[21:22]
	v_add_f64 v[3:4], v[3:4], v[23:24]
	ds_store_b128 v19, v[1:4]
.LBB109_21:                             ;   in Loop: Header=BB109_13 Depth=1
	s_or_b32 exec_lo, exec_lo, s9
	s_waitcnt lgkmcnt(0)
	s_barrier
	buffer_gl0_inv
	s_and_saveexec_b32 s9, s3
	s_cbranch_execz .LBB109_23
; %bb.22:                               ;   in Loop: Header=BB109_13 Depth=1
	ds_load_b128 v[1:4], v19 offset:512
	ds_load_b128 v[21:24], v19
	s_waitcnt lgkmcnt(0)
	v_add_f64 v[1:2], v[1:2], v[21:22]
	v_add_f64 v[3:4], v[3:4], v[23:24]
	ds_store_b128 v19, v[1:4]
.LBB109_23:                             ;   in Loop: Header=BB109_13 Depth=1
	s_or_b32 exec_lo, exec_lo, s9
	s_waitcnt lgkmcnt(0)
	s_barrier
	buffer_gl0_inv
	s_and_saveexec_b32 s9, s4
	s_cbranch_execz .LBB109_25
; %bb.24:                               ;   in Loop: Header=BB109_13 Depth=1
	ds_load_b128 v[1:4], v19 offset:256
	ds_load_b128 v[21:24], v19
	s_waitcnt lgkmcnt(0)
	v_add_f64 v[1:2], v[1:2], v[21:22]
	v_add_f64 v[3:4], v[3:4], v[23:24]
	ds_store_b128 v19, v[1:4]
.LBB109_25:                             ;   in Loop: Header=BB109_13 Depth=1
	s_or_b32 exec_lo, exec_lo, s9
	s_waitcnt lgkmcnt(0)
	s_barrier
	buffer_gl0_inv
	s_and_saveexec_b32 s9, s5
	s_cbranch_execz .LBB109_27
; %bb.26:                               ;   in Loop: Header=BB109_13 Depth=1
	ds_load_b128 v[1:4], v19 offset:128
	ds_load_b128 v[21:24], v19
	s_waitcnt lgkmcnt(0)
	v_add_f64 v[1:2], v[1:2], v[21:22]
	v_add_f64 v[3:4], v[3:4], v[23:24]
	ds_store_b128 v19, v[1:4]
.LBB109_27:                             ;   in Loop: Header=BB109_13 Depth=1
	s_or_b32 exec_lo, exec_lo, s9
	s_waitcnt lgkmcnt(0)
	s_barrier
	buffer_gl0_inv
	s_and_saveexec_b32 s9, s6
	s_cbranch_execz .LBB109_29
; %bb.28:                               ;   in Loop: Header=BB109_13 Depth=1
	ds_load_b128 v[1:4], v19 offset:64
	ds_load_b128 v[21:24], v19
	s_waitcnt lgkmcnt(0)
	v_add_f64 v[1:2], v[1:2], v[21:22]
	v_add_f64 v[3:4], v[3:4], v[23:24]
	ds_store_b128 v19, v[1:4]
.LBB109_29:                             ;   in Loop: Header=BB109_13 Depth=1
	s_or_b32 exec_lo, exec_lo, s9
	s_waitcnt lgkmcnt(0)
	s_barrier
	buffer_gl0_inv
	s_and_saveexec_b32 s9, s7
	s_cbranch_execz .LBB109_31
; %bb.30:                               ;   in Loop: Header=BB109_13 Depth=1
	ds_load_b128 v[1:4], v19
	ds_load_b128 v[21:24], v19 offset:32
	s_waitcnt lgkmcnt(0)
	v_add_f64 v[1:2], v[21:22], v[1:2]
	v_add_f64 v[3:4], v[23:24], v[3:4]
	ds_store_b128 v19, v[1:4]
.LBB109_31:                             ;   in Loop: Header=BB109_13 Depth=1
	s_or_b32 exec_lo, exec_lo, s9
	s_waitcnt lgkmcnt(0)
	s_barrier
	buffer_gl0_inv
	s_and_saveexec_b32 s9, s8
	s_cbranch_execz .LBB109_33
; %bb.32:                               ;   in Loop: Header=BB109_13 Depth=1
	ds_load_b128 v[1:4], v20
	ds_load_b128 v[21:24], v20 offset:16
	s_waitcnt lgkmcnt(0)
	v_add_f64 v[1:2], v[21:22], v[1:2]
	v_add_f64 v[3:4], v[23:24], v[3:4]
	ds_store_b128 v20, v[1:4]
.LBB109_33:                             ;   in Loop: Header=BB109_13 Depth=1
	s_or_b32 exec_lo, exec_lo, s9
	s_waitcnt lgkmcnt(0)
	s_barrier
	buffer_gl0_inv
	s_and_saveexec_b32 s9, s8
	s_cbranch_execz .LBB109_12
; %bb.34:                               ;   in Loop: Header=BB109_13 Depth=1
	ds_load_b128 v[1:4], v20
	s_and_saveexec_b32 s10, s33
	s_cbranch_execz .LBB109_11
; %bb.35:                               ;   in Loop: Header=BB109_13 Depth=1
	s_lshl_b64 s[44:45], s[38:39], 4
	s_delay_alu instid0(SALU_CYCLE_1)
	s_add_u32 s44, s22, s44
	s_addc_u32 s45, s23, s45
	global_load_b128 v[21:24], v20, s[44:45]
	s_waitcnt vmcnt(0) lgkmcnt(0)
	v_fma_f64 v[1:2], v[9:10], v[21:22], v[1:2]
	v_fma_f64 v[3:4], v[11:12], v[21:22], v[3:4]
	s_delay_alu instid0(VALU_DEP_2) | instskip(NEXT) | instid1(VALU_DEP_2)
	v_fma_f64 v[1:2], -v[11:12], v[23:24], v[1:2]
	v_fma_f64 v[3:4], v[9:10], v[23:24], v[3:4]
	s_branch .LBB109_11
.LBB109_36:
	s_mov_b32 s2, 0
.LBB109_37:
	s_delay_alu instid0(SALU_CYCLE_1)
	s_and_not1_b32 vcc_lo, exec_lo, s2
	s_cbranch_vccnz .LBB109_76
; %bb.38:
	s_load_b64 s[4:5], s[0:1], 0x10
	s_sub_i32 s6, s34, s11
	v_mov_b32_e32 v1, 0
	v_or_b32_e32 v3, s11, v0
	v_mov_b32_e32 v2, 0
	s_delay_alu instid0(VALU_DEP_2) | instskip(NEXT) | instid1(VALU_DEP_2)
	v_cmp_eq_u32_e32 vcc_lo, 0, v3
	v_dual_mov_b32 v4, v2 :: v_dual_mov_b32 v3, v1
	s_waitcnt lgkmcnt(0)
	s_add_u32 s2, s4, s36
	s_addc_u32 s3, s5, s37
	s_load_b32 s8, s[2:3], 0x0
	s_and_saveexec_b32 s0, vcc_lo
	s_cbranch_execz .LBB109_42
; %bb.39:
	s_lshl_b64 s[34:35], s[30:31], 4
	v_mov_b32_e32 v17, 0
	s_add_u32 s34, s22, s34
	s_addc_u32 s35, s23, s35
	s_waitcnt vmcnt(0)
	v_add_f64 v[1:2], v[9:10], -1.0
	s_mov_b32 s1, exec_lo
	global_load_b128 v[3:6], v17, s[34:35]
	v_mbcnt_lo_u32_b32 v18, s1, 0
	s_mov_b32 s9, exec_lo
	s_waitcnt vmcnt(0) expcnt(0) lgkmcnt(0)
	s_waitcnt_vscnt null, 0x0
	v_mul_f64 v[7:8], v[5:6], -v[11:12]
	v_mul_f64 v[5:6], v[1:2], v[5:6]
	v_cmpx_eq_u32_e32 0, v18
	s_cbranch_execz .LBB109_41
; %bb.40:
	s_ashr_i32 s7, s6, 31
	s_delay_alu instid0(SALU_CYCLE_1) | instskip(NEXT) | instid1(SALU_CYCLE_1)
	s_lshl_b64 s[34:35], s[6:7], 2
	s_add_u32 s34, s4, s34
	s_addc_u32 s35, s5, s35
	s_bcnt1_i32_b32 s1, s1
	s_delay_alu instid0(SALU_CYCLE_1) | instskip(NEXT) | instid1(SALU_CYCLE_1)
	s_and_b32 s1, s1, 1
	v_mov_b32_e32 v18, s1
	global_atomic_xor_b32 v17, v18, s[34:35]
.LBB109_41:
	s_or_b32 exec_lo, exec_lo, s9
	s_delay_alu instid0(VALU_DEP_3) | instskip(NEXT) | instid1(VALU_DEP_3)
	v_fma_f64 v[1:2], v[1:2], v[3:4], v[7:8]
	v_fma_f64 v[3:4], v[11:12], v[3:4], v[5:6]
.LBB109_42:
	s_or_b32 exec_lo, exec_lo, s0
	s_load_b32 s0, s[26:27], 0x4
	s_mul_i32 s1, s11, 0xc00
	s_sub_i32 s7, s20, s28
	s_delay_alu instid0(SALU_CYCLE_1)
	s_add_i32 s7, s7, s1
	s_mov_b32 s1, exec_lo
	v_add_nc_u32_e32 v5, s7, v0
	s_waitcnt lgkmcnt(0)
	s_sub_i32 s0, s0, s28
	s_delay_alu instid0(VALU_DEP_1) | instid1(SALU_CYCLE_1)
	v_cmpx_gt_i32_e64 s0, v5
	s_cbranch_execz .LBB109_46
; %bb.43:
	v_ashrrev_i32_e32 v6, 31, v5
	s_addk_i32 s7, 0xc00
	s_mov_b32 s9, 0
	s_min_i32 s7, s7, s0
	s_delay_alu instid0(VALU_DEP_1) | instskip(SKIP_1) | instid1(VALU_DEP_2)
	v_lshlrev_b64 v[7:8], 3, v[5:6]
	v_lshlrev_b64 v[17:18], 2, v[5:6]
	v_add_co_u32 v7, vcc_lo, v7, s16
	s_delay_alu instid0(VALU_DEP_3) | instskip(NEXT) | instid1(VALU_DEP_2)
	v_add_co_ci_u32_e32 v8, vcc_lo, s17, v8, vcc_lo
	v_add_co_u32 v6, vcc_lo, v7, 4
	s_delay_alu instid0(VALU_DEP_2)
	v_add_co_ci_u32_e32 v7, vcc_lo, 0, v8, vcc_lo
	v_add_co_u32 v17, vcc_lo, s14, v17
	v_add_co_ci_u32_e32 v18, vcc_lo, s15, v18, vcc_lo
	s_set_inst_prefetch_distance 0x1
	.p2align	6
.LBB109_44:                             ; =>This Inner Loop Header: Depth=1
	global_load_b32 v8, v[17:18], off
	global_load_b64 v[23:24], v[6:7], off offset:-4
	v_add_nc_u32_e32 v5, 0x100, v5
	v_add_co_u32 v17, s0, 0x400, v17
	s_delay_alu instid0(VALU_DEP_1)
	v_add_co_ci_u32_e64 v18, s0, 0, v18, s0
	s_waitcnt vmcnt(1)
	v_subrev_nc_u32_e32 v19, s28, v8
	s_waitcnt vmcnt(0)
	v_cndmask_b32_e64 v8, v24, -v24, s29
	v_cvt_f64_f32_e32 v[26:27], v23
	s_delay_alu instid0(VALU_DEP_3) | instskip(NEXT) | instid1(VALU_DEP_3)
	v_ashrrev_i32_e32 v20, 31, v19
	v_cvt_f64_f32_e32 v[24:25], v8
	s_delay_alu instid0(VALU_DEP_2) | instskip(NEXT) | instid1(VALU_DEP_1)
	v_lshlrev_b64 v[19:20], 4, v[19:20]
	v_add_co_u32 v19, vcc_lo, s18, v19
	s_delay_alu instid0(VALU_DEP_2)
	v_add_co_ci_u32_e32 v20, vcc_lo, s19, v20, vcc_lo
	v_add_co_u32 v6, vcc_lo, 0x800, v6
	v_add_co_ci_u32_e32 v7, vcc_lo, 0, v7, vcc_lo
	global_load_b128 v[19:22], v[19:20], off
	v_cmp_le_i32_e32 vcc_lo, s7, v5
	s_or_b32 s9, vcc_lo, s9
	v_mul_f64 v[28:29], -v[15:16], v[24:25]
	v_mul_f64 v[23:24], v[13:14], v[24:25]
	s_delay_alu instid0(VALU_DEP_2) | instskip(NEXT) | instid1(VALU_DEP_2)
	v_fma_f64 v[28:29], v[13:14], v[26:27], v[28:29]
	v_fma_f64 v[23:24], v[15:16], v[26:27], v[23:24]
	s_waitcnt vmcnt(0)
	s_delay_alu instid0(VALU_DEP_2) | instskip(NEXT) | instid1(VALU_DEP_2)
	v_fma_f64 v[1:2], v[28:29], v[19:20], v[1:2]
	v_fma_f64 v[3:4], v[23:24], v[19:20], v[3:4]
	s_delay_alu instid0(VALU_DEP_2) | instskip(NEXT) | instid1(VALU_DEP_2)
	v_fma_f64 v[1:2], -v[23:24], v[21:22], v[1:2]
	v_fma_f64 v[3:4], v[28:29], v[21:22], v[3:4]
	s_and_not1_b32 exec_lo, exec_lo, s9
	s_cbranch_execnz .LBB109_44
; %bb.45:
	s_set_inst_prefetch_distance 0x2
	s_or_b32 exec_lo, exec_lo, s9
.LBB109_46:
	s_delay_alu instid0(SALU_CYCLE_1)
	s_or_b32 exec_lo, exec_lo, s1
	v_lshlrev_b32_e32 v5, 4, v0
	s_mov_b32 s0, exec_lo
	ds_store_b128 v5, v[1:4]
	s_waitcnt vmcnt(0) lgkmcnt(0)
	s_waitcnt_vscnt null, 0x0
	s_barrier
	buffer_gl0_inv
	v_cmpx_gt_u32_e32 0x80, v0
	s_cbranch_execz .LBB109_48
; %bb.47:
	ds_load_b128 v[1:4], v5 offset:2048
	ds_load_b128 v[17:20], v5
	s_waitcnt lgkmcnt(0)
	v_add_f64 v[1:2], v[1:2], v[17:18]
	v_add_f64 v[3:4], v[3:4], v[19:20]
	ds_store_b128 v5, v[1:4]
.LBB109_48:
	s_or_b32 exec_lo, exec_lo, s0
	s_delay_alu instid0(SALU_CYCLE_1)
	s_mov_b32 s0, exec_lo
	s_waitcnt lgkmcnt(0)
	s_barrier
	buffer_gl0_inv
	v_cmpx_gt_u32_e32 64, v0
	s_cbranch_execz .LBB109_50
; %bb.49:
	ds_load_b128 v[1:4], v5 offset:1024
	ds_load_b128 v[17:20], v5
	s_waitcnt lgkmcnt(0)
	v_add_f64 v[1:2], v[1:2], v[17:18]
	v_add_f64 v[3:4], v[3:4], v[19:20]
	ds_store_b128 v5, v[1:4]
.LBB109_50:
	s_or_b32 exec_lo, exec_lo, s0
	s_delay_alu instid0(SALU_CYCLE_1)
	s_mov_b32 s0, exec_lo
	s_waitcnt lgkmcnt(0)
	;; [unrolled: 16-line block ×6, first 2 shown]
	s_barrier
	buffer_gl0_inv
	v_cmpx_gt_u32_e32 2, v0
	s_cbranch_execz .LBB109_60
; %bb.59:
	ds_load_b128 v[1:4], v5
	ds_load_b128 v[17:20], v5 offset:32
	s_waitcnt lgkmcnt(0)
	v_add_f64 v[1:2], v[17:18], v[1:2]
	v_add_f64 v[3:4], v[19:20], v[3:4]
	ds_store_b128 v5, v[1:4]
.LBB109_60:
	s_or_b32 exec_lo, exec_lo, s0
	v_cmp_eq_u32_e32 vcc_lo, 0, v0
	s_waitcnt lgkmcnt(0)
	s_barrier
	buffer_gl0_inv
	s_and_saveexec_b32 s0, vcc_lo
	s_cbranch_execz .LBB109_62
; %bb.61:
	v_mov_b32_e32 v17, 0
	ds_load_b128 v[1:4], v17
	ds_load_b128 v[5:8], v17 offset:16
	s_waitcnt lgkmcnt(0)
	v_add_f64 v[1:2], v[5:6], v[1:2]
	v_add_f64 v[3:4], v[7:8], v[3:4]
	ds_store_b128 v17, v[1:4]
.LBB109_62:
	s_or_b32 exec_lo, exec_lo, s0
	s_waitcnt lgkmcnt(0)
	s_barrier
	buffer_gl0_inv
	s_and_saveexec_b32 s9, vcc_lo
	s_cbranch_execz .LBB109_75
; %bb.63:
	s_cmp_eq_u32 s11, 0
	s_cbranch_scc1 .LBB109_69
; %bb.64:
	s_ashr_i32 s7, s6, 31
	v_mov_b32_e32 v1, 0
	s_lshl_b64 s[0:1], s[6:7], 2
	s_delay_alu instid0(SALU_CYCLE_1)
	s_add_u32 s0, s4, s0
	s_addc_u32 s1, s5, s1
	s_branch .LBB109_66
.LBB109_65:                             ;   in Loop: Header=BB109_66 Depth=1
	s_or_b32 exec_lo, exec_lo, s4
	s_waitcnt vmcnt(0)
	v_readfirstlane_b32 s4, v2
	s_delay_alu instid0(VALU_DEP_1)
	s_cmp_eq_u32 s4, s8
	s_cbranch_scc0 .LBB109_68
.LBB109_66:                             ; =>This Inner Loop Header: Depth=1
	v_mbcnt_lo_u32_b32 v2, exec_lo, 0
	s_delay_alu instid0(VALU_DEP_1)
	v_cmp_eq_u32_e32 vcc_lo, 0, v2
                                        ; implicit-def: $vgpr2
	s_and_saveexec_b32 s4, vcc_lo
	s_cbranch_execz .LBB109_65
; %bb.67:                               ;   in Loop: Header=BB109_66 Depth=1
	global_load_b32 v2, v1, s[0:1] glc
	s_branch .LBB109_65
.LBB109_68:
	v_mov_b32_e32 v1, 0
	global_load_b32 v2, v1, s[2:3]
	s_waitcnt vmcnt(0)
	v_xor_b32_e32 v2, 1, v2
	global_store_b32 v1, v2, s[2:3]
.LBB109_69:
	v_mov_b32_e32 v17, 0
	s_mov_b32 s3, exec_lo
	s_lshl_b64 s[0:1], s[30:31], 4
	v_mbcnt_lo_u32_b32 v5, s3, 0
	s_add_u32 s0, s22, s0
	ds_load_b128 v[1:4], v17
	s_addc_u32 s1, s23, s1
	s_mov_b32 s2, exec_lo
	v_cmpx_eq_u32_e32 0, v5
	s_cbranch_execz .LBB109_72
; %bb.70:
	global_load_b64 v[7:8], v17, s[0:1]
	s_bcnt1_i32_b32 s3, s3
	s_delay_alu instid0(SALU_CYCLE_1) | instskip(SKIP_2) | instid1(VALU_DEP_1)
	v_cvt_f64_u32_e32 v[5:6], s3
	s_mov_b32 s3, 0
	s_waitcnt lgkmcnt(0)
	v_mul_f64 v[1:2], v[1:2], v[5:6]
.LBB109_71:                             ; =>This Inner Loop Header: Depth=1
	s_waitcnt vmcnt(0)
	s_delay_alu instid0(VALU_DEP_1)
	v_add_f64 v[5:6], v[7:8], v[1:2]
	global_atomic_cmpswap_b64 v[5:6], v17, v[5:8], s[0:1] glc
	s_waitcnt vmcnt(0)
	v_cmp_eq_u64_e32 vcc_lo, v[5:6], v[7:8]
	v_dual_mov_b32 v8, v6 :: v_dual_mov_b32 v7, v5
	s_or_b32 s3, vcc_lo, s3
	s_delay_alu instid0(SALU_CYCLE_1)
	s_and_not1_b32 exec_lo, exec_lo, s3
	s_cbranch_execnz .LBB109_71
.LBB109_72:
	s_or_b32 exec_lo, exec_lo, s2
	s_delay_alu instid0(SALU_CYCLE_1) | instskip(SKIP_3) | instid1(VALU_DEP_1)
	s_mov_b32 s3, exec_lo
	s_mov_b32 s2, 0
	s_waitcnt lgkmcnt(0)
	v_mbcnt_lo_u32_b32 v1, s3, 0
	v_cmp_eq_u32_e32 vcc_lo, 0, v1
	s_and_b32 s4, exec_lo, vcc_lo
	s_delay_alu instid0(SALU_CYCLE_1)
	s_mov_b32 exec_lo, s4
	s_cbranch_execz .LBB109_75
; %bb.73:
	v_mov_b32_e32 v7, 0
	s_bcnt1_i32_b32 s3, s3
	s_delay_alu instid0(SALU_CYCLE_1)
	v_cvt_f64_u32_e32 v[1:2], s3
	global_load_b64 v[5:6], v7, s[0:1] offset:8
	v_mul_f64 v[1:2], v[3:4], v[1:2]
.LBB109_74:                             ; =>This Inner Loop Header: Depth=1
	s_waitcnt vmcnt(0)
	s_delay_alu instid0(VALU_DEP_1)
	v_add_f64 v[3:4], v[5:6], v[1:2]
	global_atomic_cmpswap_b64 v[3:4], v7, v[3:6], s[0:1] offset:8 glc
	s_waitcnt vmcnt(0)
	v_cmp_eq_u64_e32 vcc_lo, v[3:4], v[5:6]
	v_dual_mov_b32 v6, v4 :: v_dual_mov_b32 v5, v3
	s_or_b32 s2, vcc_lo, s2
	s_delay_alu instid0(SALU_CYCLE_1)
	s_and_not1_b32 exec_lo, exec_lo, s2
	s_cbranch_execnz .LBB109_74
.LBB109_75:
	s_or_b32 exec_lo, exec_lo, s9
.LBB109_76:
	s_mov_b32 s3, 0
.LBB109_77:
	s_delay_alu instid0(SALU_CYCLE_1)
	s_and_not1_b32 vcc_lo, exec_lo, s3
	s_cbranch_vccnz .LBB109_121
; %bb.78:
	v_subrev_nc_u32_e32 v1, s28, v0
	s_mov_b32 s0, exec_lo
	s_waitcnt lgkmcnt(0)
	s_delay_alu instid0(VALU_DEP_1) | instskip(NEXT) | instid1(VALU_DEP_1)
	v_add_nc_u32_e32 v1, s20, v1
	v_add_nc_u32_e32 v2, 0x300, v1
	s_delay_alu instid0(VALU_DEP_1)
	v_cmpx_le_i32_e64 s21, v2
	s_xor_b32 s0, exec_lo, s0
	s_cbranch_execz .LBB109_83
; %bb.79:
	s_ashr_i32 s3, s25, 31
	s_mov_b32 s2, s25
	s_delay_alu instid0(SALU_CYCLE_1) | instskip(NEXT) | instid1(SALU_CYCLE_1)
	s_lshl_b64 s[2:3], s[2:3], 2
	s_add_u32 s2, s12, s2
	s_addc_u32 s3, s13, s3
	s_load_b32 s1, s[2:3], 0x0
	s_mov_b32 s2, exec_lo
	s_waitcnt lgkmcnt(0)
	s_sub_i32 s1, s1, s28
	s_delay_alu instid0(SALU_CYCLE_1)
	v_cmpx_gt_i32_e64 s1, v1
	s_cbranch_execz .LBB109_82
; %bb.80:
	v_lshlrev_b32_e32 v3, 4, v0
	s_mov_b32 s3, 0
.LBB109_81:                             ; =>This Inner Loop Header: Depth=1
	v_ashrrev_i32_e32 v2, 31, v1
	s_delay_alu instid0(VALU_DEP_1) | instskip(NEXT) | instid1(VALU_DEP_1)
	v_lshlrev_b64 v[4:5], 2, v[1:2]
	v_add_co_u32 v4, vcc_lo, s14, v4
	s_delay_alu instid0(VALU_DEP_2) | instskip(SKIP_3) | instid1(VALU_DEP_2)
	v_add_co_ci_u32_e32 v5, vcc_lo, s15, v5, vcc_lo
	global_load_b32 v6, v[4:5], off
	v_lshlrev_b64 v[4:5], 3, v[1:2]
	v_add_nc_u32_e32 v1, 0x100, v1
	v_add_co_u32 v4, vcc_lo, s16, v4
	s_delay_alu instid0(VALU_DEP_3) | instskip(SKIP_3) | instid1(VALU_DEP_1)
	v_add_co_ci_u32_e32 v5, vcc_lo, s17, v5, vcc_lo
	global_load_b64 v[17:18], v[4:5], off
	s_waitcnt vmcnt(1)
	v_subrev_nc_u32_e32 v4, s28, v6
	v_ashrrev_i32_e32 v5, 31, v4
	s_delay_alu instid0(VALU_DEP_1) | instskip(SKIP_3) | instid1(VALU_DEP_3)
	v_lshlrev_b64 v[4:5], 4, v[4:5]
	s_waitcnt vmcnt(0)
	v_cndmask_b32_e64 v2, v18, -v18, s29
	v_cvt_f64_f32_e32 v[20:21], v17
	v_add_co_u32 v4, vcc_lo, s18, v4
	s_delay_alu instid0(VALU_DEP_4) | instskip(NEXT) | instid1(VALU_DEP_4)
	v_add_co_ci_u32_e32 v5, vcc_lo, s19, v5, vcc_lo
	v_cvt_f64_f32_e32 v[18:19], v2
	v_cmp_le_i32_e32 vcc_lo, s1, v1
	global_load_b128 v[4:7], v[4:5], off
	s_or_b32 s3, vcc_lo, s3
	v_mul_f64 v[22:23], v[13:14], v[18:19]
	v_mul_f64 v[17:18], -v[15:16], v[18:19]
	s_delay_alu instid0(VALU_DEP_2) | instskip(NEXT) | instid1(VALU_DEP_2)
	v_fma_f64 v[22:23], v[15:16], v[20:21], v[22:23]
	v_fma_f64 v[17:18], v[13:14], v[20:21], v[17:18]
	s_waitcnt vmcnt(0)
	s_delay_alu instid0(VALU_DEP_2) | instskip(NEXT) | instid1(VALU_DEP_2)
	v_mul_f64 v[19:20], v[6:7], -v[22:23]
	v_mul_f64 v[6:7], v[6:7], v[17:18]
	s_delay_alu instid0(VALU_DEP_2) | instskip(NEXT) | instid1(VALU_DEP_2)
	v_fma_f64 v[17:18], v[17:18], v[4:5], v[19:20]
	v_fma_f64 v[19:20], v[22:23], v[4:5], v[6:7]
	ds_store_b128 v3, v[17:20]
	v_add_nc_u32_e32 v3, 0x1000, v3
	s_and_not1_b32 exec_lo, exec_lo, s3
	s_cbranch_execnz .LBB109_81
.LBB109_82:
	s_or_b32 exec_lo, exec_lo, s2
                                        ; implicit-def: $vgpr1
                                        ; implicit-def: $vgpr15_vgpr16
                                        ; implicit-def: $vgpr13_vgpr14
.LBB109_83:
	s_or_saveexec_b32 s0, s0
	v_lshlrev_b32_e32 v17, 4, v0
	s_xor_b32 exec_lo, exec_lo, s0
	s_cbranch_execz .LBB109_85
; %bb.84:
	v_ashrrev_i32_e32 v2, 31, v1
	s_delay_alu instid0(VALU_DEP_1) | instskip(SKIP_1) | instid1(VALU_DEP_2)
	v_lshlrev_b64 v[3:4], 2, v[1:2]
	v_lshlrev_b64 v[1:2], 3, v[1:2]
	v_add_co_u32 v3, vcc_lo, s14, v3
	s_delay_alu instid0(VALU_DEP_3) | instskip(NEXT) | instid1(VALU_DEP_3)
	v_add_co_ci_u32_e32 v4, vcc_lo, s15, v4, vcc_lo
	v_add_co_u32 v1, vcc_lo, s16, v1
	s_delay_alu instid0(VALU_DEP_4)
	v_add_co_ci_u32_e32 v2, vcc_lo, s17, v2, vcc_lo
	s_clause 0x3
	global_load_b32 v5, v[3:4], off
	global_load_b32 v6, v[3:4], off offset:1024
	global_load_b32 v7, v[3:4], off offset:2048
	;; [unrolled: 1-line block ×3, first 2 shown]
	v_add_co_u32 v3, vcc_lo, 0x1000, v1
	v_add_co_ci_u32_e32 v4, vcc_lo, 0, v2, vcc_lo
	s_clause 0x3
	global_load_b64 v[26:27], v[1:2], off
	global_load_b64 v[28:29], v[1:2], off offset:2048
	global_load_b64 v[30:31], v[3:4], off
	global_load_b64 v[32:33], v[3:4], off offset:2048
	s_waitcnt vmcnt(7)
	v_subrev_nc_u32_e32 v1, s28, v5
	s_waitcnt vmcnt(6)
	v_subrev_nc_u32_e32 v3, s28, v6
	s_waitcnt vmcnt(5)
	v_subrev_nc_u32_e32 v5, s28, v7
	s_waitcnt vmcnt(4)
	v_subrev_nc_u32_e32 v7, s28, v8
	v_ashrrev_i32_e32 v2, 31, v1
	v_ashrrev_i32_e32 v4, 31, v3
	;; [unrolled: 1-line block ×3, first 2 shown]
	s_delay_alu instid0(VALU_DEP_4)
	v_ashrrev_i32_e32 v8, 31, v7
	s_waitcnt vmcnt(3)
	v_cndmask_b32_e64 v27, v27, -v27, s29
	v_lshlrev_b64 v[1:2], 4, v[1:2]
	v_lshlrev_b64 v[3:4], 4, v[3:4]
	;; [unrolled: 1-line block ×4, first 2 shown]
	s_waitcnt vmcnt(2)
	v_cndmask_b32_e64 v29, v29, -v29, s29
	s_waitcnt vmcnt(1)
	v_cndmask_b32_e64 v31, v31, -v31, s29
	v_add_co_u32 v1, vcc_lo, s18, v1
	v_add_co_ci_u32_e32 v2, vcc_lo, s19, v2, vcc_lo
	v_add_co_u32 v18, vcc_lo, s18, v3
	v_add_co_ci_u32_e32 v19, vcc_lo, s19, v4, vcc_lo
	;; [unrolled: 2-line block ×3, first 2 shown]
	v_add_co_u32 v22, vcc_lo, s18, v7
	global_load_b128 v[1:4], v[1:2], off
	v_add_co_ci_u32_e32 v23, vcc_lo, s19, v8, vcc_lo
	s_clause 0x2
	global_load_b128 v[5:8], v[18:19], off
	global_load_b128 v[18:21], v[20:21], off
	;; [unrolled: 1-line block ×3, first 2 shown]
	v_cvt_f64_f32_e32 v[34:35], v27
	s_waitcnt vmcnt(4)
	v_cndmask_b32_e64 v27, v33, -v33, s29
	v_cvt_f64_f32_e32 v[36:37], v29
	v_cvt_f64_f32_e32 v[38:39], v31
	;; [unrolled: 1-line block ×7, first 2 shown]
	v_mul_f64 v[42:43], v[13:14], v[34:35]
	v_mul_f64 v[34:35], -v[15:16], v[34:35]
	v_mul_f64 v[44:45], v[13:14], v[36:37]
	v_mul_f64 v[36:37], -v[15:16], v[36:37]
	;; [unrolled: 2-line block ×4, first 2 shown]
	v_fma_f64 v[42:43], v[15:16], v[26:27], v[42:43]
	v_fma_f64 v[26:27], v[13:14], v[26:27], v[34:35]
	;; [unrolled: 1-line block ×8, first 2 shown]
	s_waitcnt vmcnt(3)
	v_mul_f64 v[13:14], v[3:4], -v[42:43]
	v_mul_f64 v[3:4], v[3:4], v[26:27]
	s_waitcnt vmcnt(2)
	v_mul_f64 v[40:41], v[7:8], -v[34:35]
	v_mul_f64 v[7:8], v[7:8], v[28:29]
	s_waitcnt vmcnt(1)
	v_mul_f64 v[44:45], v[20:21], -v[36:37]
	v_mul_f64 v[20:21], v[20:21], v[30:31]
	s_waitcnt vmcnt(0)
	v_mul_f64 v[46:47], v[24:25], -v[38:39]
	v_mul_f64 v[24:25], v[24:25], v[32:33]
	v_fma_f64 v[13:14], v[26:27], v[1:2], v[13:14]
	v_fma_f64 v[15:16], v[42:43], v[1:2], v[3:4]
	;; [unrolled: 1-line block ×8, first 2 shown]
	ds_store_b128 v17, v[13:16]
	ds_store_b128 v17, v[1:4] offset:4096
	ds_store_b128 v17, v[5:8] offset:8192
	;; [unrolled: 1-line block ×3, first 2 shown]
.LBB109_85:
	s_or_b32 exec_lo, exec_lo, s0
	s_cmp_lt_i32 s11, 2
	s_mov_b32 s0, -1
	s_waitcnt vmcnt(0) lgkmcnt(0)
	s_waitcnt_vscnt null, 0x0
	s_barrier
	buffer_gl0_inv
	s_cbranch_scc0 .LBB109_96
; %bb.86:
	v_add_nc_u32_e32 v5, s24, v0
	s_mov_b32 s1, exec_lo
	s_delay_alu instid0(VALU_DEP_1)
	v_cmpx_gt_i32_e64 s25, v5
	s_cbranch_execz .LBB109_95
; %bb.87:
	v_cmp_neq_f64_e32 vcc_lo, 0, v[9:10]
	v_cmp_neq_f64_e64 s0, 0, v[11:12]
	s_lshl_b32 s4, s20, 4
	s_mov_b32 s2, 0
	s_sub_i32 s4, 0, s4
	s_delay_alu instid0(VALU_DEP_1)
	s_or_b32 s3, vcc_lo, s0
	s_branch .LBB109_89
.LBB109_88:                             ;   in Loop: Header=BB109_89 Depth=1
	s_or_b32 exec_lo, exec_lo, s0
	v_add_nc_u32_e32 v5, 0x100, v5
	s_delay_alu instid0(VALU_DEP_2) | instskip(NEXT) | instid1(VALU_DEP_1)
	v_add_co_u32 v6, s0, s22, v6
	v_add_co_ci_u32_e64 v7, s0, s23, v7, s0
	s_delay_alu instid0(VALU_DEP_3) | instskip(SKIP_2) | instid1(SALU_CYCLE_1)
	v_cmp_le_i32_e32 vcc_lo, s25, v5
	global_store_b128 v[6:7], v[1:4], off
	s_or_b32 s2, vcc_lo, s2
	s_and_not1_b32 exec_lo, exec_lo, s2
	s_cbranch_execz .LBB109_95
.LBB109_89:                             ; =>This Loop Header: Depth=1
                                        ;     Child Loop BB109_91 Depth 2
	v_ashrrev_i32_e32 v6, 31, v5
	v_mov_b32_e32 v3, 0
	v_mov_b32_e32 v4, 0
	s_mov_b32 s0, exec_lo
	s_delay_alu instid0(VALU_DEP_3) | instskip(NEXT) | instid1(VALU_DEP_1)
	v_lshlrev_b64 v[1:2], 2, v[5:6]
	v_add_co_u32 v1, vcc_lo, s12, v1
	s_delay_alu instid0(VALU_DEP_2)
	v_add_co_ci_u32_e32 v2, vcc_lo, s13, v2, vcc_lo
	global_load_b64 v[7:8], v[1:2], off
	v_dual_mov_b32 v1, v3 :: v_dual_mov_b32 v2, v4
	s_waitcnt vmcnt(0)
	v_cmpx_lt_i32_e64 v7, v8
	s_cbranch_execz .LBB109_93
; %bb.90:                               ;   in Loop: Header=BB109_89 Depth=1
	v_mov_b32_e32 v3, 0
	v_mov_b32_e32 v4, 0
	v_subrev_nc_u32_e32 v8, s20, v8
	v_subrev_nc_u32_e32 v13, s20, v7
	v_lshl_add_u32 v7, v7, 4, s4
	s_delay_alu instid0(VALU_DEP_4)
	v_dual_mov_b32 v1, v3 :: v_dual_mov_b32 v2, v4
	s_mov_b32 s5, 0
.LBB109_91:                             ;   Parent Loop BB109_89 Depth=1
                                        ; =>  This Inner Loop Header: Depth=2
	ds_load_b128 v[18:21], v7
	v_add_nc_u32_e32 v13, 1, v13
	v_add_nc_u32_e32 v7, 16, v7
	s_delay_alu instid0(VALU_DEP_2)
	v_cmp_ge_i32_e32 vcc_lo, v13, v8
	s_or_b32 s5, vcc_lo, s5
	s_waitcnt lgkmcnt(0)
	v_add_f64 v[1:2], v[1:2], v[18:19]
	v_add_f64 v[3:4], v[3:4], v[20:21]
	s_and_not1_b32 exec_lo, exec_lo, s5
	s_cbranch_execnz .LBB109_91
; %bb.92:                               ;   in Loop: Header=BB109_89 Depth=1
	s_or_b32 exec_lo, exec_lo, s5
.LBB109_93:                             ;   in Loop: Header=BB109_89 Depth=1
	s_delay_alu instid0(SALU_CYCLE_1)
	s_or_b32 exec_lo, exec_lo, s0
	v_lshlrev_b64 v[6:7], 4, v[5:6]
	s_and_saveexec_b32 s0, s3
	s_cbranch_execz .LBB109_88
; %bb.94:                               ;   in Loop: Header=BB109_89 Depth=1
	s_delay_alu instid0(VALU_DEP_1) | instskip(NEXT) | instid1(VALU_DEP_2)
	v_add_co_u32 v13, vcc_lo, s22, v6
	v_add_co_ci_u32_e32 v14, vcc_lo, s23, v7, vcc_lo
	global_load_b128 v[13:16], v[13:14], off
	s_waitcnt vmcnt(0)
	v_fma_f64 v[1:2], v[9:10], v[13:14], v[1:2]
	v_fma_f64 v[3:4], v[11:12], v[13:14], v[3:4]
	s_delay_alu instid0(VALU_DEP_2) | instskip(NEXT) | instid1(VALU_DEP_2)
	v_fma_f64 v[1:2], -v[11:12], v[15:16], v[1:2]
	v_fma_f64 v[3:4], v[9:10], v[15:16], v[3:4]
	s_branch .LBB109_88
.LBB109_95:
	s_or_b32 exec_lo, exec_lo, s1
	s_mov_b32 s0, 0
.LBB109_96:
	s_delay_alu instid0(SALU_CYCLE_1)
	s_and_not1_b32 vcc_lo, exec_lo, s0
	s_cbranch_vccnz .LBB109_121
; %bb.97:
	s_clz_i32_u32 s0, s11
	s_mov_b32 s1, exec_lo
	s_xor_b32 s0, s0, 31
	s_delay_alu instid0(SALU_CYCLE_1) | instskip(SKIP_1) | instid1(SALU_CYCLE_1)
	v_lshrrev_b32_e32 v7, s0, v0
	s_add_i32 s0, s11, -1
	v_dual_mov_b32 v1, 0 :: v_dual_and_b32 v6, s0, v0
	s_delay_alu instid0(VALU_DEP_2) | instskip(NEXT) | instid1(VALU_DEP_1)
	v_dual_mov_b32 v2, 0 :: v_dual_add_nc_u32 v5, s24, v7
	v_dual_mov_b32 v4, v2 :: v_dual_mov_b32 v3, v1
	s_delay_alu instid0(VALU_DEP_2)
	v_cmp_le_i32_e32 vcc_lo, s25, v5
	v_cmpx_gt_i32_e64 s25, v5
	s_cbranch_execz .LBB109_103
; %bb.98:
	v_dual_mov_b32 v3, 0 :: v_dual_lshlrev_b32 v0, 2, v7
	v_subrev_nc_u32_e32 v7, s20, v6
	s_mov_b32 s2, exec_lo
	global_load_b64 v[1:2], v0, s[26:27]
	s_waitcnt vmcnt(0)
	v_dual_mov_b32 v4, 0 :: v_dual_add_nc_u32 v7, v1, v7
	v_subrev_nc_u32_e32 v0, s20, v2
	s_delay_alu instid0(VALU_DEP_2) | instskip(NEXT) | instid1(VALU_DEP_2)
	v_dual_mov_b32 v1, v3 :: v_dual_mov_b32 v2, v4
	v_cmpx_lt_i32_e64 v7, v0
	s_cbranch_execz .LBB109_102
; %bb.99:
	v_dual_mov_b32 v3, 0 :: v_dual_lshlrev_b32 v8, 4, v7
	v_mov_b32_e32 v4, 0
	s_delay_alu instid0(VALU_DEP_2) | instskip(SKIP_2) | instid1(VALU_DEP_2)
	v_mov_b32_e32 v1, v3
	s_lshl_b32 s4, s11, 4
	s_mov_b32 s3, 0
	v_mov_b32_e32 v2, v4
.LBB109_100:                            ; =>This Inner Loop Header: Depth=1
	ds_load_b128 v[13:16], v8
	v_add_nc_u32_e32 v7, s11, v7
	v_add_nc_u32_e32 v8, s4, v8
	s_delay_alu instid0(VALU_DEP_2) | instskip(NEXT) | instid1(VALU_DEP_1)
	v_cmp_ge_i32_e64 s0, v7, v0
	s_or_b32 s3, s0, s3
	s_waitcnt lgkmcnt(0)
	v_add_f64 v[1:2], v[1:2], v[13:14]
	v_add_f64 v[3:4], v[3:4], v[15:16]
	s_and_not1_b32 exec_lo, exec_lo, s3
	s_cbranch_execnz .LBB109_100
; %bb.101:
	s_or_b32 exec_lo, exec_lo, s3
.LBB109_102:
	s_delay_alu instid0(SALU_CYCLE_1)
	s_or_b32 exec_lo, exec_lo, s2
.LBB109_103:
	s_delay_alu instid0(SALU_CYCLE_1)
	s_or_b32 exec_lo, exec_lo, s1
	s_cmpk_lt_i32 s11, 0x81
	s_waitcnt_vscnt null, 0x0
	s_barrier
	buffer_gl0_inv
	ds_store_b128 v17, v[1:4]
	s_waitcnt lgkmcnt(0)
	s_barrier
	buffer_gl0_inv
	s_cbranch_scc1 .LBB109_105
; %bb.104:
	ds_load_b128 v[13:16], v17 offset:2048
	s_waitcnt lgkmcnt(0)
	s_barrier
	buffer_gl0_inv
	v_add_f64 v[1:2], v[1:2], v[13:14]
	v_add_f64 v[3:4], v[3:4], v[15:16]
	ds_store_b128 v17, v[1:4]
.LBB109_105:
	s_cmpk_lt_i32 s11, 0x41
	s_waitcnt lgkmcnt(0)
	s_barrier
	buffer_gl0_inv
	s_cbranch_scc1 .LBB109_107
; %bb.106:
	ds_load_b128 v[13:16], v17 offset:1024
	s_waitcnt lgkmcnt(0)
	s_barrier
	buffer_gl0_inv
	v_add_f64 v[1:2], v[1:2], v[13:14]
	v_add_f64 v[3:4], v[3:4], v[15:16]
	ds_store_b128 v17, v[1:4]
.LBB109_107:
	s_cmp_lt_i32 s11, 33
	s_waitcnt lgkmcnt(0)
	s_barrier
	buffer_gl0_inv
	s_cbranch_scc1 .LBB109_109
; %bb.108:
	ds_load_b128 v[13:16], v17 offset:512
	s_waitcnt lgkmcnt(0)
	s_barrier
	buffer_gl0_inv
	v_add_f64 v[1:2], v[1:2], v[13:14]
	v_add_f64 v[3:4], v[3:4], v[15:16]
	ds_store_b128 v17, v[1:4]
.LBB109_109:
	s_cmp_lt_i32 s11, 17
	;; [unrolled: 14-line block ×4, first 2 shown]
	s_waitcnt lgkmcnt(0)
	s_barrier
	buffer_gl0_inv
	s_cbranch_scc1 .LBB109_115
; %bb.114:
	ds_load_b128 v[13:16], v17 offset:64
	s_waitcnt lgkmcnt(0)
	s_barrier
	buffer_gl0_inv
	v_add_f64 v[1:2], v[1:2], v[13:14]
	v_add_f64 v[3:4], v[3:4], v[15:16]
	ds_store_b128 v17, v[1:4]
.LBB109_115:
	s_cmp_eq_u32 s11, 2
	s_waitcnt lgkmcnt(0)
	s_barrier
	buffer_gl0_inv
	s_cbranch_scc1 .LBB109_117
; %bb.116:
	ds_load_b128 v[13:16], v17 offset:32
	s_waitcnt lgkmcnt(0)
	s_barrier
	buffer_gl0_inv
	v_add_f64 v[1:2], v[1:2], v[13:14]
	v_add_f64 v[3:4], v[3:4], v[15:16]
	ds_store_b128 v17, v[1:4]
.LBB109_117:
	s_waitcnt lgkmcnt(0)
	s_barrier
	buffer_gl0_inv
	ds_load_b128 v[13:16], v17 offset:16
	v_cmp_eq_u32_e64 s0, 0, v6
	s_xor_b32 s1, vcc_lo, -1
	s_waitcnt lgkmcnt(0)
	s_barrier
	buffer_gl0_inv
	s_and_b32 s0, s0, s1
	v_add_f64 v[0:1], v[1:2], v[13:14]
	v_add_f64 v[2:3], v[3:4], v[15:16]
	ds_store_b128 v17, v[0:3]
	s_and_b32 exec_lo, exec_lo, s0
	s_cbranch_execz .LBB109_121
; %bb.118:
	v_cmp_neq_f64_e32 vcc_lo, 0, v[9:10]
	v_cmp_neq_f64_e64 s0, 0, v[11:12]
	v_ashrrev_i32_e32 v6, 31, v5
	s_delay_alu instid0(VALU_DEP_1) | instskip(NEXT) | instid1(VALU_DEP_3)
	v_lshlrev_b64 v[4:5], 4, v[5:6]
	s_or_b32 s1, vcc_lo, s0
	s_delay_alu instid0(SALU_CYCLE_1)
	s_and_saveexec_b32 s0, s1
	s_cbranch_execz .LBB109_120
; %bb.119:
	s_delay_alu instid0(VALU_DEP_1) | instskip(NEXT) | instid1(VALU_DEP_2)
	v_add_co_u32 v6, vcc_lo, s22, v4
	v_add_co_ci_u32_e32 v7, vcc_lo, s23, v5, vcc_lo
	global_load_b128 v[13:16], v[6:7], off
	s_waitcnt vmcnt(0)
	v_fma_f64 v[0:1], v[9:10], v[13:14], v[0:1]
	v_fma_f64 v[2:3], v[11:12], v[13:14], v[2:3]
	s_delay_alu instid0(VALU_DEP_2) | instskip(NEXT) | instid1(VALU_DEP_2)
	v_fma_f64 v[0:1], -v[11:12], v[15:16], v[0:1]
	v_fma_f64 v[2:3], v[9:10], v[15:16], v[2:3]
.LBB109_120:
	s_or_b32 exec_lo, exec_lo, s0
	s_delay_alu instid0(VALU_DEP_1)
	v_add_co_u32 v4, vcc_lo, s22, v4
	v_add_co_ci_u32_e32 v5, vcc_lo, s23, v5, vcc_lo
	global_store_b128 v[4:5], v[0:3], off
.LBB109_121:
	s_endpgm
	.section	.rodata,"a",@progbits
	.p2align	6, 0x0
	.amdhsa_kernel _ZN9rocsparseL22csrmvn_adaptive_kernelIii21rocsparse_complex_numIfES1_IdES3_S3_EEvbT_PKS4_PjPKT0_NS_24const_host_device_scalarIT4_EES6_SA_PKT1_PKT2_SD_PT3_21rocsparse_index_base_b
		.amdhsa_group_segment_fixed_size 16384
		.amdhsa_private_segment_fixed_size 24
		.amdhsa_kernarg_size 112
		.amdhsa_user_sgpr_count 15
		.amdhsa_user_sgpr_dispatch_ptr 0
		.amdhsa_user_sgpr_queue_ptr 0
		.amdhsa_user_sgpr_kernarg_segment_ptr 1
		.amdhsa_user_sgpr_dispatch_id 0
		.amdhsa_user_sgpr_private_segment_size 0
		.amdhsa_wavefront_size32 1
		.amdhsa_uses_dynamic_stack 0
		.amdhsa_enable_private_segment 1
		.amdhsa_system_sgpr_workgroup_id_x 1
		.amdhsa_system_sgpr_workgroup_id_y 0
		.amdhsa_system_sgpr_workgroup_id_z 0
		.amdhsa_system_sgpr_workgroup_info 0
		.amdhsa_system_vgpr_workitem_id 0
		.amdhsa_next_free_vgpr 50
		.amdhsa_next_free_sgpr 47
		.amdhsa_reserve_vcc 1
		.amdhsa_float_round_mode_32 0
		.amdhsa_float_round_mode_16_64 0
		.amdhsa_float_denorm_mode_32 3
		.amdhsa_float_denorm_mode_16_64 3
		.amdhsa_dx10_clamp 1
		.amdhsa_ieee_mode 1
		.amdhsa_fp16_overflow 0
		.amdhsa_workgroup_processor_mode 1
		.amdhsa_memory_ordered 1
		.amdhsa_forward_progress 0
		.amdhsa_shared_vgpr_count 0
		.amdhsa_exception_fp_ieee_invalid_op 0
		.amdhsa_exception_fp_denorm_src 0
		.amdhsa_exception_fp_ieee_div_zero 0
		.amdhsa_exception_fp_ieee_overflow 0
		.amdhsa_exception_fp_ieee_underflow 0
		.amdhsa_exception_fp_ieee_inexact 0
		.amdhsa_exception_int_div_zero 0
	.end_amdhsa_kernel
	.section	.text._ZN9rocsparseL22csrmvn_adaptive_kernelIii21rocsparse_complex_numIfES1_IdES3_S3_EEvbT_PKS4_PjPKT0_NS_24const_host_device_scalarIT4_EES6_SA_PKT1_PKT2_SD_PT3_21rocsparse_index_base_b,"axG",@progbits,_ZN9rocsparseL22csrmvn_adaptive_kernelIii21rocsparse_complex_numIfES1_IdES3_S3_EEvbT_PKS4_PjPKT0_NS_24const_host_device_scalarIT4_EES6_SA_PKT1_PKT2_SD_PT3_21rocsparse_index_base_b,comdat
.Lfunc_end109:
	.size	_ZN9rocsparseL22csrmvn_adaptive_kernelIii21rocsparse_complex_numIfES1_IdES3_S3_EEvbT_PKS4_PjPKT0_NS_24const_host_device_scalarIT4_EES6_SA_PKT1_PKT2_SD_PT3_21rocsparse_index_base_b, .Lfunc_end109-_ZN9rocsparseL22csrmvn_adaptive_kernelIii21rocsparse_complex_numIfES1_IdES3_S3_EEvbT_PKS4_PjPKT0_NS_24const_host_device_scalarIT4_EES6_SA_PKT1_PKT2_SD_PT3_21rocsparse_index_base_b
                                        ; -- End function
	.section	.AMDGPU.csdata,"",@progbits
; Kernel info:
; codeLenInByte = 6056
; NumSgprs: 49
; NumVgprs: 50
; ScratchSize: 24
; MemoryBound: 0
; FloatMode: 240
; IeeeMode: 1
; LDSByteSize: 16384 bytes/workgroup (compile time only)
; SGPRBlocks: 6
; VGPRBlocks: 6
; NumSGPRsForWavesPerEU: 49
; NumVGPRsForWavesPerEU: 50
; Occupancy: 16
; WaveLimiterHint : 1
; COMPUTE_PGM_RSRC2:SCRATCH_EN: 1
; COMPUTE_PGM_RSRC2:USER_SGPR: 15
; COMPUTE_PGM_RSRC2:TRAP_HANDLER: 0
; COMPUTE_PGM_RSRC2:TGID_X_EN: 1
; COMPUTE_PGM_RSRC2:TGID_Y_EN: 0
; COMPUTE_PGM_RSRC2:TGID_Z_EN: 0
; COMPUTE_PGM_RSRC2:TIDIG_COMP_CNT: 0
	.section	.text._ZN9rocsparseL27csrmvn_symm_adaptive_kernelIii21rocsparse_complex_numIfES1_IdES3_S3_EEvbT_S4_PKS4_NS_24const_host_device_scalarIT4_EES6_PKT0_PKT1_PKT2_S9_PT3_21rocsparse_index_base_b,"axG",@progbits,_ZN9rocsparseL27csrmvn_symm_adaptive_kernelIii21rocsparse_complex_numIfES1_IdES3_S3_EEvbT_S4_PKS4_NS_24const_host_device_scalarIT4_EES6_PKT0_PKT1_PKT2_S9_PT3_21rocsparse_index_base_b,comdat
	.globl	_ZN9rocsparseL27csrmvn_symm_adaptive_kernelIii21rocsparse_complex_numIfES1_IdES3_S3_EEvbT_S4_PKS4_NS_24const_host_device_scalarIT4_EES6_PKT0_PKT1_PKT2_S9_PT3_21rocsparse_index_base_b ; -- Begin function _ZN9rocsparseL27csrmvn_symm_adaptive_kernelIii21rocsparse_complex_numIfES1_IdES3_S3_EEvbT_S4_PKS4_NS_24const_host_device_scalarIT4_EES6_PKT0_PKT1_PKT2_S9_PT3_21rocsparse_index_base_b
	.p2align	8
	.type	_ZN9rocsparseL27csrmvn_symm_adaptive_kernelIii21rocsparse_complex_numIfES1_IdES3_S3_EEvbT_S4_PKS4_NS_24const_host_device_scalarIT4_EES6_PKT0_PKT1_PKT2_S9_PT3_21rocsparse_index_base_b,@function
_ZN9rocsparseL27csrmvn_symm_adaptive_kernelIii21rocsparse_complex_numIfES1_IdES3_S3_EEvbT_S4_PKS4_NS_24const_host_device_scalarIT4_EES6_PKT0_PKT1_PKT2_S9_PT3_21rocsparse_index_base_b: ; @_ZN9rocsparseL27csrmvn_symm_adaptive_kernelIii21rocsparse_complex_numIfES1_IdES3_S3_EEvbT_S4_PKS4_NS_24const_host_device_scalarIT4_EES6_PKT0_PKT1_PKT2_S9_PT3_21rocsparse_index_base_b
; %bb.0:
	s_clause 0x2
	s_load_b64 s[24:25], s[0:1], 0x60
	s_load_b128 s[8:11], s[0:1], 0x18
	s_load_b128 s[4:7], s[0:1], 0x48
	s_mov_b64 s[2:3], src_private_base
	v_mov_b32_e32 v1, 0
	s_mov_b32 s12, s15
	s_waitcnt lgkmcnt(0)
	s_bitcmp1_b32 s25, 0
	v_dual_mov_b32 v3, s8 :: v_dual_mov_b32 v6, s5
	s_cselect_b32 s2, -1, 0
	v_mov_b32_e32 v4, s9
	s_and_b32 vcc_lo, s2, exec_lo
	s_cselect_b32 s13, s3, s9
	v_cndmask_b32_e64 v1, s8, v1, s2
	v_dual_mov_b32 v5, s4 :: v_dual_mov_b32 v2, s13
	s_clause 0x1
	scratch_store_b64 off, v[3:4], off
	scratch_store_b64 off, v[5:6], off offset:8
	v_dual_mov_b32 v14, s11 :: v_dual_mov_b32 v13, s10
	flat_load_b64 v[11:12], v[1:2]
	s_xor_b32 s10, s2, -1
	s_cbranch_vccnz .LBB110_2
; %bb.1:
	v_dual_mov_b32 v1, s8 :: v_dual_mov_b32 v2, s9
	flat_load_b64 v[13:14], v[1:2] offset:8
.LBB110_2:
	s_and_b32 s8, s2, exec_lo
	s_cselect_b32 s3, s3, s5
	s_delay_alu instid0(SALU_CYCLE_1) | instskip(SKIP_2) | instid1(VALU_DEP_2)
	v_dual_mov_b32 v1, 8 :: v_dual_mov_b32 v2, s3
	v_dual_mov_b32 v3, s6 :: v_dual_mov_b32 v4, s7
	s_and_not1_b32 vcc_lo, exec_lo, s10
	v_cndmask_b32_e64 v1, s4, v1, s2
	flat_load_b64 v[1:2], v[1:2]
	s_cbranch_vccnz .LBB110_4
; %bb.3:
	v_dual_mov_b32 v3, s4 :: v_dual_mov_b32 v4, s5
	flat_load_b64 v[3:4], v[3:4] offset:8
.LBB110_4:
	s_waitcnt vmcnt(1) lgkmcnt(1)
	v_cmp_eq_f64_e32 vcc_lo, 0, v[11:12]
	v_cmp_eq_f64_e64 s2, 0, v[13:14]
	s_delay_alu instid0(VALU_DEP_1)
	s_and_b32 s4, vcc_lo, s2
	s_mov_b32 s2, -1
	s_and_saveexec_b32 s3, s4
	s_cbranch_execz .LBB110_6
; %bb.5:
	s_waitcnt vmcnt(0) lgkmcnt(0)
	v_cmp_neq_f64_e32 vcc_lo, 1.0, v[1:2]
	v_cmp_neq_f64_e64 s2, 0, v[3:4]
	s_delay_alu instid0(VALU_DEP_1) | instskip(NEXT) | instid1(SALU_CYCLE_1)
	s_or_b32 s2, vcc_lo, s2
	s_or_not1_b32 s2, s2, exec_lo
.LBB110_6:
	s_or_b32 exec_lo, exec_lo, s3
	s_and_saveexec_b32 s3, s2
	s_cbranch_execz .LBB110_226
; %bb.7:
	s_clause 0x1
	s_load_b128 s[16:19], s[0:1], 0x0
	s_load_b64 s[2:3], s[0:1], 0x10
	s_mov_b32 s4, 0
	v_subrev_nc_u32_e32 v24, s24, v0
	s_mov_b32 s5, s4
	s_mov_b32 s6, s4
	;; [unrolled: 1-line block ×3, first 2 shown]
	s_waitcnt vmcnt(0) lgkmcnt(0)
	v_dual_mov_b32 v1, s4 :: v_dual_mov_b32 v4, s7
	v_dual_mov_b32 v2, s5 :: v_dual_lshlrev_b32 v23, 4, v0
	v_mov_b32_e32 v3, s6
	ds_store_b128 v23, v[1:4]
	ds_store_b128 v23, v[1:4] offset:4096
	ds_store_b128 v23, v[1:4] offset:8192
	;; [unrolled: 1-line block ×3, first 2 shown]
	s_waitcnt lgkmcnt(0)
	s_waitcnt_vscnt null, 0x0
	s_barrier
	s_bitcmp1_b32 s16, 0
	buffer_gl0_inv
	s_cselect_b32 s19, -1, 0
	s_ashr_i32 s13, s12, 31
	s_delay_alu instid0(SALU_CYCLE_1) | instskip(NEXT) | instid1(SALU_CYCLE_1)
	s_lshl_b64 s[4:5], s[12:13], 2
	s_add_u32 s2, s2, s4
	s_addc_u32 s3, s3, s5
	s_load_b64 s[22:23], s[2:3], 0x0
	s_clause 0x1
	s_load_b64 s[20:21], s[0:1], 0x58
	s_load_b256 s[8:15], s[0:1], 0x28
	s_mov_b32 s2, -1
	s_waitcnt lgkmcnt(0)
	s_sub_i32 s16, s23, s22
	s_delay_alu instid0(SALU_CYCLE_1)
	s_cmp_gt_i32 s16, 2
	s_cbranch_scc1 .LBB110_53
; %bb.8:
	s_cmp_gt_i32 s23, s22
	s_cbranch_scc1 .LBB110_10
; %bb.9:
	s_ashr_i32 s3, s22, 31
	s_mov_b32 s2, s22
	s_delay_alu instid0(SALU_CYCLE_1) | instskip(NEXT) | instid1(SALU_CYCLE_1)
	s_lshl_b64 s[2:3], s[2:3], 2
	s_add_u32 s2, s8, s2
	s_addc_u32 s3, s9, s3
	s_load_b32 s25, s[2:3], 0x0
	s_cbranch_execz .LBB110_11
	s_branch .LBB110_40
.LBB110_10:
                                        ; implicit-def: $sgpr25
	s_and_not1_b32 vcc_lo, exec_lo, s2
	s_cbranch_vccnz .LBB110_40
.LBB110_11:
	s_ashr_i32 s3, s22, 31
	s_mov_b32 s2, s22
	v_cmp_gt_u32_e32 vcc_lo, 0x100, v0
	s_lshl_b64 s[2:3], s[2:3], 2
	v_cmp_gt_u32_e64 s4, 4, v0
	s_add_u32 s2, s8, s2
	s_addc_u32 s3, s9, s3
	v_cmp_eq_u32_e64 s5, 0, v0
	s_waitcnt lgkmcnt(0)
	s_load_b32 s25, s[2:3], 0x0
	v_cmp_gt_u32_e64 s2, 64, v0
	v_cmp_gt_u32_e64 s3, 16, v0
	v_mov_b32_e32 v15, 0
	s_add_u32 s30, s8, 4
	s_addc_u32 s31, s9, 0
	s_add_u32 s33, s12, 4
	s_addc_u32 s34, s13, 0
	s_mov_b32 s26, s22
	s_waitcnt lgkmcnt(0)
	s_mov_b32 s35, s25
	s_branch .LBB110_13
.LBB110_12:                             ;   in Loop: Header=BB110_13 Depth=1
	s_or_b32 exec_lo, exec_lo, s7
	s_add_i32 s26, s26, 1
	s_delay_alu instid0(SALU_CYCLE_1)
	s_cmp_ge_i32 s26, s23
	s_cbranch_scc1 .LBB110_40
.LBB110_13:                             ; =>This Loop Header: Depth=1
                                        ;     Child Loop BB110_15 Depth 2
                                        ;     Child Loop BB110_29 Depth 2
	;; [unrolled: 1-line block ×5, first 2 shown]
	s_ashr_i32 s27, s26, 31
	s_mov_b32 s28, s35
	s_lshl_b64 s[6:7], s[26:27], 2
	v_mov_b32_e32 v3, 0
	s_add_u32 s6, s30, s6
	s_addc_u32 s7, s31, s7
	v_dual_mov_b32 v4, 0 :: v_dual_add_nc_u32 v5, s28, v24
	s_load_b32 s35, s[6:7], 0x0
	v_mov_b32_e32 v1, v3
	s_mov_b32 s28, exec_lo
	s_delay_alu instid0(VALU_DEP_2) | instskip(SKIP_2) | instid1(SALU_CYCLE_1)
	v_mov_b32_e32 v2, v4
	s_waitcnt lgkmcnt(0)
	s_sub_i32 s29, s35, s24
	v_cmpx_gt_i32_e64 s29, v5
	s_cbranch_execz .LBB110_17
; %bb.14:                               ;   in Loop: Header=BB110_13 Depth=1
	v_ashrrev_i32_e32 v6, 31, v5
	v_mov_b32_e32 v3, 0
	v_mov_b32_e32 v4, 0
	s_mov_b32 s36, 0
	s_delay_alu instid0(VALU_DEP_3) | instskip(SKIP_1) | instid1(VALU_DEP_2)
	v_lshlrev_b64 v[1:2], 2, v[5:6]
	v_lshlrev_b64 v[8:9], 3, v[5:6]
	v_add_co_u32 v6, s6, s10, v1
	s_delay_alu instid0(VALU_DEP_1) | instskip(NEXT) | instid1(VALU_DEP_3)
	v_add_co_ci_u32_e64 v7, s6, s11, v2, s6
	v_add_co_u32 v8, s6, s33, v8
	s_delay_alu instid0(VALU_DEP_1)
	v_add_co_ci_u32_e64 v9, s6, s34, v9, s6
	v_dual_mov_b32 v1, v3 :: v_dual_mov_b32 v2, v4
	s_set_inst_prefetch_distance 0x1
	.p2align	6
.LBB110_15:                             ;   Parent Loop BB110_13 Depth=1
                                        ; =>  This Inner Loop Header: Depth=2
	global_load_b32 v10, v[6:7], off
	global_load_b64 v[20:21], v[8:9], off offset:-4
	v_add_nc_u32_e32 v5, 0x100, v5
	v_add_co_u32 v8, s7, 0x800, v8
	s_delay_alu instid0(VALU_DEP_1)
	v_add_co_ci_u32_e64 v9, s7, 0, v9, s7
	s_waitcnt vmcnt(1)
	v_subrev_nc_u32_e32 v16, s24, v10
	s_waitcnt vmcnt(0)
	v_cndmask_b32_e64 v10, v21, -v21, s19
	v_cvt_f64_f32_e32 v[20:21], v20
	s_delay_alu instid0(VALU_DEP_3) | instskip(NEXT) | instid1(VALU_DEP_3)
	v_ashrrev_i32_e32 v17, 31, v16
	v_cvt_f64_f32_e32 v[25:26], v10
	s_delay_alu instid0(VALU_DEP_2) | instskip(NEXT) | instid1(VALU_DEP_1)
	v_lshlrev_b64 v[16:17], 4, v[16:17]
	v_add_co_u32 v16, s6, s14, v16
	s_delay_alu instid0(VALU_DEP_1) | instskip(SKIP_1) | instid1(VALU_DEP_1)
	v_add_co_ci_u32_e64 v17, s6, s15, v17, s6
	v_add_co_u32 v6, s6, 0x400, v6
	v_add_co_ci_u32_e64 v7, s6, 0, v7, s6
	global_load_b128 v[16:19], v[16:17], off
	v_cmp_le_i32_e64 s6, s29, v5
	s_delay_alu instid0(VALU_DEP_1) | instskip(SKIP_3) | instid1(VALU_DEP_2)
	s_or_b32 s36, s6, s36
	s_waitcnt vmcnt(0)
	v_fma_f64 v[1:2], v[20:21], v[16:17], v[1:2]
	v_fma_f64 v[3:4], v[25:26], v[16:17], v[3:4]
	v_fma_f64 v[1:2], -v[25:26], v[18:19], v[1:2]
	s_delay_alu instid0(VALU_DEP_2)
	v_fma_f64 v[3:4], v[20:21], v[18:19], v[3:4]
	s_and_not1_b32 exec_lo, exec_lo, s36
	s_cbranch_execnz .LBB110_15
; %bb.16:                               ;   in Loop: Header=BB110_13 Depth=1
	s_set_inst_prefetch_distance 0x2
	s_or_b32 exec_lo, exec_lo, s36
.LBB110_17:                             ;   in Loop: Header=BB110_13 Depth=1
	s_delay_alu instid0(SALU_CYCLE_1)
	s_or_b32 exec_lo, exec_lo, s28
	ds_store_b128 v23, v[1:4]
	s_waitcnt lgkmcnt(0)
	s_barrier
	buffer_gl0_inv
	s_and_saveexec_b32 s6, vcc_lo
	s_cbranch_execz .LBB110_19
; %bb.18:                               ;   in Loop: Header=BB110_13 Depth=1
	ds_load_b128 v[1:4], v23 offset:4096
	ds_load_b128 v[5:8], v23 offset:8192
	ds_load_b128 v[16:19], v23 offset:12288
	ds_load_b128 v[25:28], v23
	s_waitcnt lgkmcnt(2)
	v_add_f64 v[1:2], v[5:6], v[1:2]
	v_add_f64 v[3:4], v[7:8], v[3:4]
	s_waitcnt lgkmcnt(1)
	s_delay_alu instid0(VALU_DEP_2) | instskip(NEXT) | instid1(VALU_DEP_2)
	v_add_f64 v[1:2], v[1:2], v[16:17]
	v_add_f64 v[3:4], v[3:4], v[18:19]
	s_waitcnt lgkmcnt(0)
	s_delay_alu instid0(VALU_DEP_2) | instskip(NEXT) | instid1(VALU_DEP_2)
	v_add_f64 v[1:2], v[1:2], v[25:26]
	v_add_f64 v[3:4], v[3:4], v[27:28]
	ds_store_b128 v23, v[1:4]
.LBB110_19:                             ;   in Loop: Header=BB110_13 Depth=1
	s_or_b32 exec_lo, exec_lo, s6
	s_waitcnt lgkmcnt(0)
	s_barrier
	buffer_gl0_inv
	s_and_saveexec_b32 s6, s2
	s_cbranch_execz .LBB110_21
; %bb.20:                               ;   in Loop: Header=BB110_13 Depth=1
	ds_load_b128 v[1:4], v23 offset:1024
	ds_load_b128 v[5:8], v23 offset:2048
	ds_load_b128 v[16:19], v23 offset:3072
	ds_load_b128 v[25:28], v23
	s_waitcnt lgkmcnt(2)
	v_add_f64 v[1:2], v[5:6], v[1:2]
	v_add_f64 v[3:4], v[7:8], v[3:4]
	s_waitcnt lgkmcnt(1)
	s_delay_alu instid0(VALU_DEP_2) | instskip(NEXT) | instid1(VALU_DEP_2)
	v_add_f64 v[1:2], v[1:2], v[16:17]
	v_add_f64 v[3:4], v[3:4], v[18:19]
	s_waitcnt lgkmcnt(0)
	s_delay_alu instid0(VALU_DEP_2) | instskip(NEXT) | instid1(VALU_DEP_2)
	v_add_f64 v[1:2], v[1:2], v[25:26]
	v_add_f64 v[3:4], v[3:4], v[27:28]
	ds_store_b128 v23, v[1:4]
.LBB110_21:                             ;   in Loop: Header=BB110_13 Depth=1
	s_or_b32 exec_lo, exec_lo, s6
	s_waitcnt lgkmcnt(0)
	s_barrier
	buffer_gl0_inv
	s_and_saveexec_b32 s6, s3
	;; [unrolled: 24-line block ×5, first 2 shown]
	s_cbranch_execz .LBB110_12
; %bb.28:                               ;   in Loop: Header=BB110_13 Depth=1
	ds_load_b128 v[1:4], v15
	v_mov_b32_e32 v9, 0
	v_bfrev_b32_e32 v10, 1
	s_mov_b32 s6, exec_lo
	s_waitcnt lgkmcnt(0)
	v_mul_f64 v[5:6], v[3:4], -v[13:14]
	s_delay_alu instid0(VALU_DEP_1)
	v_fma_f64 v[5:6], v[11:12], v[1:2], v[5:6]
.LBB110_29:                             ;   Parent Loop BB110_13 Depth=1
                                        ; =>  This Inner Loop Header: Depth=2
	s_ctz_i32_b32 s36, s6
	s_delay_alu instid0(VALU_DEP_1) | instid1(SALU_CYCLE_1)
	v_readlane_b32 s29, v6, s36
	s_delay_alu instid0(VALU_DEP_2) | instskip(NEXT) | instid1(VALU_DEP_1)
	v_readlane_b32 s28, v5, s36
	v_add_f64 v[9:10], v[9:10], s[28:29]
	s_lshl_b32 s28, 1, s36
	s_delay_alu instid0(SALU_CYCLE_1) | instskip(NEXT) | instid1(SALU_CYCLE_1)
	s_and_not1_b32 s6, s6, s28
	s_cmp_lg_u32 s6, 0
	s_cbranch_scc1 .LBB110_29
; %bb.30:                               ;   in Loop: Header=BB110_13 Depth=1
	v_mbcnt_lo_u32_b32 v5, exec_lo, 0
	s_lshl_b64 s[28:29], s[26:27], 4
	s_mov_b32 s27, exec_lo
	s_add_u32 s28, s20, s28
	s_addc_u32 s29, s21, s29
	v_cmpx_eq_u32_e32 0, v5
	s_xor_b32 s27, exec_lo, s27
	s_cbranch_execz .LBB110_34
; %bb.31:                               ;   in Loop: Header=BB110_13 Depth=1
	global_load_b64 v[7:8], v15, s[28:29]
	s_mov_b32 s36, 0
.LBB110_32:                             ;   Parent Loop BB110_13 Depth=1
                                        ; =>  This Inner Loop Header: Depth=2
	s_waitcnt vmcnt(0)
	v_add_f64 v[5:6], v[7:8], v[9:10]
	global_atomic_cmpswap_b64 v[5:6], v15, v[5:8], s[28:29] glc
	s_waitcnt vmcnt(0)
	v_cmp_eq_u64_e64 s6, v[5:6], v[7:8]
	v_dual_mov_b32 v8, v6 :: v_dual_mov_b32 v7, v5
	s_delay_alu instid0(VALU_DEP_2) | instskip(NEXT) | instid1(SALU_CYCLE_1)
	s_or_b32 s36, s6, s36
	s_and_not1_b32 exec_lo, exec_lo, s36
	s_cbranch_execnz .LBB110_32
; %bb.33:                               ;   in Loop: Header=BB110_13 Depth=1
	s_or_b32 exec_lo, exec_lo, s36
.LBB110_34:                             ;   in Loop: Header=BB110_13 Depth=1
	s_delay_alu instid0(SALU_CYCLE_1) | instskip(SKIP_4) | instid1(VALU_DEP_3)
	s_or_b32 exec_lo, exec_lo, s27
	v_mul_f64 v[3:4], v[11:12], v[3:4]
	v_mov_b32_e32 v5, 0
	v_bfrev_b32_e32 v6, 1
	s_mov_b32 s6, exec_lo
	v_fma_f64 v[1:2], v[13:14], v[1:2], v[3:4]
.LBB110_35:                             ;   Parent Loop BB110_13 Depth=1
                                        ; =>  This Inner Loop Header: Depth=2
	s_ctz_i32_b32 s27, s6
	s_delay_alu instid0(VALU_DEP_1) | instid1(SALU_CYCLE_1)
	v_readlane_b32 s37, v2, s27
	s_delay_alu instid0(VALU_DEP_2) | instskip(SKIP_1) | instid1(SALU_CYCLE_1)
	v_readlane_b32 s36, v1, s27
	s_lshl_b32 s27, 1, s27
	s_and_not1_b32 s6, s6, s27
	s_delay_alu instid0(VALU_DEP_1)
	v_add_f64 v[5:6], v[5:6], s[36:37]
	s_cmp_lg_u32 s6, 0
	s_cbranch_scc1 .LBB110_35
; %bb.36:                               ;   in Loop: Header=BB110_13 Depth=1
	v_mbcnt_lo_u32_b32 v1, exec_lo, 0
	s_mov_b32 s27, exec_lo
	s_delay_alu instid0(VALU_DEP_1)
	v_cmpx_eq_u32_e32 0, v1
	s_xor_b32 s27, exec_lo, s27
	s_cbranch_execz .LBB110_12
; %bb.37:                               ;   in Loop: Header=BB110_13 Depth=1
	global_load_b64 v[3:4], v15, s[28:29] offset:8
	s_mov_b32 s27, 0
.LBB110_38:                             ;   Parent Loop BB110_13 Depth=1
                                        ; =>  This Inner Loop Header: Depth=2
	s_waitcnt vmcnt(0)
	v_add_f64 v[1:2], v[3:4], v[5:6]
	global_atomic_cmpswap_b64 v[1:2], v15, v[1:4], s[28:29] offset:8 glc
	s_waitcnt vmcnt(0)
	v_cmp_eq_u64_e64 s6, v[1:2], v[3:4]
	v_dual_mov_b32 v4, v2 :: v_dual_mov_b32 v3, v1
	s_delay_alu instid0(VALU_DEP_2) | instskip(NEXT) | instid1(SALU_CYCLE_1)
	s_or_b32 s27, s6, s27
	s_and_not1_b32 exec_lo, exec_lo, s27
	s_cbranch_execnz .LBB110_38
; %bb.39:                               ;   in Loop: Header=BB110_13 Depth=1
	s_or_b32 exec_lo, exec_lo, s27
	s_branch .LBB110_12
.LBB110_40:
	s_ashr_i32 s3, s23, 31
	s_mov_b32 s2, s23
	s_waitcnt lgkmcnt(0)
	v_add_nc_u32_e32 v9, s25, v24
	s_lshl_b64 s[2:3], s[2:3], 2
	s_mov_b32 s4, exec_lo
	s_add_u32 s2, s8, s2
	s_addc_u32 s3, s9, s3
	s_load_b32 s2, s[2:3], 0x0
	s_waitcnt lgkmcnt(0)
	s_sub_i32 s3, s2, s24
	s_delay_alu instid0(SALU_CYCLE_1)
	v_cmpx_gt_i32_e64 s3, v9
	s_cbranch_execz .LBB110_52
; %bb.41:
	s_add_i32 s5, s23, -1
	s_mov_b32 s7, 0
	s_cmp_gt_i32 s5, s22
	s_cselect_b32 s2, -1, 0
	s_add_i32 s6, s23, -2
	s_delay_alu instid0(SALU_CYCLE_1) | instskip(SKIP_1) | instid1(SALU_CYCLE_1)
	s_cmp_lg_u32 s6, s22
	s_cselect_b32 s6, -1, 0
	s_and_b32 s6, s2, s6
	s_branch .LBB110_43
.LBB110_42:                             ;   in Loop: Header=BB110_43 Depth=1
	s_or_b32 exec_lo, exec_lo, s2
	v_add_nc_u32_e32 v9, 0x100, v9
	s_delay_alu instid0(VALU_DEP_1) | instskip(SKIP_1) | instid1(SALU_CYCLE_1)
	v_cmp_le_i32_e32 vcc_lo, s3, v9
	s_or_b32 s7, vcc_lo, s7
	s_and_not1_b32 exec_lo, exec_lo, s7
	s_cbranch_execz .LBB110_52
.LBB110_43:                             ; =>This Loop Header: Depth=1
                                        ;     Child Loop BB110_45 Depth 2
                                        ;     Child Loop BB110_49 Depth 2
	;; [unrolled: 1-line block ×3, first 2 shown]
	v_mov_b32_e32 v3, s22
	v_mov_b32_e32 v1, s5
	s_and_not1_b32 vcc_lo, exec_lo, s6
	s_cbranch_vccnz .LBB110_47
; %bb.44:                               ;   in Loop: Header=BB110_43 Depth=1
	v_mov_b32_e32 v3, s22
	v_mov_b32_e32 v1, s5
	s_mov_b32 s25, 0
	.p2align	6
.LBB110_45:                             ;   Parent Loop BB110_43 Depth=1
                                        ; =>  This Inner Loop Header: Depth=2
	s_delay_alu instid0(VALU_DEP_1) | instskip(NEXT) | instid1(VALU_DEP_1)
	v_add_nc_u32_e32 v2, v1, v3
	v_lshrrev_b32_e32 v4, 31, v2
	s_delay_alu instid0(VALU_DEP_1) | instskip(NEXT) | instid1(VALU_DEP_1)
	v_add_nc_u32_e32 v2, v2, v4
	v_ashrrev_i32_e32 v4, 1, v2
	s_delay_alu instid0(VALU_DEP_1) | instskip(NEXT) | instid1(VALU_DEP_1)
	v_ashrrev_i32_e32 v5, 31, v4
	v_lshlrev_b64 v[5:6], 2, v[4:5]
	s_delay_alu instid0(VALU_DEP_1) | instskip(NEXT) | instid1(VALU_DEP_2)
	v_add_co_u32 v5, vcc_lo, s8, v5
	v_add_co_ci_u32_e32 v6, vcc_lo, s9, v6, vcc_lo
	global_load_b32 v2, v[5:6], off
	s_waitcnt vmcnt(0)
	v_subrev_nc_u32_e32 v2, s24, v2
	s_delay_alu instid0(VALU_DEP_1) | instskip(SKIP_2) | instid1(VALU_DEP_1)
	v_cmp_gt_i32_e32 vcc_lo, v2, v9
	v_cndmask_b32_e32 v3, v4, v3, vcc_lo
	v_cndmask_b32_e32 v1, v1, v4, vcc_lo
	v_add_nc_u32_e32 v2, -1, v1
	s_delay_alu instid0(VALU_DEP_3) | instskip(NEXT) | instid1(VALU_DEP_2)
	v_cmp_ge_i32_e32 vcc_lo, v3, v1
	v_cmp_eq_u32_e64 s2, v3, v2
	s_delay_alu instid0(VALU_DEP_1) | instskip(NEXT) | instid1(SALU_CYCLE_1)
	s_or_b32 s2, vcc_lo, s2
	s_and_b32 s2, exec_lo, s2
	s_delay_alu instid0(SALU_CYCLE_1) | instskip(NEXT) | instid1(SALU_CYCLE_1)
	s_or_b32 s25, s2, s25
	s_and_not1_b32 exec_lo, exec_lo, s25
	s_cbranch_execnz .LBB110_45
; %bb.46:                               ;   in Loop: Header=BB110_43 Depth=1
	s_or_b32 exec_lo, exec_lo, s25
.LBB110_47:                             ;   in Loop: Header=BB110_43 Depth=1
	s_delay_alu instid0(VALU_DEP_1) | instskip(SKIP_2) | instid1(VALU_DEP_2)
	v_ashrrev_i32_e32 v2, 31, v1
	v_ashrrev_i32_e32 v10, 31, v9
	s_mov_b32 s2, exec_lo
	v_lshlrev_b64 v[4:5], 2, v[1:2]
	s_delay_alu instid0(VALU_DEP_2) | instskip(NEXT) | instid1(VALU_DEP_2)
	v_lshlrev_b64 v[6:7], 2, v[9:10]
	v_add_co_u32 v4, vcc_lo, s8, v4
	s_delay_alu instid0(VALU_DEP_3)
	v_add_co_ci_u32_e32 v5, vcc_lo, s9, v5, vcc_lo
	global_load_b32 v2, v[4:5], off
	v_add_co_u32 v4, vcc_lo, s10, v6
	v_add_co_ci_u32_e32 v5, vcc_lo, s11, v7, vcc_lo
	global_load_b32 v4, v[4:5], off
	s_waitcnt vmcnt(1)
	v_subrev_nc_u32_e32 v2, s24, v2
	s_delay_alu instid0(VALU_DEP_1) | instskip(SKIP_3) | instid1(VALU_DEP_1)
	v_cmp_gt_i32_e32 vcc_lo, v2, v9
	s_waitcnt vmcnt(0)
	v_subrev_nc_u32_e32 v5, s24, v4
	v_cndmask_b32_e32 v1, v1, v3, vcc_lo
	v_cmpx_ne_u32_e64 v5, v1
	s_cbranch_execz .LBB110_42
; %bb.48:                               ;   in Loop: Header=BB110_43 Depth=1
	v_lshlrev_b64 v[2:3], 3, v[9:10]
	v_ashrrev_i32_e32 v6, 31, v5
	s_mov_b32 s25, 0
	s_delay_alu instid0(VALU_DEP_1) | instskip(NEXT) | instid1(VALU_DEP_3)
	v_lshlrev_b64 v[5:6], 4, v[5:6]
	v_add_co_u32 v2, vcc_lo, s12, v2
	s_delay_alu instid0(VALU_DEP_4) | instskip(SKIP_2) | instid1(VALU_DEP_1)
	v_add_co_ci_u32_e32 v3, vcc_lo, s13, v3, vcc_lo
	global_load_b64 v[17:18], v[2:3], off
	v_ashrrev_i32_e32 v2, 31, v1
	v_lshlrev_b64 v[1:2], 4, v[1:2]
	s_delay_alu instid0(VALU_DEP_1) | instskip(NEXT) | instid1(VALU_DEP_2)
	v_add_co_u32 v1, vcc_lo, s14, v1
	v_add_co_ci_u32_e32 v2, vcc_lo, s15, v2, vcc_lo
	v_add_co_u32 v15, vcc_lo, s20, v5
	v_add_co_ci_u32_e32 v16, vcc_lo, s21, v6, vcc_lo
	global_load_b128 v[1:4], v[1:2], off
	global_load_b64 v[7:8], v[15:16], off
	s_waitcnt vmcnt(2)
	v_cndmask_b32_e64 v5, v18, -v18, s19
	v_cvt_f64_f32_e32 v[19:20], v17
	s_delay_alu instid0(VALU_DEP_2) | instskip(NEXT) | instid1(VALU_DEP_1)
	v_cvt_f64_f32_e32 v[5:6], v5
	v_mul_f64 v[17:18], v[11:12], v[5:6]
	v_mul_f64 v[5:6], -v[13:14], v[5:6]
	s_delay_alu instid0(VALU_DEP_2) | instskip(NEXT) | instid1(VALU_DEP_2)
	v_fma_f64 v[17:18], v[13:14], v[19:20], v[17:18]
	v_fma_f64 v[19:20], v[11:12], v[19:20], v[5:6]
	s_waitcnt vmcnt(1)
	s_delay_alu instid0(VALU_DEP_2) | instskip(NEXT) | instid1(VALU_DEP_1)
	v_mul_f64 v[5:6], v[3:4], -v[17:18]
	v_fma_f64 v[21:22], v[19:20], v[1:2], v[5:6]
.LBB110_49:                             ;   Parent Loop BB110_43 Depth=1
                                        ; =>  This Inner Loop Header: Depth=2
	s_waitcnt vmcnt(0)
	s_delay_alu instid0(VALU_DEP_1)
	v_add_f64 v[5:6], v[7:8], v[21:22]
	global_atomic_cmpswap_b64 v[5:6], v[15:16], v[5:8], off glc
	s_waitcnt vmcnt(0)
	v_cmp_eq_u64_e32 vcc_lo, v[5:6], v[7:8]
	v_dual_mov_b32 v8, v6 :: v_dual_mov_b32 v7, v5
	s_or_b32 s25, vcc_lo, s25
	s_delay_alu instid0(SALU_CYCLE_1)
	s_and_not1_b32 exec_lo, exec_lo, s25
	s_cbranch_execnz .LBB110_49
; %bb.50:                               ;   in Loop: Header=BB110_43 Depth=1
	s_or_b32 exec_lo, exec_lo, s25
	global_load_b64 v[5:6], v[15:16], off offset:8
	v_mul_f64 v[3:4], v[3:4], v[19:20]
	s_mov_b32 s25, 0
	s_delay_alu instid0(VALU_DEP_1)
	v_fma_f64 v[1:2], v[17:18], v[1:2], v[3:4]
.LBB110_51:                             ;   Parent Loop BB110_43 Depth=1
                                        ; =>  This Inner Loop Header: Depth=2
	s_waitcnt vmcnt(0)
	s_delay_alu instid0(VALU_DEP_1)
	v_add_f64 v[3:4], v[5:6], v[1:2]
	global_atomic_cmpswap_b64 v[3:4], v[15:16], v[3:6], off offset:8 glc
	s_waitcnt vmcnt(0)
	v_cmp_eq_u64_e32 vcc_lo, v[3:4], v[5:6]
	v_dual_mov_b32 v6, v4 :: v_dual_mov_b32 v5, v3
	s_or_b32 s25, vcc_lo, s25
	s_delay_alu instid0(SALU_CYCLE_1)
	s_and_not1_b32 exec_lo, exec_lo, s25
	s_cbranch_execnz .LBB110_51
	s_branch .LBB110_42
.LBB110_52:
	s_or_b32 exec_lo, exec_lo, s4
	s_mov_b32 s2, 0
.LBB110_53:
	s_delay_alu instid0(SALU_CYCLE_1)
	s_and_b32 vcc_lo, exec_lo, s2
	s_cbranch_vccz .LBB110_226
; %bb.54:
	s_ashr_i32 s3, s22, 31
	s_mov_b32 s2, s22
	s_sub_i32 s4, 0, s16
	s_lshl_b64 s[2:3], s[2:3], 2
	v_cvt_f32_u32_e32 v1, s16
	s_add_u32 s2, s8, s2
	s_addc_u32 s3, s9, s3
	s_load_b32 s1, s[0:1], 0x74
	s_load_b32 s6, s[2:3], 0x0
	v_rcp_iflag_f32_e32 v1, v1
	s_waitcnt_depctr 0xfff
	v_mul_f32_e32 v1, 0x4f7ffffe, v1
	s_delay_alu instid0(VALU_DEP_1) | instskip(SKIP_2) | instid1(VALU_DEP_2)
	v_cvt_u32_f32_e32 v1, v1
	s_waitcnt lgkmcnt(0)
	v_add_nc_u32_e32 v9, s6, v24
	v_readfirstlane_b32 s5, v1
	s_delay_alu instid0(VALU_DEP_2) | instskip(NEXT) | instid1(VALU_DEP_2)
	v_add_nc_u32_e32 v20, 0x300, v9
	s_mul_i32 s4, s4, s5
	s_delay_alu instid0(SALU_CYCLE_1) | instskip(NEXT) | instid1(VALU_DEP_1)
	s_mul_hi_u32 s7, s5, s4
	v_cmp_le_i32_e32 vcc_lo, s17, v20
	s_and_saveexec_b32 s0, vcc_lo
	s_delay_alu instid0(SALU_CYCLE_1)
	s_xor_b32 s4, exec_lo, s0
	s_cbranch_execz .LBB110_59
; %bb.55:
	s_ashr_i32 s27, s23, 31
	s_mov_b32 s26, s23
	s_mov_b32 s25, exec_lo
	s_lshl_b64 s[26:27], s[26:27], 2
	s_delay_alu instid0(SALU_CYCLE_1) | instskip(SKIP_4) | instid1(SALU_CYCLE_1)
	s_add_u32 s26, s8, s26
	s_addc_u32 s27, s9, s27
	s_load_b32 s0, s[26:27], 0x0
	s_waitcnt lgkmcnt(0)
	s_sub_i32 s17, s0, s6
	v_cmpx_gt_i32_e64 s17, v0
	s_cbranch_execz .LBB110_58
; %bb.56:
	v_dual_mov_b32 v1, v0 :: v_dual_mov_b32 v2, v23
	s_sub_i32 s26, s6, s24
	s_mov_b32 s27, 0
	s_set_inst_prefetch_distance 0x1
	.p2align	6
.LBB110_57:                             ; =>This Inner Loop Header: Depth=1
	s_delay_alu instid0(VALU_DEP_1) | instskip(SKIP_1) | instid1(VALU_DEP_2)
	v_add_nc_u32_e32 v3, s26, v1
	v_add_nc_u32_e32 v1, 0x100, v1
	v_ashrrev_i32_e32 v4, 31, v3
	s_delay_alu instid0(VALU_DEP_1) | instskip(NEXT) | instid1(VALU_DEP_1)
	v_lshlrev_b64 v[3:4], 3, v[3:4]
	v_add_co_u32 v3, s0, s12, v3
	s_delay_alu instid0(VALU_DEP_1)
	v_add_co_ci_u32_e64 v4, s0, s13, v4, s0
	v_cmp_le_i32_e64 s0, s17, v1
	global_load_b64 v[3:4], v[3:4], off
	s_or_b32 s27, s0, s27
	s_waitcnt vmcnt(0)
	v_cndmask_b32_e64 v4, v4, -v4, s19
	v_cvt_f64_f32_e32 v[6:7], v3
	s_delay_alu instid0(VALU_DEP_2) | instskip(NEXT) | instid1(VALU_DEP_1)
	v_cvt_f64_f32_e32 v[4:5], v4
	v_mul_f64 v[15:16], -v[13:14], v[4:5]
	v_mul_f64 v[17:18], v[11:12], v[4:5]
	s_delay_alu instid0(VALU_DEP_2) | instskip(NEXT) | instid1(VALU_DEP_2)
	v_fma_f64 v[3:4], v[11:12], v[6:7], v[15:16]
	v_fma_f64 v[5:6], v[13:14], v[6:7], v[17:18]
	ds_store_b128 v2, v[3:6]
	v_add_nc_u32_e32 v2, 0x1000, v2
	s_and_not1_b32 exec_lo, exec_lo, s27
	s_cbranch_execnz .LBB110_57
.LBB110_58:
	s_set_inst_prefetch_distance 0x2
	s_or_b32 exec_lo, exec_lo, s25
                                        ; implicit-def: $vgpr13_vgpr14
                                        ; implicit-def: $vgpr11_vgpr12
.LBB110_59:
	s_or_saveexec_b32 s4, s4
	v_ashrrev_i32_e32 v10, 31, v9
	s_and_b32 s1, s1, 0xffff
	s_add_i32 s5, s5, s7
	s_xor_b32 exec_lo, exec_lo, s4
	s_cbranch_execz .LBB110_61
; %bb.60:
	v_lshlrev_b64 v[1:2], 3, v[9:10]
	s_delay_alu instid0(VALU_DEP_1) | instskip(NEXT) | instid1(VALU_DEP_1)
	v_add_co_u32 v1, s0, s12, v1
	v_add_co_ci_u32_e64 v2, s0, s13, v2, s0
	s_delay_alu instid0(VALU_DEP_2) | instskip(NEXT) | instid1(VALU_DEP_1)
	v_add_co_u32 v3, s0, 0x1000, v1
	v_add_co_ci_u32_e64 v4, s0, 0, v2, s0
	s_clause 0x3
	global_load_b64 v[5:6], v[1:2], off
	global_load_b64 v[1:2], v[1:2], off offset:2048
	global_load_b64 v[7:8], v[3:4], off
	global_load_b64 v[3:4], v[3:4], off offset:2048
	s_waitcnt vmcnt(3)
	v_cndmask_b32_e64 v6, v6, -v6, s19
	s_waitcnt vmcnt(2)
	v_cndmask_b32_e64 v2, v2, -v2, s19
	;; [unrolled: 2-line block ×4, first 2 shown]
	v_cvt_f64_f32_e32 v[26:27], v1
	v_cvt_f64_f32_e32 v[15:16], v6
	;; [unrolled: 1-line block ×8, first 2 shown]
	v_mul_f64 v[1:2], -v[13:14], v[15:16]
	v_mul_f64 v[6:7], v[11:12], v[15:16]
	v_mul_f64 v[15:16], -v[13:14], v[17:18]
	v_mul_f64 v[17:18], v[11:12], v[17:18]
	v_mul_f64 v[32:33], -v[13:14], v[21:22]
	v_mul_f64 v[21:22], v[11:12], v[21:22]
	v_mul_f64 v[34:35], -v[13:14], v[24:25]
	v_mul_f64 v[24:25], v[11:12], v[24:25]
	v_fma_f64 v[1:2], v[11:12], v[4:5], v[1:2]
	v_fma_f64 v[3:4], v[13:14], v[4:5], v[6:7]
	;; [unrolled: 1-line block ×8, first 2 shown]
	ds_store_b128 v23, v[1:4]
	ds_store_b128 v23, v[5:8] offset:4096
	ds_store_b128 v23, v[15:18] offset:8192
	;; [unrolled: 1-line block ×3, first 2 shown]
.LBB110_61:
	s_or_b32 exec_lo, exec_lo, s4
	s_mul_hi_u32 s7, s1, s5
	s_mov_b32 s12, exec_lo
	v_cmpx_gt_i32_e64 s18, v0
	s_cbranch_execz .LBB110_64
; %bb.62:
	s_mov_b32 s4, 0
	v_lshl_add_u32 v5, v0, 4, 0x4000
	s_mov_b32 s5, s4
	s_mov_b32 s26, s4
	;; [unrolled: 1-line block ×3, first 2 shown]
	v_dual_mov_b32 v1, s4 :: v_dual_mov_b32 v2, s5
	v_dual_mov_b32 v3, s26 :: v_dual_mov_b32 v4, s27
	v_mov_b32_e32 v6, v0
.LBB110_63:                             ; =>This Inner Loop Header: Depth=1
	s_delay_alu instid0(VALU_DEP_1) | instskip(SKIP_3) | instid1(VALU_DEP_1)
	v_add_nc_u32_e32 v6, 0x100, v6
	ds_store_2addr_b64 v5, v[1:2], v[3:4] offset1:1
	v_add_nc_u32_e32 v5, 0x1000, v5
	v_cmp_le_i32_e64 s0, s18, v6
	s_or_b32 s4, s0, s4
	s_delay_alu instid0(SALU_CYCLE_1)
	s_and_not1_b32 exec_lo, exec_lo, s4
	s_cbranch_execnz .LBB110_63
.LBB110_64:
	s_or_b32 exec_lo, exec_lo, s12
	s_sub_i32 s0, s23, s18
	s_cmp_ge_i32 s23, s18
	s_waitcnt lgkmcnt(0)
	s_cselect_b32 s12, s0, 0
	s_barrier
	buffer_gl0_inv
	s_and_saveexec_b32 s0, vcc_lo
	s_delay_alu instid0(SALU_CYCLE_1)
	s_xor_b32 s4, exec_lo, s0
	s_cbranch_execz .LBB110_89
; %bb.65:
	s_ashr_i32 s27, s23, 31
	s_mov_b32 s26, s23
	s_mov_b32 s13, exec_lo
	s_lshl_b64 s[26:27], s[26:27], 2
	s_delay_alu instid0(SALU_CYCLE_1) | instskip(SKIP_4) | instid1(SALU_CYCLE_1)
	s_add_u32 s26, s8, s26
	s_addc_u32 s27, s9, s27
	s_load_b32 s0, s[26:27], 0x0
	s_waitcnt lgkmcnt(0)
	s_sub_i32 s5, s0, s6
	v_cmpx_gt_i32_e64 s5, v0
	s_cbranch_execz .LBB110_88
; %bb.66:
	s_add_i32 s17, s23, -1
	s_mov_b32 s26, 0
	s_cmp_gt_i32 s17, s22
	s_mov_b32 s27, 0
	s_cselect_b32 s19, -1, 0
	s_add_i32 s25, s23, -2
	s_delay_alu instid0(SALU_CYCLE_1) | instskip(SKIP_1) | instid1(SALU_CYCLE_1)
	s_cmp_lg_u32 s25, s22
	s_cselect_b32 s25, -1, 0
	s_and_b32 s19, s19, s25
	s_sub_i32 s25, s0, s24
	s_branch .LBB110_69
.LBB110_67:                             ;   in Loop: Header=BB110_69 Depth=1
	s_or_b32 exec_lo, exec_lo, s0
.LBB110_68:                             ;   in Loop: Header=BB110_69 Depth=1
	s_delay_alu instid0(SALU_CYCLE_1) | instskip(SKIP_2) | instid1(VALU_DEP_1)
	s_or_b32 exec_lo, exec_lo, s28
	v_ashrrev_i32_e32 v11, 31, v10
	s_addk_i32 s27, 0x100
	v_lshlrev_b64 v[5:6], 4, v[10:11]
	s_delay_alu instid0(VALU_DEP_1) | instskip(NEXT) | instid1(VALU_DEP_2)
	v_add_co_u32 v5, vcc_lo, s14, v5
	v_add_co_ci_u32_e32 v6, vcc_lo, s15, v6, vcc_lo
	global_load_b128 v[5:8], v[5:6], off
	s_waitcnt vmcnt(0)
	v_mul_f64 v[10:11], v[7:8], v[12:13]
	v_mul_f64 v[7:8], v[7:8], v[1:2]
	s_delay_alu instid0(VALU_DEP_2) | instskip(NEXT) | instid1(VALU_DEP_2)
	v_fma_f64 v[1:2], v[1:2], v[5:6], v[10:11]
	v_fma_f64 v[3:4], v[3:4], v[5:6], v[7:8]
	v_add_nc_u32_e32 v5, s27, v0
	s_delay_alu instid0(VALU_DEP_1)
	v_cmp_le_i32_e32 vcc_lo, s5, v5
	s_or_b32 s26, vcc_lo, s26
	ds_store_b128 v20, v[1:4]
	s_and_not1_b32 exec_lo, exec_lo, s26
	s_cbranch_execz .LBB110_88
.LBB110_69:                             ; =>This Loop Header: Depth=1
                                        ;     Child Loop BB110_71 Depth 2
                                        ;     Child Loop BB110_78 Depth 2
	;; [unrolled: 1-line block ×5, first 2 shown]
	v_add_nc_u32_e32 v1, s27, v9
	v_mov_b32_e32 v5, s22
	v_mov_b32_e32 v3, s17
	s_and_not1_b32 vcc_lo, exec_lo, s19
	s_cbranch_vccnz .LBB110_73
; %bb.70:                               ;   in Loop: Header=BB110_69 Depth=1
	v_mov_b32_e32 v5, s22
	v_mov_b32_e32 v3, s17
	s_mov_b32 s28, 0
	.p2align	6
.LBB110_71:                             ;   Parent Loop BB110_69 Depth=1
                                        ; =>  This Inner Loop Header: Depth=2
	s_delay_alu instid0(VALU_DEP_1) | instskip(NEXT) | instid1(VALU_DEP_1)
	v_add_nc_u32_e32 v2, v3, v5
	v_lshrrev_b32_e32 v4, 31, v2
	s_delay_alu instid0(VALU_DEP_1) | instskip(NEXT) | instid1(VALU_DEP_1)
	v_add_nc_u32_e32 v2, v2, v4
	v_ashrrev_i32_e32 v6, 1, v2
	s_delay_alu instid0(VALU_DEP_1) | instskip(NEXT) | instid1(VALU_DEP_1)
	v_ashrrev_i32_e32 v7, 31, v6
	v_lshlrev_b64 v[7:8], 2, v[6:7]
	s_delay_alu instid0(VALU_DEP_1) | instskip(NEXT) | instid1(VALU_DEP_2)
	v_add_co_u32 v7, vcc_lo, s8, v7
	v_add_co_ci_u32_e32 v8, vcc_lo, s9, v8, vcc_lo
	global_load_b32 v2, v[7:8], off
	s_waitcnt vmcnt(0)
	v_subrev_nc_u32_e32 v2, s24, v2
	s_delay_alu instid0(VALU_DEP_1) | instskip(SKIP_1) | instid1(VALU_DEP_1)
	v_cmp_gt_i32_e32 vcc_lo, v2, v1
	v_cndmask_b32_e32 v3, v3, v6, vcc_lo
	v_dual_cndmask_b32 v5, v6, v5 :: v_dual_add_nc_u32 v2, -1, v3
	s_delay_alu instid0(VALU_DEP_1) | instskip(NEXT) | instid1(VALU_DEP_2)
	v_cmp_ge_i32_e32 vcc_lo, v5, v3
	v_cmp_eq_u32_e64 s0, v5, v2
	s_delay_alu instid0(VALU_DEP_1) | instskip(NEXT) | instid1(SALU_CYCLE_1)
	s_or_b32 s0, vcc_lo, s0
	s_and_b32 s0, exec_lo, s0
	s_delay_alu instid0(SALU_CYCLE_1) | instskip(NEXT) | instid1(SALU_CYCLE_1)
	s_or_b32 s28, s0, s28
	s_and_not1_b32 exec_lo, exec_lo, s28
	s_cbranch_execnz .LBB110_71
; %bb.72:                               ;   in Loop: Header=BB110_69 Depth=1
	s_or_b32 exec_lo, exec_lo, s28
.LBB110_73:                             ;   in Loop: Header=BB110_69 Depth=1
	s_delay_alu instid0(VALU_DEP_1) | instskip(SKIP_3) | instid1(VALU_DEP_4)
	v_ashrrev_i32_e32 v4, 31, v3
	v_ashrrev_i32_e32 v2, 31, v1
	v_cmp_le_i32_e64 s0, s25, v1
	v_lshl_add_u32 v20, s27, 4, v23
                                        ; implicit-def: $vgpr12_vgpr13
	v_lshlrev_b64 v[6:7], 2, v[3:4]
	s_delay_alu instid0(VALU_DEP_4) | instskip(NEXT) | instid1(VALU_DEP_2)
	v_lshlrev_b64 v[10:11], 2, v[1:2]
	v_add_co_u32 v6, vcc_lo, s8, v6
	s_delay_alu instid0(VALU_DEP_3) | instskip(NEXT) | instid1(VALU_DEP_3)
	v_add_co_ci_u32_e32 v7, vcc_lo, s9, v7, vcc_lo
	v_add_co_u32 v10, vcc_lo, s10, v10
	s_delay_alu instid0(VALU_DEP_4)
	v_add_co_ci_u32_e32 v11, vcc_lo, s11, v11, vcc_lo
	global_load_b32 v2, v[6:7], off
	global_load_b32 v4, v[10:11], off
	s_waitcnt vmcnt(1)
	v_subrev_nc_u32_e32 v2, s24, v2
	s_waitcnt vmcnt(0)
	v_subrev_nc_u32_e32 v10, s24, v4
	s_delay_alu instid0(VALU_DEP_2) | instskip(SKIP_1) | instid1(VALU_DEP_1)
	v_cmp_gt_i32_e32 vcc_lo, v2, v1
                                        ; implicit-def: $vgpr1_vgpr2
	v_cndmask_b32_e32 v5, v3, v5, vcc_lo
	v_cmp_eq_u32_e32 vcc_lo, v10, v5
	s_or_b32 s0, vcc_lo, s0
	s_delay_alu instid0(SALU_CYCLE_1) | instskip(NEXT) | instid1(SALU_CYCLE_1)
	s_and_saveexec_b32 s28, s0
	s_xor_b32 s0, exec_lo, s28
	s_cbranch_execz .LBB110_75
; %bb.74:                               ;   in Loop: Header=BB110_69 Depth=1
	ds_load_b128 v[1:4], v20
                                        ; implicit-def: $vgpr5
	s_waitcnt lgkmcnt(0)
	v_xor_b32_e32 v13, 0x80000000, v4
	v_mov_b32_e32 v12, v3
.LBB110_75:                             ;   in Loop: Header=BB110_69 Depth=1
	s_and_not1_saveexec_b32 s28, s0
	s_cbranch_execz .LBB110_68
; %bb.76:                               ;   in Loop: Header=BB110_69 Depth=1
	v_ashrrev_i32_e32 v6, 31, v5
	v_cmp_le_i32_e64 s0, s23, v10
	s_delay_alu instid0(VALU_DEP_2) | instskip(NEXT) | instid1(VALU_DEP_1)
	v_lshlrev_b64 v[1:2], 4, v[5:6]
	v_add_co_u32 v1, vcc_lo, s14, v1
	s_delay_alu instid0(VALU_DEP_2)
	v_add_co_ci_u32_e32 v2, vcc_lo, s15, v2, vcc_lo
	v_cmp_gt_i32_e32 vcc_lo, s12, v10
	global_load_b128 v[5:8], v[1:2], off
	ds_load_b128 v[1:4], v20
	s_or_b32 s0, vcc_lo, s0
	s_waitcnt lgkmcnt(0)
	v_xor_b32_e32 v13, 0x80000000, v4
	s_waitcnt vmcnt(0)
	v_mul_f64 v[11:12], v[7:8], -v[3:4]
	v_mul_f64 v[7:8], v[7:8], v[1:2]
	s_delay_alu instid0(VALU_DEP_2) | instskip(NEXT) | instid1(VALU_DEP_2)
	v_fma_f64 v[16:17], v[1:2], v[5:6], v[11:12]
	v_fma_f64 v[14:15], v[3:4], v[5:6], v[7:8]
	v_mov_b32_e32 v12, v3
	s_and_saveexec_b32 s29, s0
	s_delay_alu instid0(SALU_CYCLE_1)
	s_xor_b32 s0, exec_lo, s29
	s_cbranch_execz .LBB110_82
; %bb.77:                               ;   in Loop: Header=BB110_69 Depth=1
	v_ashrrev_i32_e32 v11, 31, v10
	s_mov_b32 s29, 0
	s_delay_alu instid0(VALU_DEP_1) | instskip(NEXT) | instid1(VALU_DEP_1)
	v_lshlrev_b64 v[5:6], 4, v[10:11]
	v_add_co_u32 v18, vcc_lo, s20, v5
	s_delay_alu instid0(VALU_DEP_2)
	v_add_co_ci_u32_e32 v19, vcc_lo, s21, v6, vcc_lo
	global_load_b64 v[7:8], v[18:19], off
.LBB110_78:                             ;   Parent Loop BB110_69 Depth=1
                                        ; =>  This Inner Loop Header: Depth=2
	s_waitcnt vmcnt(0)
	v_add_f64 v[5:6], v[7:8], v[16:17]
	global_atomic_cmpswap_b64 v[5:6], v[18:19], v[5:8], off glc
	s_waitcnt vmcnt(0)
	v_cmp_eq_u64_e32 vcc_lo, v[5:6], v[7:8]
	v_dual_mov_b32 v8, v6 :: v_dual_mov_b32 v7, v5
	s_or_b32 s29, vcc_lo, s29
	s_delay_alu instid0(SALU_CYCLE_1)
	s_and_not1_b32 exec_lo, exec_lo, s29
	s_cbranch_execnz .LBB110_78
; %bb.79:                               ;   in Loop: Header=BB110_69 Depth=1
	s_or_b32 exec_lo, exec_lo, s29
	global_load_b64 v[7:8], v[18:19], off offset:8
	s_mov_b32 s29, 0
.LBB110_80:                             ;   Parent Loop BB110_69 Depth=1
                                        ; =>  This Inner Loop Header: Depth=2
	s_waitcnt vmcnt(0)
	v_add_f64 v[5:6], v[7:8], v[14:15]
	global_atomic_cmpswap_b64 v[5:6], v[18:19], v[5:8], off offset:8 glc
	s_waitcnt vmcnt(0)
	v_cmp_eq_u64_e32 vcc_lo, v[5:6], v[7:8]
	v_dual_mov_b32 v8, v6 :: v_dual_mov_b32 v7, v5
	s_or_b32 s29, vcc_lo, s29
	s_delay_alu instid0(SALU_CYCLE_1)
	s_and_not1_b32 exec_lo, exec_lo, s29
	s_cbranch_execnz .LBB110_80
; %bb.81:                               ;   in Loop: Header=BB110_69 Depth=1
	s_or_b32 exec_lo, exec_lo, s29
                                        ; implicit-def: $vgpr14_vgpr15
                                        ; implicit-def: $vgpr16_vgpr17
.LBB110_82:                             ;   in Loop: Header=BB110_69 Depth=1
	s_and_not1_saveexec_b32 s0, s0
	s_cbranch_execz .LBB110_67
; %bb.83:                               ;   in Loop: Header=BB110_69 Depth=1
	v_subrev_nc_u32_e32 v5, s12, v10
	s_mov_b32 s29, 0
	s_delay_alu instid0(VALU_DEP_1)
	v_lshl_add_u32 v7, v5, 4, 0x4000
	ds_load_b64 v[5:6], v7
.LBB110_84:                             ;   Parent Loop BB110_69 Depth=1
                                        ; =>  This Inner Loop Header: Depth=2
	s_waitcnt lgkmcnt(0)
	v_add_f64 v[18:19], v[5:6], v[16:17]
	ds_cmpstore_rtn_b64 v[18:19], v7, v[18:19], v[5:6]
	s_waitcnt lgkmcnt(0)
	v_cmp_eq_u64_e32 vcc_lo, v[18:19], v[5:6]
	v_dual_mov_b32 v5, v18 :: v_dual_mov_b32 v6, v19
	s_or_b32 s29, vcc_lo, s29
	s_delay_alu instid0(SALU_CYCLE_1)
	s_and_not1_b32 exec_lo, exec_lo, s29
	s_cbranch_execnz .LBB110_84
; %bb.85:                               ;   in Loop: Header=BB110_69 Depth=1
	s_or_b32 exec_lo, exec_lo, s29
	ds_load_b64 v[5:6], v7 offset:8
	s_mov_b32 s29, 0
.LBB110_86:                             ;   Parent Loop BB110_69 Depth=1
                                        ; =>  This Inner Loop Header: Depth=2
	s_waitcnt lgkmcnt(0)
	v_add_f64 v[16:17], v[5:6], v[14:15]
	ds_cmpstore_rtn_b64 v[16:17], v7, v[16:17], v[5:6] offset:8
	s_waitcnt lgkmcnt(0)
	v_cmp_eq_u64_e32 vcc_lo, v[16:17], v[5:6]
	v_dual_mov_b32 v5, v16 :: v_dual_mov_b32 v6, v17
	s_or_b32 s29, vcc_lo, s29
	s_delay_alu instid0(SALU_CYCLE_1)
	s_and_not1_b32 exec_lo, exec_lo, s29
	s_cbranch_execnz .LBB110_86
; %bb.87:                               ;   in Loop: Header=BB110_69 Depth=1
	s_or_b32 exec_lo, exec_lo, s29
	s_branch .LBB110_67
.LBB110_88:
	s_or_b32 exec_lo, exec_lo, s13
                                        ; implicit-def: $vgpr20
                                        ; implicit-def: $vgpr9
.LBB110_89:
	s_and_not1_saveexec_b32 s13, s4
	s_cbranch_execz .LBB110_179
; %bb.90:
	s_add_i32 s17, s23, -1
	v_mov_b32_e32 v3, s22
	s_cmp_le_i32 s17, s22
	v_mov_b32_e32 v1, s17
	s_cselect_b32 s0, -1, 0
	s_add_i32 s4, s23, -2
	s_delay_alu instid0(SALU_CYCLE_1) | instskip(SKIP_1) | instid1(SALU_CYCLE_1)
	s_cmp_eq_u32 s4, s22
	s_cselect_b32 s4, -1, 0
	s_or_b32 s4, s0, s4
	s_delay_alu instid0(SALU_CYCLE_1)
	s_and_b32 vcc_lo, exec_lo, s4
	s_cbranch_vccnz .LBB110_94
; %bb.91:
	v_mov_b32_e32 v3, s22
	v_mov_b32_e32 v1, s17
	s_mov_b32 s5, 0
	.p2align	6
.LBB110_92:                             ; =>This Inner Loop Header: Depth=1
	s_delay_alu instid0(VALU_DEP_1) | instskip(NEXT) | instid1(VALU_DEP_1)
	v_add_nc_u32_e32 v2, v1, v3
	v_lshrrev_b32_e32 v4, 31, v2
	s_delay_alu instid0(VALU_DEP_1) | instskip(NEXT) | instid1(VALU_DEP_1)
	v_add_nc_u32_e32 v2, v2, v4
	v_ashrrev_i32_e32 v4, 1, v2
	s_delay_alu instid0(VALU_DEP_1) | instskip(NEXT) | instid1(VALU_DEP_1)
	v_ashrrev_i32_e32 v5, 31, v4
	v_lshlrev_b64 v[5:6], 2, v[4:5]
	s_delay_alu instid0(VALU_DEP_1) | instskip(NEXT) | instid1(VALU_DEP_2)
	v_add_co_u32 v5, vcc_lo, s8, v5
	v_add_co_ci_u32_e32 v6, vcc_lo, s9, v6, vcc_lo
	global_load_b32 v2, v[5:6], off
	s_waitcnt vmcnt(0)
	v_subrev_nc_u32_e32 v2, s24, v2
	s_delay_alu instid0(VALU_DEP_1) | instskip(SKIP_2) | instid1(VALU_DEP_1)
	v_cmp_gt_i32_e32 vcc_lo, v2, v9
	v_cndmask_b32_e32 v3, v4, v3, vcc_lo
	v_cndmask_b32_e32 v1, v1, v4, vcc_lo
	v_add_nc_u32_e32 v2, -1, v1
	s_delay_alu instid0(VALU_DEP_3) | instskip(NEXT) | instid1(VALU_DEP_2)
	v_cmp_ge_i32_e32 vcc_lo, v3, v1
	v_cmp_eq_u32_e64 s0, v3, v2
	s_delay_alu instid0(VALU_DEP_1) | instskip(NEXT) | instid1(SALU_CYCLE_1)
	s_or_b32 s0, vcc_lo, s0
	s_and_b32 s0, exec_lo, s0
	s_delay_alu instid0(SALU_CYCLE_1) | instskip(NEXT) | instid1(SALU_CYCLE_1)
	s_or_b32 s5, s0, s5
	s_and_not1_b32 exec_lo, exec_lo, s5
	s_cbranch_execnz .LBB110_92
; %bb.93:
	s_or_b32 exec_lo, exec_lo, s5
.LBB110_94:
	v_ashrrev_i32_e32 v2, 31, v1
	v_lshlrev_b64 v[6:7], 2, v[9:10]
	s_xor_b32 s19, s4, -1
	s_ashr_i32 s5, s23, 31
	s_mov_b32 s4, s23
	v_lshlrev_b64 v[4:5], 2, v[1:2]
	s_lshl_b64 s[4:5], s[4:5], 2
	s_mov_b32 s0, exec_lo
	s_add_u32 s4, s8, s4
	s_addc_u32 s5, s9, s5
	s_delay_alu instid0(VALU_DEP_1)
	v_add_co_u32 v4, vcc_lo, s8, v4
	v_add_co_ci_u32_e32 v5, vcc_lo, s9, v5, vcc_lo
	v_add_co_u32 v10, vcc_lo, s10, v6
	v_add_co_ci_u32_e32 v11, vcc_lo, s11, v7, vcc_lo
	global_load_b32 v2, v[4:5], off
	global_load_b32 v4, v[10:11], off
	s_waitcnt vmcnt(1)
	v_subrev_nc_u32_e32 v2, s24, v2
	s_waitcnt vmcnt(0)
	v_subrev_nc_u32_e32 v12, s24, v4
	s_delay_alu instid0(VALU_DEP_2) | instskip(SKIP_1) | instid1(VALU_DEP_1)
	v_cmp_gt_i32_e32 vcc_lo, v2, v9
	v_cndmask_b32_e32 v5, v1, v3, vcc_lo
                                        ; implicit-def: $vgpr1_vgpr2
	v_cmpx_ne_u32_e64 v12, v5
	s_xor_b32 s10, exec_lo, s0
	s_cbranch_execz .LBB110_110
; %bb.95:
	s_load_b32 s0, s[4:5], 0x0
	ds_load_b128 v[1:4], v23
	s_mov_b32 s11, exec_lo
	s_waitcnt lgkmcnt(0)
	s_sub_i32 s0, s0, s24
	s_delay_alu instid0(SALU_CYCLE_1)
	v_cmpx_gt_i32_e64 s0, v9
	s_cbranch_execz .LBB110_109
; %bb.96:
	v_ashrrev_i32_e32 v6, 31, v5
	v_cmp_le_i32_e64 s0, s23, v12
	s_delay_alu instid0(VALU_DEP_2) | instskip(NEXT) | instid1(VALU_DEP_1)
	v_lshlrev_b64 v[5:6], 4, v[5:6]
	v_add_co_u32 v5, vcc_lo, s14, v5
	s_delay_alu instid0(VALU_DEP_2)
	v_add_co_ci_u32_e32 v6, vcc_lo, s15, v6, vcc_lo
	v_cmp_gt_i32_e32 vcc_lo, s12, v12
	global_load_b128 v[5:8], v[5:6], off
	s_or_b32 s0, vcc_lo, s0
	s_waitcnt vmcnt(0)
	v_mul_f64 v[13:14], v[7:8], -v[3:4]
	v_mul_f64 v[7:8], v[7:8], v[1:2]
	s_delay_alu instid0(VALU_DEP_2) | instskip(NEXT) | instid1(VALU_DEP_2)
	v_fma_f64 v[16:17], v[1:2], v[5:6], v[13:14]
	v_fma_f64 v[14:15], v[3:4], v[5:6], v[7:8]
	s_and_saveexec_b32 s25, s0
	s_delay_alu instid0(SALU_CYCLE_1)
	s_xor_b32 s0, exec_lo, s25
	s_cbranch_execz .LBB110_102
; %bb.97:
	v_ashrrev_i32_e32 v13, 31, v12
	s_mov_b32 s25, 0
	s_delay_alu instid0(VALU_DEP_1) | instskip(NEXT) | instid1(VALU_DEP_1)
	v_lshlrev_b64 v[5:6], 4, v[12:13]
	v_add_co_u32 v18, vcc_lo, s20, v5
	s_delay_alu instid0(VALU_DEP_2)
	v_add_co_ci_u32_e32 v19, vcc_lo, s21, v6, vcc_lo
	global_load_b64 v[7:8], v[18:19], off
.LBB110_98:                             ; =>This Inner Loop Header: Depth=1
	s_waitcnt vmcnt(0)
	v_add_f64 v[5:6], v[7:8], v[16:17]
	global_atomic_cmpswap_b64 v[5:6], v[18:19], v[5:8], off glc
	s_waitcnt vmcnt(0)
	v_cmp_eq_u64_e32 vcc_lo, v[5:6], v[7:8]
	v_dual_mov_b32 v8, v6 :: v_dual_mov_b32 v7, v5
	s_or_b32 s25, vcc_lo, s25
	s_delay_alu instid0(SALU_CYCLE_1)
	s_and_not1_b32 exec_lo, exec_lo, s25
	s_cbranch_execnz .LBB110_98
; %bb.99:
	s_or_b32 exec_lo, exec_lo, s25
	global_load_b64 v[7:8], v[18:19], off offset:8
	s_mov_b32 s25, 0
.LBB110_100:                            ; =>This Inner Loop Header: Depth=1
	s_waitcnt vmcnt(0)
	v_add_f64 v[5:6], v[7:8], v[14:15]
	global_atomic_cmpswap_b64 v[5:6], v[18:19], v[5:8], off offset:8 glc
	s_waitcnt vmcnt(0)
	v_cmp_eq_u64_e32 vcc_lo, v[5:6], v[7:8]
	v_dual_mov_b32 v8, v6 :: v_dual_mov_b32 v7, v5
	s_or_b32 s25, vcc_lo, s25
	s_delay_alu instid0(SALU_CYCLE_1)
	s_and_not1_b32 exec_lo, exec_lo, s25
	s_cbranch_execnz .LBB110_100
; %bb.101:
	s_or_b32 exec_lo, exec_lo, s25
                                        ; implicit-def: $vgpr14_vgpr15
                                        ; implicit-def: $vgpr16_vgpr17
.LBB110_102:
	s_and_not1_saveexec_b32 s0, s0
	s_cbranch_execz .LBB110_108
; %bb.103:
	v_subrev_nc_u32_e32 v5, s12, v12
	s_mov_b32 s25, 0
	s_delay_alu instid0(VALU_DEP_1)
	v_lshl_add_u32 v7, v5, 4, 0x4000
	ds_load_b64 v[5:6], v7
.LBB110_104:                            ; =>This Inner Loop Header: Depth=1
	s_waitcnt lgkmcnt(0)
	v_add_f64 v[18:19], v[5:6], v[16:17]
	ds_cmpstore_rtn_b64 v[18:19], v7, v[18:19], v[5:6]
	s_waitcnt lgkmcnt(0)
	v_cmp_eq_u64_e32 vcc_lo, v[18:19], v[5:6]
	v_dual_mov_b32 v5, v18 :: v_dual_mov_b32 v6, v19
	s_or_b32 s25, vcc_lo, s25
	s_delay_alu instid0(SALU_CYCLE_1)
	s_and_not1_b32 exec_lo, exec_lo, s25
	s_cbranch_execnz .LBB110_104
; %bb.105:
	s_or_b32 exec_lo, exec_lo, s25
	ds_load_b64 v[5:6], v7 offset:8
	s_mov_b32 s25, 0
.LBB110_106:                            ; =>This Inner Loop Header: Depth=1
	s_waitcnt lgkmcnt(0)
	v_add_f64 v[16:17], v[5:6], v[14:15]
	ds_cmpstore_rtn_b64 v[16:17], v7, v[16:17], v[5:6] offset:8
	s_waitcnt lgkmcnt(0)
	v_cmp_eq_u64_e32 vcc_lo, v[16:17], v[5:6]
	v_dual_mov_b32 v5, v16 :: v_dual_mov_b32 v6, v17
	s_or_b32 s25, vcc_lo, s25
	s_delay_alu instid0(SALU_CYCLE_1)
	s_and_not1_b32 exec_lo, exec_lo, s25
	s_cbranch_execnz .LBB110_106
; %bb.107:
	s_or_b32 exec_lo, exec_lo, s25
.LBB110_108:
	s_delay_alu instid0(SALU_CYCLE_1)
	s_or_b32 exec_lo, exec_lo, s0
.LBB110_109:
	s_delay_alu instid0(SALU_CYCLE_1)
	s_or_b32 exec_lo, exec_lo, s11
.LBB110_110:
	s_and_not1_saveexec_b32 s0, s10
	s_cbranch_execz .LBB110_112
; %bb.111:
	ds_load_b128 v[1:4], v23
.LBB110_112:
	s_or_b32 exec_lo, exec_lo, s0
	v_ashrrev_i32_e32 v13, 31, v12
	v_cndmask_b32_e64 v21, 0, 1, s19
	s_delay_alu instid0(VALU_DEP_2) | instskip(NEXT) | instid1(VALU_DEP_1)
	v_lshlrev_b64 v[5:6], 4, v[12:13]
	v_add_co_u32 v5, vcc_lo, s14, v5
	s_delay_alu instid0(VALU_DEP_2)
	v_add_co_ci_u32_e32 v6, vcc_lo, s15, v6, vcc_lo
	s_and_not1_b32 vcc_lo, exec_lo, s19
	global_load_b128 v[5:8], v[5:6], off
	s_waitcnt vmcnt(0) lgkmcnt(0)
	v_mul_f64 v[12:13], v[7:8], -v[3:4]
	v_mul_f64 v[7:8], v[7:8], v[1:2]
	s_delay_alu instid0(VALU_DEP_2) | instskip(NEXT) | instid1(VALU_DEP_2)
	v_fma_f64 v[12:13], v[1:2], v[5:6], v[12:13]
	v_fma_f64 v[14:15], v[3:4], v[5:6], v[7:8]
	v_dual_mov_b32 v3, s22 :: v_dual_add_nc_u32 v6, 0x100, v9
	v_mov_b32_e32 v1, s17
	ds_store_b128 v23, v[12:15]
	s_cbranch_vccnz .LBB110_116
; %bb.113:
	v_mov_b32_e32 v3, s22
	v_mov_b32_e32 v1, s17
	s_mov_b32 s10, 0
	.p2align	6
.LBB110_114:                            ; =>This Inner Loop Header: Depth=1
	s_delay_alu instid0(VALU_DEP_1) | instskip(NEXT) | instid1(VALU_DEP_1)
	v_add_nc_u32_e32 v2, v1, v3
	v_lshrrev_b32_e32 v4, 31, v2
	s_delay_alu instid0(VALU_DEP_1) | instskip(NEXT) | instid1(VALU_DEP_1)
	v_add_nc_u32_e32 v2, v2, v4
	v_ashrrev_i32_e32 v4, 1, v2
	s_delay_alu instid0(VALU_DEP_1) | instskip(NEXT) | instid1(VALU_DEP_1)
	v_ashrrev_i32_e32 v5, 31, v4
	v_lshlrev_b64 v[7:8], 2, v[4:5]
	s_delay_alu instid0(VALU_DEP_1) | instskip(NEXT) | instid1(VALU_DEP_2)
	v_add_co_u32 v7, vcc_lo, s8, v7
	v_add_co_ci_u32_e32 v8, vcc_lo, s9, v8, vcc_lo
	global_load_b32 v2, v[7:8], off
	s_waitcnt vmcnt(0)
	v_subrev_nc_u32_e32 v2, s24, v2
	s_delay_alu instid0(VALU_DEP_1) | instskip(SKIP_2) | instid1(VALU_DEP_1)
	v_cmp_gt_i32_e32 vcc_lo, v2, v6
	v_cndmask_b32_e32 v3, v4, v3, vcc_lo
	v_cndmask_b32_e32 v1, v1, v4, vcc_lo
	v_add_nc_u32_e32 v2, -1, v1
	s_delay_alu instid0(VALU_DEP_3) | instskip(NEXT) | instid1(VALU_DEP_2)
	v_cmp_ge_i32_e32 vcc_lo, v3, v1
	v_cmp_eq_u32_e64 s0, v3, v2
	s_delay_alu instid0(VALU_DEP_1) | instskip(NEXT) | instid1(SALU_CYCLE_1)
	s_or_b32 s0, vcc_lo, s0
	s_and_b32 s0, exec_lo, s0
	s_delay_alu instid0(SALU_CYCLE_1) | instskip(NEXT) | instid1(SALU_CYCLE_1)
	s_or_b32 s10, s0, s10
	s_and_not1_b32 exec_lo, exec_lo, s10
	s_cbranch_execnz .LBB110_114
; %bb.115:
	s_or_b32 exec_lo, exec_lo, s10
.LBB110_116:
	v_ashrrev_i32_e32 v2, 31, v1
	s_mov_b32 s0, exec_lo
	s_delay_alu instid0(VALU_DEP_1) | instskip(NEXT) | instid1(VALU_DEP_1)
	v_lshlrev_b64 v[4:5], 2, v[1:2]
	v_add_co_u32 v4, vcc_lo, s8, v4
	s_delay_alu instid0(VALU_DEP_2)
	v_add_co_ci_u32_e32 v5, vcc_lo, s9, v5, vcc_lo
	global_load_b32 v2, v[4:5], off
	global_load_b32 v4, v[10:11], off offset:1024
	s_waitcnt vmcnt(1)
	v_subrev_nc_u32_e32 v2, s24, v2
	s_waitcnt vmcnt(0)
	v_subrev_nc_u32_e32 v12, s24, v4
	s_delay_alu instid0(VALU_DEP_2) | instskip(SKIP_1) | instid1(VALU_DEP_1)
	v_cmp_gt_i32_e32 vcc_lo, v2, v6
	v_cndmask_b32_e32 v5, v1, v3, vcc_lo
                                        ; implicit-def: $vgpr1_vgpr2
	v_cmpx_ne_u32_e64 v12, v5
	s_xor_b32 s10, exec_lo, s0
	s_cbranch_execz .LBB110_132
; %bb.117:
	s_load_b32 s0, s[4:5], 0x0
	ds_load_b128 v[1:4], v23 offset:4096
	s_mov_b32 s11, exec_lo
	s_waitcnt lgkmcnt(0)
	s_sub_i32 s0, s0, s24
	s_delay_alu instid0(SALU_CYCLE_1)
	v_cmpx_gt_i32_e64 s0, v6
	s_cbranch_execz .LBB110_131
; %bb.118:
	v_ashrrev_i32_e32 v6, 31, v5
	v_cmp_le_i32_e64 s0, s23, v12
	s_delay_alu instid0(VALU_DEP_2) | instskip(NEXT) | instid1(VALU_DEP_1)
	v_lshlrev_b64 v[5:6], 4, v[5:6]
	v_add_co_u32 v5, vcc_lo, s14, v5
	s_delay_alu instid0(VALU_DEP_2)
	v_add_co_ci_u32_e32 v6, vcc_lo, s15, v6, vcc_lo
	v_cmp_gt_i32_e32 vcc_lo, s12, v12
	global_load_b128 v[5:8], v[5:6], off
	s_or_b32 s0, vcc_lo, s0
	s_waitcnt vmcnt(0)
	v_mul_f64 v[13:14], v[7:8], -v[3:4]
	v_mul_f64 v[7:8], v[7:8], v[1:2]
	s_delay_alu instid0(VALU_DEP_2) | instskip(NEXT) | instid1(VALU_DEP_2)
	v_fma_f64 v[16:17], v[1:2], v[5:6], v[13:14]
	v_fma_f64 v[14:15], v[3:4], v[5:6], v[7:8]
	s_and_saveexec_b32 s19, s0
	s_delay_alu instid0(SALU_CYCLE_1)
	s_xor_b32 s0, exec_lo, s19
	s_cbranch_execz .LBB110_124
; %bb.119:
	v_ashrrev_i32_e32 v13, 31, v12
	s_mov_b32 s19, 0
	s_delay_alu instid0(VALU_DEP_1) | instskip(NEXT) | instid1(VALU_DEP_1)
	v_lshlrev_b64 v[5:6], 4, v[12:13]
	v_add_co_u32 v18, vcc_lo, s20, v5
	s_delay_alu instid0(VALU_DEP_2)
	v_add_co_ci_u32_e32 v19, vcc_lo, s21, v6, vcc_lo
	global_load_b64 v[7:8], v[18:19], off
.LBB110_120:                            ; =>This Inner Loop Header: Depth=1
	s_waitcnt vmcnt(0)
	v_add_f64 v[5:6], v[7:8], v[16:17]
	global_atomic_cmpswap_b64 v[5:6], v[18:19], v[5:8], off glc
	s_waitcnt vmcnt(0)
	v_cmp_eq_u64_e32 vcc_lo, v[5:6], v[7:8]
	v_dual_mov_b32 v8, v6 :: v_dual_mov_b32 v7, v5
	s_or_b32 s19, vcc_lo, s19
	s_delay_alu instid0(SALU_CYCLE_1)
	s_and_not1_b32 exec_lo, exec_lo, s19
	s_cbranch_execnz .LBB110_120
; %bb.121:
	s_or_b32 exec_lo, exec_lo, s19
	global_load_b64 v[7:8], v[18:19], off offset:8
	s_mov_b32 s19, 0
.LBB110_122:                            ; =>This Inner Loop Header: Depth=1
	s_waitcnt vmcnt(0)
	v_add_f64 v[5:6], v[7:8], v[14:15]
	global_atomic_cmpswap_b64 v[5:6], v[18:19], v[5:8], off offset:8 glc
	s_waitcnt vmcnt(0)
	v_cmp_eq_u64_e32 vcc_lo, v[5:6], v[7:8]
	v_dual_mov_b32 v8, v6 :: v_dual_mov_b32 v7, v5
	s_or_b32 s19, vcc_lo, s19
	s_delay_alu instid0(SALU_CYCLE_1)
	s_and_not1_b32 exec_lo, exec_lo, s19
	s_cbranch_execnz .LBB110_122
; %bb.123:
	s_or_b32 exec_lo, exec_lo, s19
                                        ; implicit-def: $vgpr14_vgpr15
                                        ; implicit-def: $vgpr16_vgpr17
.LBB110_124:
	s_and_not1_saveexec_b32 s0, s0
	s_cbranch_execz .LBB110_130
; %bb.125:
	v_subrev_nc_u32_e32 v5, s12, v12
	s_mov_b32 s19, 0
	s_delay_alu instid0(VALU_DEP_1)
	v_lshl_add_u32 v7, v5, 4, 0x4000
	ds_load_b64 v[5:6], v7
.LBB110_126:                            ; =>This Inner Loop Header: Depth=1
	s_waitcnt lgkmcnt(0)
	v_add_f64 v[18:19], v[5:6], v[16:17]
	ds_cmpstore_rtn_b64 v[18:19], v7, v[18:19], v[5:6]
	s_waitcnt lgkmcnt(0)
	v_cmp_eq_u64_e32 vcc_lo, v[18:19], v[5:6]
	v_dual_mov_b32 v5, v18 :: v_dual_mov_b32 v6, v19
	s_or_b32 s19, vcc_lo, s19
	s_delay_alu instid0(SALU_CYCLE_1)
	s_and_not1_b32 exec_lo, exec_lo, s19
	s_cbranch_execnz .LBB110_126
; %bb.127:
	s_or_b32 exec_lo, exec_lo, s19
	ds_load_b64 v[5:6], v7 offset:8
	s_mov_b32 s19, 0
.LBB110_128:                            ; =>This Inner Loop Header: Depth=1
	s_waitcnt lgkmcnt(0)
	v_add_f64 v[16:17], v[5:6], v[14:15]
	ds_cmpstore_rtn_b64 v[16:17], v7, v[16:17], v[5:6] offset:8
	s_waitcnt lgkmcnt(0)
	v_cmp_eq_u64_e32 vcc_lo, v[16:17], v[5:6]
	v_dual_mov_b32 v5, v16 :: v_dual_mov_b32 v6, v17
	s_or_b32 s19, vcc_lo, s19
	s_delay_alu instid0(SALU_CYCLE_1)
	s_and_not1_b32 exec_lo, exec_lo, s19
	s_cbranch_execnz .LBB110_128
; %bb.129:
	s_or_b32 exec_lo, exec_lo, s19
.LBB110_130:
	s_delay_alu instid0(SALU_CYCLE_1)
	s_or_b32 exec_lo, exec_lo, s0
.LBB110_131:
	s_delay_alu instid0(SALU_CYCLE_1)
	s_or_b32 exec_lo, exec_lo, s11
.LBB110_132:
	s_and_not1_saveexec_b32 s0, s10
	s_cbranch_execz .LBB110_134
; %bb.133:
	ds_load_b128 v[1:4], v23 offset:4096
.LBB110_134:
	s_or_b32 exec_lo, exec_lo, s0
	v_ashrrev_i32_e32 v13, 31, v12
	s_delay_alu instid0(VALU_DEP_1) | instskip(NEXT) | instid1(VALU_DEP_1)
	v_lshlrev_b64 v[5:6], 4, v[12:13]
	v_add_co_u32 v5, vcc_lo, s14, v5
	s_delay_alu instid0(VALU_DEP_2)
	v_add_co_ci_u32_e32 v6, vcc_lo, s15, v6, vcc_lo
	v_cmp_ne_u32_e32 vcc_lo, 1, v21
	global_load_b128 v[5:8], v[5:6], off
	s_and_b32 vcc_lo, exec_lo, vcc_lo
	s_waitcnt vmcnt(0) lgkmcnt(0)
	v_mul_f64 v[12:13], v[7:8], -v[3:4]
	v_mul_f64 v[7:8], v[7:8], v[1:2]
	s_delay_alu instid0(VALU_DEP_2) | instskip(NEXT) | instid1(VALU_DEP_2)
	v_fma_f64 v[12:13], v[1:2], v[5:6], v[12:13]
	v_fma_f64 v[14:15], v[3:4], v[5:6], v[7:8]
	v_dual_mov_b32 v3, s22 :: v_dual_add_nc_u32 v6, 0x200, v9
	v_mov_b32_e32 v1, s17
	ds_store_b128 v23, v[12:15] offset:4096
	s_cbranch_vccnz .LBB110_138
; %bb.135:
	v_mov_b32_e32 v3, s22
	v_mov_b32_e32 v1, s17
	s_mov_b32 s10, 0
	.p2align	6
.LBB110_136:                            ; =>This Inner Loop Header: Depth=1
	s_delay_alu instid0(VALU_DEP_1) | instskip(NEXT) | instid1(VALU_DEP_1)
	v_add_nc_u32_e32 v2, v1, v3
	v_lshrrev_b32_e32 v4, 31, v2
	s_delay_alu instid0(VALU_DEP_1) | instskip(NEXT) | instid1(VALU_DEP_1)
	v_add_nc_u32_e32 v2, v2, v4
	v_ashrrev_i32_e32 v4, 1, v2
	s_delay_alu instid0(VALU_DEP_1) | instskip(NEXT) | instid1(VALU_DEP_1)
	v_ashrrev_i32_e32 v5, 31, v4
	v_lshlrev_b64 v[7:8], 2, v[4:5]
	s_delay_alu instid0(VALU_DEP_1) | instskip(NEXT) | instid1(VALU_DEP_2)
	v_add_co_u32 v7, vcc_lo, s8, v7
	v_add_co_ci_u32_e32 v8, vcc_lo, s9, v8, vcc_lo
	global_load_b32 v2, v[7:8], off
	s_waitcnt vmcnt(0)
	v_subrev_nc_u32_e32 v2, s24, v2
	s_delay_alu instid0(VALU_DEP_1) | instskip(SKIP_2) | instid1(VALU_DEP_1)
	v_cmp_gt_i32_e32 vcc_lo, v2, v6
	v_cndmask_b32_e32 v3, v4, v3, vcc_lo
	v_cndmask_b32_e32 v1, v1, v4, vcc_lo
	v_add_nc_u32_e32 v2, -1, v1
	s_delay_alu instid0(VALU_DEP_3) | instskip(NEXT) | instid1(VALU_DEP_2)
	v_cmp_ge_i32_e32 vcc_lo, v3, v1
	v_cmp_eq_u32_e64 s0, v3, v2
	s_delay_alu instid0(VALU_DEP_1) | instskip(NEXT) | instid1(SALU_CYCLE_1)
	s_or_b32 s0, vcc_lo, s0
	s_and_b32 s0, exec_lo, s0
	s_delay_alu instid0(SALU_CYCLE_1) | instskip(NEXT) | instid1(SALU_CYCLE_1)
	s_or_b32 s10, s0, s10
	s_and_not1_b32 exec_lo, exec_lo, s10
	s_cbranch_execnz .LBB110_136
; %bb.137:
	s_or_b32 exec_lo, exec_lo, s10
.LBB110_138:
	v_ashrrev_i32_e32 v2, 31, v1
	s_mov_b32 s0, exec_lo
	s_delay_alu instid0(VALU_DEP_1) | instskip(NEXT) | instid1(VALU_DEP_1)
	v_lshlrev_b64 v[4:5], 2, v[1:2]
	v_add_co_u32 v4, vcc_lo, s8, v4
	s_delay_alu instid0(VALU_DEP_2)
	v_add_co_ci_u32_e32 v5, vcc_lo, s9, v5, vcc_lo
	global_load_b32 v2, v[4:5], off
	global_load_b32 v4, v[10:11], off offset:2048
	s_waitcnt vmcnt(1)
	v_subrev_nc_u32_e32 v2, s24, v2
	s_waitcnt vmcnt(0)
	v_subrev_nc_u32_e32 v12, s24, v4
	s_delay_alu instid0(VALU_DEP_2) | instskip(SKIP_1) | instid1(VALU_DEP_1)
	v_cmp_gt_i32_e32 vcc_lo, v2, v6
	v_cndmask_b32_e32 v5, v1, v3, vcc_lo
                                        ; implicit-def: $vgpr1_vgpr2
	v_cmpx_ne_u32_e64 v12, v5
	s_xor_b32 s10, exec_lo, s0
	s_cbranch_execz .LBB110_154
; %bb.139:
	s_load_b32 s0, s[4:5], 0x0
	ds_load_b128 v[1:4], v23 offset:8192
	s_mov_b32 s11, exec_lo
	s_waitcnt lgkmcnt(0)
	s_sub_i32 s0, s0, s24
	s_delay_alu instid0(SALU_CYCLE_1)
	v_cmpx_gt_i32_e64 s0, v6
	s_cbranch_execz .LBB110_153
; %bb.140:
	v_ashrrev_i32_e32 v6, 31, v5
	v_cmp_le_i32_e64 s0, s23, v12
	s_delay_alu instid0(VALU_DEP_2) | instskip(NEXT) | instid1(VALU_DEP_1)
	v_lshlrev_b64 v[5:6], 4, v[5:6]
	v_add_co_u32 v5, vcc_lo, s14, v5
	s_delay_alu instid0(VALU_DEP_2)
	v_add_co_ci_u32_e32 v6, vcc_lo, s15, v6, vcc_lo
	v_cmp_gt_i32_e32 vcc_lo, s12, v12
	global_load_b128 v[5:8], v[5:6], off
	s_or_b32 s0, vcc_lo, s0
	s_waitcnt vmcnt(0)
	v_mul_f64 v[13:14], v[7:8], -v[3:4]
	v_mul_f64 v[7:8], v[7:8], v[1:2]
	s_delay_alu instid0(VALU_DEP_2) | instskip(NEXT) | instid1(VALU_DEP_2)
	v_fma_f64 v[16:17], v[1:2], v[5:6], v[13:14]
	v_fma_f64 v[14:15], v[3:4], v[5:6], v[7:8]
	s_and_saveexec_b32 s19, s0
	s_delay_alu instid0(SALU_CYCLE_1)
	s_xor_b32 s0, exec_lo, s19
	s_cbranch_execz .LBB110_146
; %bb.141:
	v_ashrrev_i32_e32 v13, 31, v12
	s_mov_b32 s19, 0
	s_delay_alu instid0(VALU_DEP_1) | instskip(NEXT) | instid1(VALU_DEP_1)
	v_lshlrev_b64 v[5:6], 4, v[12:13]
	v_add_co_u32 v18, vcc_lo, s20, v5
	s_delay_alu instid0(VALU_DEP_2)
	v_add_co_ci_u32_e32 v19, vcc_lo, s21, v6, vcc_lo
	global_load_b64 v[7:8], v[18:19], off
.LBB110_142:                            ; =>This Inner Loop Header: Depth=1
	s_waitcnt vmcnt(0)
	v_add_f64 v[5:6], v[7:8], v[16:17]
	global_atomic_cmpswap_b64 v[5:6], v[18:19], v[5:8], off glc
	s_waitcnt vmcnt(0)
	v_cmp_eq_u64_e32 vcc_lo, v[5:6], v[7:8]
	v_dual_mov_b32 v8, v6 :: v_dual_mov_b32 v7, v5
	s_or_b32 s19, vcc_lo, s19
	s_delay_alu instid0(SALU_CYCLE_1)
	s_and_not1_b32 exec_lo, exec_lo, s19
	s_cbranch_execnz .LBB110_142
; %bb.143:
	s_or_b32 exec_lo, exec_lo, s19
	global_load_b64 v[7:8], v[18:19], off offset:8
	s_mov_b32 s19, 0
.LBB110_144:                            ; =>This Inner Loop Header: Depth=1
	s_waitcnt vmcnt(0)
	v_add_f64 v[5:6], v[7:8], v[14:15]
	global_atomic_cmpswap_b64 v[5:6], v[18:19], v[5:8], off offset:8 glc
	s_waitcnt vmcnt(0)
	v_cmp_eq_u64_e32 vcc_lo, v[5:6], v[7:8]
	v_dual_mov_b32 v8, v6 :: v_dual_mov_b32 v7, v5
	s_or_b32 s19, vcc_lo, s19
	s_delay_alu instid0(SALU_CYCLE_1)
	s_and_not1_b32 exec_lo, exec_lo, s19
	s_cbranch_execnz .LBB110_144
; %bb.145:
	s_or_b32 exec_lo, exec_lo, s19
                                        ; implicit-def: $vgpr14_vgpr15
                                        ; implicit-def: $vgpr16_vgpr17
.LBB110_146:
	s_and_not1_saveexec_b32 s0, s0
	s_cbranch_execz .LBB110_152
; %bb.147:
	v_subrev_nc_u32_e32 v5, s12, v12
	s_mov_b32 s19, 0
	s_delay_alu instid0(VALU_DEP_1)
	v_lshl_add_u32 v7, v5, 4, 0x4000
	ds_load_b64 v[5:6], v7
.LBB110_148:                            ; =>This Inner Loop Header: Depth=1
	s_waitcnt lgkmcnt(0)
	v_add_f64 v[8:9], v[5:6], v[16:17]
	ds_cmpstore_rtn_b64 v[8:9], v7, v[8:9], v[5:6]
	s_waitcnt lgkmcnt(0)
	v_cmp_eq_u64_e32 vcc_lo, v[8:9], v[5:6]
	v_dual_mov_b32 v5, v8 :: v_dual_mov_b32 v6, v9
	s_or_b32 s19, vcc_lo, s19
	s_delay_alu instid0(SALU_CYCLE_1)
	s_and_not1_b32 exec_lo, exec_lo, s19
	s_cbranch_execnz .LBB110_148
; %bb.149:
	s_or_b32 exec_lo, exec_lo, s19
	ds_load_b64 v[5:6], v7 offset:8
	s_mov_b32 s19, 0
.LBB110_150:                            ; =>This Inner Loop Header: Depth=1
	s_waitcnt lgkmcnt(0)
	v_add_f64 v[8:9], v[5:6], v[14:15]
	ds_cmpstore_rtn_b64 v[8:9], v7, v[8:9], v[5:6] offset:8
	s_waitcnt lgkmcnt(0)
	v_cmp_eq_u64_e32 vcc_lo, v[8:9], v[5:6]
	v_dual_mov_b32 v5, v8 :: v_dual_mov_b32 v6, v9
	s_or_b32 s19, vcc_lo, s19
	s_delay_alu instid0(SALU_CYCLE_1)
	s_and_not1_b32 exec_lo, exec_lo, s19
	s_cbranch_execnz .LBB110_150
; %bb.151:
	s_or_b32 exec_lo, exec_lo, s19
.LBB110_152:
	s_delay_alu instid0(SALU_CYCLE_1)
	s_or_b32 exec_lo, exec_lo, s0
.LBB110_153:
	s_delay_alu instid0(SALU_CYCLE_1)
	s_or_b32 exec_lo, exec_lo, s11
.LBB110_154:
	s_and_not1_saveexec_b32 s0, s10
	s_cbranch_execz .LBB110_156
; %bb.155:
	ds_load_b128 v[1:4], v23 offset:8192
.LBB110_156:
	s_or_b32 exec_lo, exec_lo, s0
	v_ashrrev_i32_e32 v13, 31, v12
	s_delay_alu instid0(VALU_DEP_1) | instskip(NEXT) | instid1(VALU_DEP_1)
	v_lshlrev_b64 v[5:6], 4, v[12:13]
	v_add_co_u32 v5, vcc_lo, s14, v5
	s_delay_alu instid0(VALU_DEP_2)
	v_add_co_ci_u32_e32 v6, vcc_lo, s15, v6, vcc_lo
	v_cmp_ne_u32_e32 vcc_lo, 1, v21
	global_load_b128 v[5:8], v[5:6], off
	s_and_b32 vcc_lo, exec_lo, vcc_lo
	s_waitcnt vmcnt(0) lgkmcnt(0)
	v_mul_f64 v[12:13], v[7:8], -v[3:4]
	v_mul_f64 v[7:8], v[7:8], v[1:2]
	s_delay_alu instid0(VALU_DEP_2) | instskip(NEXT) | instid1(VALU_DEP_2)
	v_fma_f64 v[12:13], v[1:2], v[5:6], v[12:13]
	v_fma_f64 v[14:15], v[3:4], v[5:6], v[7:8]
	v_mov_b32_e32 v3, s22
	v_mov_b32_e32 v1, s17
	ds_store_b128 v23, v[12:15] offset:8192
	s_cbranch_vccnz .LBB110_160
; %bb.157:
	v_mov_b32_e32 v3, s22
	v_mov_b32_e32 v1, s17
	s_mov_b32 s10, 0
	.p2align	6
.LBB110_158:                            ; =>This Inner Loop Header: Depth=1
	s_delay_alu instid0(VALU_DEP_1) | instskip(NEXT) | instid1(VALU_DEP_1)
	v_add_nc_u32_e32 v2, v1, v3
	v_lshrrev_b32_e32 v4, 31, v2
	s_delay_alu instid0(VALU_DEP_1) | instskip(NEXT) | instid1(VALU_DEP_1)
	v_add_nc_u32_e32 v2, v2, v4
	v_ashrrev_i32_e32 v4, 1, v2
	s_delay_alu instid0(VALU_DEP_1) | instskip(NEXT) | instid1(VALU_DEP_1)
	v_ashrrev_i32_e32 v5, 31, v4
	v_lshlrev_b64 v[5:6], 2, v[4:5]
	s_delay_alu instid0(VALU_DEP_1) | instskip(NEXT) | instid1(VALU_DEP_2)
	v_add_co_u32 v5, vcc_lo, s8, v5
	v_add_co_ci_u32_e32 v6, vcc_lo, s9, v6, vcc_lo
	global_load_b32 v2, v[5:6], off
	s_waitcnt vmcnt(0)
	v_subrev_nc_u32_e32 v2, s24, v2
	s_delay_alu instid0(VALU_DEP_1) | instskip(SKIP_2) | instid1(VALU_DEP_1)
	v_cmp_gt_i32_e32 vcc_lo, v2, v20
	v_cndmask_b32_e32 v3, v4, v3, vcc_lo
	v_cndmask_b32_e32 v1, v1, v4, vcc_lo
	v_add_nc_u32_e32 v2, -1, v1
	s_delay_alu instid0(VALU_DEP_3) | instskip(NEXT) | instid1(VALU_DEP_2)
	v_cmp_ge_i32_e32 vcc_lo, v3, v1
	v_cmp_eq_u32_e64 s0, v3, v2
	s_delay_alu instid0(VALU_DEP_1) | instskip(NEXT) | instid1(SALU_CYCLE_1)
	s_or_b32 s0, vcc_lo, s0
	s_and_b32 s0, exec_lo, s0
	s_delay_alu instid0(SALU_CYCLE_1) | instskip(NEXT) | instid1(SALU_CYCLE_1)
	s_or_b32 s10, s0, s10
	s_and_not1_b32 exec_lo, exec_lo, s10
	s_cbranch_execnz .LBB110_158
; %bb.159:
	s_or_b32 exec_lo, exec_lo, s10
.LBB110_160:
	v_ashrrev_i32_e32 v2, 31, v1
	s_mov_b32 s0, exec_lo
	s_delay_alu instid0(VALU_DEP_1) | instskip(NEXT) | instid1(VALU_DEP_1)
	v_lshlrev_b64 v[4:5], 2, v[1:2]
	v_add_co_u32 v4, vcc_lo, s8, v4
	s_delay_alu instid0(VALU_DEP_2)
	v_add_co_ci_u32_e32 v5, vcc_lo, s9, v5, vcc_lo
	global_load_b32 v2, v[4:5], off
	global_load_b32 v4, v[10:11], off offset:3072
	s_waitcnt vmcnt(1)
	v_subrev_nc_u32_e32 v2, s24, v2
	s_waitcnt vmcnt(0)
	v_subrev_nc_u32_e32 v9, s24, v4
	s_delay_alu instid0(VALU_DEP_2) | instskip(SKIP_1) | instid1(VALU_DEP_1)
	v_cmp_gt_i32_e32 vcc_lo, v2, v20
	v_cndmask_b32_e32 v5, v1, v3, vcc_lo
                                        ; implicit-def: $vgpr1_vgpr2
	v_cmpx_ne_u32_e64 v9, v5
	s_xor_b32 s10, exec_lo, s0
	s_cbranch_execz .LBB110_176
; %bb.161:
	s_load_b32 s0, s[4:5], 0x0
	ds_load_b128 v[1:4], v23 offset:12288
	s_mov_b32 s4, exec_lo
	s_waitcnt lgkmcnt(0)
	s_sub_i32 s0, s0, s24
	s_delay_alu instid0(SALU_CYCLE_1)
	v_cmpx_gt_i32_e64 s0, v20
	s_cbranch_execz .LBB110_175
; %bb.162:
	v_ashrrev_i32_e32 v6, 31, v5
	v_cmp_le_i32_e64 s0, s23, v9
	s_delay_alu instid0(VALU_DEP_2) | instskip(NEXT) | instid1(VALU_DEP_1)
	v_lshlrev_b64 v[5:6], 4, v[5:6]
	v_add_co_u32 v5, vcc_lo, s14, v5
	s_delay_alu instid0(VALU_DEP_2)
	v_add_co_ci_u32_e32 v6, vcc_lo, s15, v6, vcc_lo
	v_cmp_gt_i32_e32 vcc_lo, s12, v9
	global_load_b128 v[5:8], v[5:6], off
	s_or_b32 s0, vcc_lo, s0
	s_waitcnt vmcnt(0)
	v_mul_f64 v[10:11], v[7:8], -v[3:4]
	v_mul_f64 v[7:8], v[7:8], v[1:2]
	s_delay_alu instid0(VALU_DEP_2) | instskip(NEXT) | instid1(VALU_DEP_2)
	v_fma_f64 v[13:14], v[1:2], v[5:6], v[10:11]
	v_fma_f64 v[11:12], v[3:4], v[5:6], v[7:8]
	s_and_saveexec_b32 s5, s0
	s_delay_alu instid0(SALU_CYCLE_1)
	s_xor_b32 s0, exec_lo, s5
	s_cbranch_execz .LBB110_168
; %bb.163:
	v_ashrrev_i32_e32 v10, 31, v9
	s_mov_b32 s5, 0
	s_delay_alu instid0(VALU_DEP_1) | instskip(NEXT) | instid1(VALU_DEP_1)
	v_lshlrev_b64 v[5:6], 4, v[9:10]
	v_add_co_u32 v15, vcc_lo, s20, v5
	s_delay_alu instid0(VALU_DEP_2)
	v_add_co_ci_u32_e32 v16, vcc_lo, s21, v6, vcc_lo
	global_load_b64 v[7:8], v[15:16], off
.LBB110_164:                            ; =>This Inner Loop Header: Depth=1
	s_waitcnt vmcnt(0)
	v_add_f64 v[5:6], v[7:8], v[13:14]
	global_atomic_cmpswap_b64 v[5:6], v[15:16], v[5:8], off glc
	s_waitcnt vmcnt(0)
	v_cmp_eq_u64_e32 vcc_lo, v[5:6], v[7:8]
	v_dual_mov_b32 v8, v6 :: v_dual_mov_b32 v7, v5
	s_or_b32 s5, vcc_lo, s5
	s_delay_alu instid0(SALU_CYCLE_1)
	s_and_not1_b32 exec_lo, exec_lo, s5
	s_cbranch_execnz .LBB110_164
; %bb.165:
	s_or_b32 exec_lo, exec_lo, s5
	global_load_b64 v[7:8], v[15:16], off offset:8
	s_mov_b32 s5, 0
.LBB110_166:                            ; =>This Inner Loop Header: Depth=1
	s_waitcnt vmcnt(0)
	v_add_f64 v[5:6], v[7:8], v[11:12]
	global_atomic_cmpswap_b64 v[5:6], v[15:16], v[5:8], off offset:8 glc
	s_waitcnt vmcnt(0)
	v_cmp_eq_u64_e32 vcc_lo, v[5:6], v[7:8]
	v_dual_mov_b32 v8, v6 :: v_dual_mov_b32 v7, v5
	s_or_b32 s5, vcc_lo, s5
	s_delay_alu instid0(SALU_CYCLE_1)
	s_and_not1_b32 exec_lo, exec_lo, s5
	s_cbranch_execnz .LBB110_166
; %bb.167:
	s_or_b32 exec_lo, exec_lo, s5
                                        ; implicit-def: $vgpr11_vgpr12
                                        ; implicit-def: $vgpr13_vgpr14
.LBB110_168:
	s_and_not1_saveexec_b32 s0, s0
	s_cbranch_execz .LBB110_174
; %bb.169:
	v_subrev_nc_u32_e32 v5, s12, v9
	s_mov_b32 s5, 0
	s_delay_alu instid0(VALU_DEP_1)
	v_lshl_add_u32 v7, v5, 4, 0x4000
	ds_load_b64 v[5:6], v7
.LBB110_170:                            ; =>This Inner Loop Header: Depth=1
	s_waitcnt lgkmcnt(0)
	v_add_f64 v[15:16], v[5:6], v[13:14]
	ds_cmpstore_rtn_b64 v[15:16], v7, v[15:16], v[5:6]
	s_waitcnt lgkmcnt(0)
	v_cmp_eq_u64_e32 vcc_lo, v[15:16], v[5:6]
	v_dual_mov_b32 v5, v15 :: v_dual_mov_b32 v6, v16
	s_or_b32 s5, vcc_lo, s5
	s_delay_alu instid0(SALU_CYCLE_1)
	s_and_not1_b32 exec_lo, exec_lo, s5
	s_cbranch_execnz .LBB110_170
; %bb.171:
	s_or_b32 exec_lo, exec_lo, s5
	ds_load_b64 v[5:6], v7 offset:8
	s_mov_b32 s5, 0
.LBB110_172:                            ; =>This Inner Loop Header: Depth=1
	s_waitcnt lgkmcnt(0)
	v_add_f64 v[13:14], v[5:6], v[11:12]
	ds_cmpstore_rtn_b64 v[13:14], v7, v[13:14], v[5:6] offset:8
	s_waitcnt lgkmcnt(0)
	v_cmp_eq_u64_e32 vcc_lo, v[13:14], v[5:6]
	v_dual_mov_b32 v5, v13 :: v_dual_mov_b32 v6, v14
	s_or_b32 s5, vcc_lo, s5
	s_delay_alu instid0(SALU_CYCLE_1)
	s_and_not1_b32 exec_lo, exec_lo, s5
	s_cbranch_execnz .LBB110_172
; %bb.173:
	s_or_b32 exec_lo, exec_lo, s5
.LBB110_174:
	s_delay_alu instid0(SALU_CYCLE_1)
	s_or_b32 exec_lo, exec_lo, s0
.LBB110_175:
	s_delay_alu instid0(SALU_CYCLE_1)
	s_or_b32 exec_lo, exec_lo, s4
.LBB110_176:
	s_and_not1_saveexec_b32 s0, s10
	s_cbranch_execz .LBB110_178
; %bb.177:
	ds_load_b128 v[1:4], v23 offset:12288
.LBB110_178:
	s_or_b32 exec_lo, exec_lo, s0
	v_ashrrev_i32_e32 v10, 31, v9
	s_delay_alu instid0(VALU_DEP_1) | instskip(NEXT) | instid1(VALU_DEP_1)
	v_lshlrev_b64 v[5:6], 4, v[9:10]
	v_add_co_u32 v5, vcc_lo, s14, v5
	s_delay_alu instid0(VALU_DEP_2) | instskip(SKIP_4) | instid1(VALU_DEP_2)
	v_add_co_ci_u32_e32 v6, vcc_lo, s15, v6, vcc_lo
	global_load_b128 v[5:8], v[5:6], off
	s_waitcnt vmcnt(0) lgkmcnt(0)
	v_mul_f64 v[9:10], v[7:8], -v[3:4]
	v_mul_f64 v[7:8], v[7:8], v[1:2]
	v_fma_f64 v[1:2], v[1:2], v[5:6], v[9:10]
	s_delay_alu instid0(VALU_DEP_2)
	v_fma_f64 v[3:4], v[3:4], v[5:6], v[7:8]
	ds_store_b128 v23, v[1:4] offset:12288
.LBB110_179:
	s_or_b32 exec_lo, exec_lo, s13
	s_min_i32 s10, s23, s18
	s_mov_b32 s4, exec_lo
	s_sub_i32 s0, s10, s16
	s_waitcnt lgkmcnt(0)
	s_barrier
	buffer_gl0_inv
	v_cmpx_gt_i32_e64 s0, v0
	s_cbranch_execz .LBB110_186
; %bb.180:
	v_mov_b32_e32 v11, v0
	s_mov_b32 s5, 0
	s_set_inst_prefetch_distance 0x1
	.p2align	6
.LBB110_181:                            ; =>This Loop Header: Depth=1
                                        ;     Child Loop BB110_182 Depth 2
                                        ;     Child Loop BB110_184 Depth 2
	s_delay_alu instid0(VALU_DEP_1) | instskip(SKIP_1) | instid1(VALU_DEP_1)
	v_add_nc_u32_e32 v1, s12, v11
	s_mov_b32 s11, 0
	v_ashrrev_i32_e32 v2, 31, v1
	s_delay_alu instid0(VALU_DEP_1) | instskip(NEXT) | instid1(VALU_DEP_1)
	v_lshlrev_b64 v[1:2], 4, v[1:2]
	v_add_co_u32 v9, vcc_lo, s20, v1
	s_delay_alu instid0(VALU_DEP_2)
	v_add_co_ci_u32_e32 v10, vcc_lo, s21, v2, vcc_lo
	v_lshl_add_u32 v1, v11, 4, 0x4000
	global_load_b64 v[7:8], v[9:10], off
	ds_load_2addr_b64 v[1:4], v1 offset1:1
.LBB110_182:                            ;   Parent Loop BB110_181 Depth=1
                                        ; =>  This Inner Loop Header: Depth=2
	s_waitcnt vmcnt(0) lgkmcnt(0)
	v_add_f64 v[5:6], v[7:8], v[1:2]
	global_atomic_cmpswap_b64 v[5:6], v[9:10], v[5:8], off glc
	s_waitcnt vmcnt(0)
	v_cmp_eq_u64_e32 vcc_lo, v[5:6], v[7:8]
	v_dual_mov_b32 v8, v6 :: v_dual_mov_b32 v7, v5
	s_or_b32 s11, vcc_lo, s11
	s_delay_alu instid0(SALU_CYCLE_1)
	s_and_not1_b32 exec_lo, exec_lo, s11
	s_cbranch_execnz .LBB110_182
; %bb.183:                              ;   in Loop: Header=BB110_181 Depth=1
	s_or_b32 exec_lo, exec_lo, s11
	global_load_b64 v[7:8], v[9:10], off offset:8
	s_mov_b32 s11, 0
.LBB110_184:                            ;   Parent Loop BB110_181 Depth=1
                                        ; =>  This Inner Loop Header: Depth=2
	s_waitcnt vmcnt(0)
	v_add_f64 v[5:6], v[7:8], v[3:4]
	global_atomic_cmpswap_b64 v[1:2], v[9:10], v[5:8], off offset:8 glc
	s_waitcnt vmcnt(0)
	v_cmp_eq_u64_e32 vcc_lo, v[1:2], v[7:8]
	v_dual_mov_b32 v8, v2 :: v_dual_mov_b32 v7, v1
	s_or_b32 s11, vcc_lo, s11
	s_delay_alu instid0(SALU_CYCLE_1)
	s_and_not1_b32 exec_lo, exec_lo, s11
	s_cbranch_execnz .LBB110_184
; %bb.185:                              ;   in Loop: Header=BB110_181 Depth=1
	s_or_b32 exec_lo, exec_lo, s11
	v_add_nc_u32_e32 v11, 0x100, v11
	s_delay_alu instid0(VALU_DEP_1) | instskip(SKIP_1) | instid1(SALU_CYCLE_1)
	v_cmp_le_i32_e32 vcc_lo, s0, v11
	s_or_b32 s5, vcc_lo, s5
	s_and_not1_b32 exec_lo, exec_lo, s5
	s_cbranch_execnz .LBB110_181
.LBB110_186:
	s_set_inst_prefetch_distance 0x2
	s_or_b32 exec_lo, exec_lo, s4
	s_mul_i32 s4, s7, s16
	s_add_i32 s5, s7, 1
	s_sub_i32 s4, s1, s4
	v_add_nc_u32_e32 v9, s22, v0
	s_sub_i32 s11, s4, s16
	s_cmp_ge_u32 s4, s16
	s_cselect_b32 s5, s5, s7
	s_cselect_b32 s4, s11, s4
	s_add_i32 s7, s5, 1
	s_cmp_ge_u32 s4, s16
	s_barrier
	s_cselect_b32 s4, s7, s5
	s_mov_b32 s7, -1
	s_add_i32 s4, s4, -1
	buffer_gl0_inv
	s_ashr_i32 s5, s4, 1
	s_delay_alu instid0(SALU_CYCLE_1) | instskip(NEXT) | instid1(SALU_CYCLE_1)
	s_or_b32 s4, s5, s4
	s_ashr_i32 s5, s4, 2
	s_delay_alu instid0(SALU_CYCLE_1) | instskip(NEXT) | instid1(SALU_CYCLE_1)
	s_or_b32 s4, s5, s4
	;; [unrolled: 3-line block ×5, first 2 shown]
	s_add_i32 s4, s4, 1
	s_delay_alu instid0(SALU_CYCLE_1) | instskip(NEXT) | instid1(SALU_CYCLE_1)
	s_ashr_i32 s5, s4, 1
	s_cmp_gt_i32 s5, 1
	s_cbranch_scc1 .LBB110_199
; %bb.187:
	s_mov_b32 s7, exec_lo
	v_cmpx_gt_i32_e64 s23, v9
	s_cbranch_execz .LBB110_198
; %bb.188:
	s_sub_i32 s10, s10, s23
	v_mov_b32_e32 v10, v9
	s_lshl_b32 s12, s6, 4
	s_lshl_b32 s10, s10, 4
	s_mov_b32 s11, 0
	s_addk_i32 s10, 0x4000
	s_sub_i32 s12, 0, s12
.LBB110_189:                            ; =>This Loop Header: Depth=1
                                        ;     Child Loop BB110_191 Depth 2
                                        ;     Child Loop BB110_194 Depth 2
	;; [unrolled: 1-line block ×3, first 2 shown]
	v_ashrrev_i32_e32 v11, 31, v10
	v_mov_b32_e32 v12, 0
	v_mov_b32_e32 v13, 0
	s_delay_alu instid0(VALU_DEP_2) | instskip(SKIP_2) | instid1(VALU_DEP_3)
	v_mov_b32_e32 v5, v12
	s_mov_b32 s13, exec_lo
	v_lshlrev_b64 v[1:2], 2, v[10:11]
	v_mov_b32_e32 v6, v13
	s_delay_alu instid0(VALU_DEP_2) | instskip(NEXT) | instid1(VALU_DEP_3)
	v_add_co_u32 v1, vcc_lo, s8, v1
	v_add_co_ci_u32_e32 v2, vcc_lo, s9, v2, vcc_lo
	global_load_b64 v[1:2], v[1:2], off
	s_waitcnt vmcnt(0)
	v_cmpx_lt_i32_e64 v1, v2
	s_cbranch_execz .LBB110_193
; %bb.190:                              ;   in Loop: Header=BB110_189 Depth=1
	v_mov_b32_e32 v12, 0
	v_mov_b32_e32 v13, 0
	v_subrev_nc_u32_e32 v2, s6, v2
	v_subrev_nc_u32_e32 v3, s6, v1
	v_lshl_add_u32 v1, v1, 4, s12
	s_delay_alu instid0(VALU_DEP_4)
	v_dual_mov_b32 v5, v12 :: v_dual_mov_b32 v6, v13
	s_mov_b32 s14, 0
.LBB110_191:                            ;   Parent Loop BB110_189 Depth=1
                                        ; =>  This Inner Loop Header: Depth=2
	ds_load_b128 v[14:17], v1
	v_add_nc_u32_e32 v3, 1, v3
	v_add_nc_u32_e32 v1, 16, v1
	s_delay_alu instid0(VALU_DEP_2)
	v_cmp_ge_i32_e32 vcc_lo, v3, v2
	s_or_b32 s14, vcc_lo, s14
	s_waitcnt lgkmcnt(0)
	v_add_f64 v[5:6], v[5:6], v[14:15]
	v_add_f64 v[12:13], v[12:13], v[16:17]
	s_and_not1_b32 exec_lo, exec_lo, s14
	s_cbranch_execnz .LBB110_191
; %bb.192:                              ;   in Loop: Header=BB110_189 Depth=1
	s_or_b32 exec_lo, exec_lo, s14
.LBB110_193:                            ;   in Loop: Header=BB110_189 Depth=1
	s_delay_alu instid0(SALU_CYCLE_1) | instskip(SKIP_2) | instid1(VALU_DEP_1)
	s_or_b32 exec_lo, exec_lo, s13
	v_lshlrev_b64 v[1:2], 4, v[10:11]
	s_mov_b32 s13, 0
	v_add_co_u32 v14, vcc_lo, s20, v1
	s_delay_alu instid0(VALU_DEP_2)
	v_add_co_ci_u32_e32 v15, vcc_lo, s21, v2, vcc_lo
	v_lshl_add_u32 v1, v10, 4, s10
	global_load_b64 v[7:8], v[14:15], off
	ds_load_2addr_b64 v[1:4], v1 offset1:1
	s_waitcnt lgkmcnt(0)
	v_add_f64 v[1:2], v[5:6], v[1:2]
.LBB110_194:                            ;   Parent Loop BB110_189 Depth=1
                                        ; =>  This Inner Loop Header: Depth=2
	s_waitcnt vmcnt(0)
	s_delay_alu instid0(VALU_DEP_1)
	v_add_f64 v[5:6], v[7:8], v[1:2]
	global_atomic_cmpswap_b64 v[5:6], v[14:15], v[5:8], off glc
	s_waitcnt vmcnt(0)
	v_cmp_eq_u64_e32 vcc_lo, v[5:6], v[7:8]
	v_dual_mov_b32 v8, v6 :: v_dual_mov_b32 v7, v5
	s_or_b32 s13, vcc_lo, s13
	s_delay_alu instid0(SALU_CYCLE_1)
	s_and_not1_b32 exec_lo, exec_lo, s13
	s_cbranch_execnz .LBB110_194
; %bb.195:                              ;   in Loop: Header=BB110_189 Depth=1
	s_or_b32 exec_lo, exec_lo, s13
	global_load_b64 v[5:6], v[14:15], off offset:8
	v_add_f64 v[1:2], v[12:13], v[3:4]
	s_mov_b32 s13, 0
.LBB110_196:                            ;   Parent Loop BB110_189 Depth=1
                                        ; =>  This Inner Loop Header: Depth=2
	s_waitcnt vmcnt(0)
	s_delay_alu instid0(VALU_DEP_1)
	v_add_f64 v[3:4], v[5:6], v[1:2]
	global_atomic_cmpswap_b64 v[3:4], v[14:15], v[3:6], off offset:8 glc
	s_waitcnt vmcnt(0)
	v_cmp_eq_u64_e32 vcc_lo, v[3:4], v[5:6]
	v_dual_mov_b32 v6, v4 :: v_dual_mov_b32 v5, v3
	s_or_b32 s13, vcc_lo, s13
	s_delay_alu instid0(SALU_CYCLE_1)
	s_and_not1_b32 exec_lo, exec_lo, s13
	s_cbranch_execnz .LBB110_196
; %bb.197:                              ;   in Loop: Header=BB110_189 Depth=1
	s_or_b32 exec_lo, exec_lo, s13
	v_add_nc_u32_e32 v10, s1, v10
	s_delay_alu instid0(VALU_DEP_1) | instskip(SKIP_1) | instid1(SALU_CYCLE_1)
	v_cmp_le_i32_e32 vcc_lo, s23, v10
	s_or_b32 s11, vcc_lo, s11
	s_and_not1_b32 exec_lo, exec_lo, s11
	s_cbranch_execnz .LBB110_189
.LBB110_198:
	s_or_b32 exec_lo, exec_lo, s7
	s_mov_b32 s7, 0
.LBB110_199:
	s_delay_alu instid0(SALU_CYCLE_1)
	s_and_not1_b32 vcc_lo, exec_lo, s7
	s_cbranch_vccnz .LBB110_226
; %bb.200:
	v_cvt_f32_u32_e32 v1, s5
	s_sub_i32 s1, 0, s5
	s_delay_alu instid0(VALU_DEP_1) | instskip(SKIP_2) | instid1(VALU_DEP_1)
	v_rcp_iflag_f32_e32 v1, v1
	s_waitcnt_depctr 0xfff
	v_mul_f32_e32 v1, 0x4f7ffffe, v1
	v_cvt_u32_f32_e32 v1, v1
	s_delay_alu instid0(VALU_DEP_1) | instskip(NEXT) | instid1(VALU_DEP_1)
	v_mul_lo_u32 v2, s1, v1
	v_mul_hi_u32 v2, v1, v2
	s_delay_alu instid0(VALU_DEP_1) | instskip(NEXT) | instid1(VALU_DEP_1)
	v_add_nc_u32_e32 v1, v1, v2
	v_mul_hi_u32 v1, v0, v1
	s_delay_alu instid0(VALU_DEP_1) | instskip(SKIP_1) | instid1(VALU_DEP_2)
	v_mul_lo_u32 v2, v1, s5
	v_add_nc_u32_e32 v3, 1, v1
	v_sub_nc_u32_e32 v2, v0, v2
	s_delay_alu instid0(VALU_DEP_1) | instskip(SKIP_1) | instid1(VALU_DEP_2)
	v_subrev_nc_u32_e32 v4, s5, v2
	v_cmp_le_u32_e32 vcc_lo, s5, v2
	v_dual_cndmask_b32 v1, v1, v3 :: v_dual_cndmask_b32 v2, v2, v4
	s_delay_alu instid0(VALU_DEP_1) | instskip(NEXT) | instid1(VALU_DEP_2)
	v_add_nc_u32_e32 v3, 1, v1
	v_cmp_le_u32_e32 vcc_lo, s5, v2
	s_delay_alu instid0(VALU_DEP_2) | instskip(SKIP_2) | instid1(VALU_DEP_3)
	v_cndmask_b32_e32 v1, v1, v3, vcc_lo
	v_mov_b32_e32 v3, 0
	v_mov_b32_e32 v4, 0
	v_lshlrev_b32_e32 v2, 2, v1
	v_cmp_gt_i32_e32 vcc_lo, s16, v1
	global_load_b64 v[6:7], v2, s[2:3]
	v_dual_mov_b32 v1, v3 :: v_dual_mov_b32 v2, v4
	s_and_saveexec_b32 s1, vcc_lo
	s_cbranch_execz .LBB110_214
; %bb.201:
	s_abs_i32 s2, s5
	s_waitcnt vmcnt(0)
	v_subrev_nc_u32_e32 v5, s6, v6
	v_cvt_f32_u32_e32 v1, s2
	s_sub_i32 s3, 0, s2
	v_subrev_nc_u32_e32 v8, s6, v7
	s_delay_alu instid0(VALU_DEP_2) | instskip(NEXT) | instid1(VALU_DEP_1)
	v_rcp_iflag_f32_e32 v1, v1
	v_sub_nc_u32_e32 v3, v8, v5
	s_delay_alu instid0(VALU_DEP_1) | instskip(SKIP_4) | instid1(VALU_DEP_3)
	v_sub_nc_u32_e32 v4, 0, v3
	s_waitcnt_depctr 0xfff
	v_mul_f32_e32 v1, 0x4f7ffffe, v1
	v_max_i32_e32 v4, v3, v4
	v_ashrrev_i32_e32 v3, 31, v3
	v_cvt_u32_f32_e32 v1, v1
	s_delay_alu instid0(VALU_DEP_1) | instskip(SKIP_1) | instid1(VALU_DEP_1)
	v_mul_lo_u32 v2, s3, v1
	s_ashr_i32 s3, s5, 31
	v_mul_hi_u32 v2, v1, v2
	s_delay_alu instid0(VALU_DEP_1) | instskip(NEXT) | instid1(VALU_DEP_1)
	v_add_nc_u32_e32 v7, v1, v2
	v_mad_u64_u32 v[1:2], null, v4, v7, 0
	s_delay_alu instid0(VALU_DEP_1) | instskip(NEXT) | instid1(VALU_DEP_1)
	v_mul_lo_u32 v1, v2, s2
	v_sub_nc_u32_e32 v1, v4, v1
	v_add_nc_u32_e32 v4, 1, v2
	s_delay_alu instid0(VALU_DEP_2) | instskip(SKIP_1) | instid1(VALU_DEP_2)
	v_subrev_nc_u32_e32 v7, s2, v1
	v_cmp_le_u32_e32 vcc_lo, s2, v1
	v_dual_cndmask_b32 v2, v2, v4 :: v_dual_cndmask_b32 v1, v1, v7
	v_xor_b32_e32 v7, s3, v3
	s_delay_alu instid0(VALU_DEP_2) | instskip(NEXT) | instid1(VALU_DEP_3)
	v_add_nc_u32_e32 v4, 1, v2
	v_cmp_le_u32_e32 vcc_lo, s2, v1
	s_add_i32 s2, s5, -1
	s_delay_alu instid0(SALU_CYCLE_1) | instskip(SKIP_4) | instid1(VALU_DEP_3)
	v_and_b32_e32 v10, s2, v0
	s_mov_b32 s2, exec_lo
	v_cndmask_b32_e32 v1, v2, v4, vcc_lo
	v_mov_b32_e32 v3, 0
	v_mov_b32_e32 v4, 0
	v_xor_b32_e32 v1, v1, v7
	s_delay_alu instid0(VALU_DEP_1) | instskip(NEXT) | instid1(VALU_DEP_3)
	v_sub_nc_u32_e32 v11, v1, v7
	v_dual_mov_b32 v1, v3 :: v_dual_mov_b32 v2, v4
	s_delay_alu instid0(VALU_DEP_2)
	v_cmpx_lt_i32_e32 0, v11
	s_cbranch_execz .LBB110_211
; %bb.202:
	v_mov_b32_e32 v1, 0
	v_dual_mov_b32 v2, 0 :: v_dual_mov_b32 v7, 0
	s_mov_b32 s3, exec_lo
	s_delay_alu instid0(VALU_DEP_1)
	v_dual_mov_b32 v4, v2 :: v_dual_mov_b32 v3, v1
	v_cmpx_lt_u32_e32 7, v11
	s_cbranch_execz .LBB110_206
; %bb.203:
	v_add_nc_u32_e32 v1, v6, v10
	v_mov_b32_e32 v3, 0
	v_dual_mov_b32 v4, 0 :: v_dual_and_b32 v7, 0x7ffffff8, v11
	s_lshl_b32 s7, s5, 7
	s_delay_alu instid0(VALU_DEP_3) | instskip(SKIP_3) | instid1(VALU_DEP_1)
	v_subrev_nc_u32_e32 v1, s6, v1
	s_lshl_b32 s9, s5, 4
	s_mov_b32 s8, 0
	s_mov_b32 s10, 0
	v_dual_mov_b32 v1, v3 :: v_dual_lshlrev_b32 v12, 4, v1
	v_mov_b32_e32 v2, v4
.LBB110_204:                            ; =>This Inner Loop Header: Depth=1
	ds_load_b128 v[13:16], v12
	s_add_i32 s10, s10, 8
	s_delay_alu instid0(SALU_CYCLE_1)
	v_cmp_eq_u32_e32 vcc_lo, s10, v7
	s_or_b32 s8, vcc_lo, s8
	s_waitcnt lgkmcnt(0)
	v_add_f64 v[17:18], v[1:2], v[13:14]
	v_add_f64 v[19:20], v[3:4], v[15:16]
	v_add_nc_u32_e32 v13, s9, v12
	v_add_nc_u32_e32 v12, s7, v12
	ds_load_b128 v[1:4], v13
	v_add_nc_u32_e32 v21, s9, v13
	ds_load_b128 v[13:16], v21
	s_waitcnt lgkmcnt(1)
	v_add_f64 v[1:2], v[17:18], v[1:2]
	v_add_f64 v[3:4], v[19:20], v[3:4]
	s_waitcnt lgkmcnt(0)
	s_delay_alu instid0(VALU_DEP_2) | instskip(NEXT) | instid1(VALU_DEP_2)
	v_add_f64 v[17:18], v[1:2], v[13:14]
	v_add_f64 v[19:20], v[3:4], v[15:16]
	v_add_nc_u32_e32 v13, s9, v21
	ds_load_b128 v[1:4], v13
	v_add_nc_u32_e32 v21, s9, v13
	ds_load_b128 v[13:16], v21
	s_waitcnt lgkmcnt(1)
	v_add_f64 v[1:2], v[17:18], v[1:2]
	v_add_f64 v[3:4], v[19:20], v[3:4]
	v_add_nc_u32_e32 v17, s9, v21
	s_waitcnt lgkmcnt(0)
	s_delay_alu instid0(VALU_DEP_3) | instskip(NEXT) | instid1(VALU_DEP_3)
	v_add_f64 v[13:14], v[1:2], v[13:14]
	v_add_f64 v[15:16], v[3:4], v[15:16]
	ds_load_b128 v[1:4], v17
	v_add_nc_u32_e32 v17, s9, v17
	s_waitcnt lgkmcnt(0)
	v_add_f64 v[13:14], v[13:14], v[1:2]
	v_add_f64 v[15:16], v[15:16], v[3:4]
	ds_load_2addr_b64 v[1:4], v17 offset1:1
	s_waitcnt lgkmcnt(0)
	v_add_f64 v[13:14], v[13:14], v[1:2]
	v_add_f64 v[15:16], v[15:16], v[3:4]
	v_add_nc_u32_e32 v1, s9, v17
	ds_load_2addr_b64 v[1:4], v1 offset1:1
	s_waitcnt lgkmcnt(0)
	v_add_f64 v[1:2], v[13:14], v[1:2]
	v_add_f64 v[3:4], v[15:16], v[3:4]
	s_and_not1_b32 exec_lo, exec_lo, s8
	s_cbranch_execnz .LBB110_204
; %bb.205:
	s_or_b32 exec_lo, exec_lo, s8
.LBB110_206:
	s_delay_alu instid0(SALU_CYCLE_1) | instskip(SKIP_3) | instid1(VALU_DEP_1)
	s_or_b32 exec_lo, exec_lo, s3
	v_and_b32_e32 v12, 7, v11
	s_mov_b32 s7, 0
	s_mov_b32 s3, exec_lo
	v_cmpx_ne_u32_e32 0, v12
	s_cbranch_execz .LBB110_210
; %bb.207:
	v_mul_lo_u32 v7, v7, s5
	s_delay_alu instid0(VALU_DEP_1) | instskip(NEXT) | instid1(VALU_DEP_1)
	v_add3_u32 v6, v6, v10, v7
	v_subrev_nc_u32_e32 v6, s6, v6
	s_lshl_b32 s6, s5, 4
	s_delay_alu instid0(VALU_DEP_1)
	v_lshlrev_b32_e32 v6, 4, v6
.LBB110_208:                            ; =>This Inner Loop Header: Depth=1
	ds_load_b128 v[13:16], v6
	v_add_nc_u32_e32 v12, -1, v12
	v_add_nc_u32_e32 v6, s6, v6
	s_delay_alu instid0(VALU_DEP_2)
	v_cmp_eq_u32_e32 vcc_lo, 0, v12
	s_or_b32 s7, vcc_lo, s7
	s_waitcnt lgkmcnt(0)
	v_add_f64 v[1:2], v[1:2], v[13:14]
	v_add_f64 v[3:4], v[3:4], v[15:16]
	s_and_not1_b32 exec_lo, exec_lo, s7
	s_cbranch_execnz .LBB110_208
; %bb.209:
	s_or_b32 exec_lo, exec_lo, s7
.LBB110_210:
	s_delay_alu instid0(SALU_CYCLE_1)
	s_or_b32 exec_lo, exec_lo, s3
.LBB110_211:
	s_delay_alu instid0(SALU_CYCLE_1) | instskip(SKIP_2) | instid1(VALU_DEP_1)
	s_or_b32 exec_lo, exec_lo, s2
	v_mad_u64_u32 v[6:7], null, v11, s5, v[5:6]
	s_mov_b32 s2, exec_lo
	v_sub_nc_u32_e32 v5, v8, v6
	s_delay_alu instid0(VALU_DEP_1)
	v_cmpx_lt_i32_e64 v10, v5
	s_cbranch_execz .LBB110_213
; %bb.212:
	v_add_lshl_u32 v5, v6, v10, 4
	ds_load_b128 v[5:8], v5
	s_waitcnt lgkmcnt(0)
	v_add_f64 v[1:2], v[1:2], v[5:6]
	v_add_f64 v[3:4], v[3:4], v[7:8]
.LBB110_213:
	s_or_b32 exec_lo, exec_lo, s2
.LBB110_214:
	s_delay_alu instid0(SALU_CYCLE_1)
	s_or_b32 exec_lo, exec_lo, s1
	v_cmp_gt_i32_e32 vcc_lo, s16, v0
	s_waitcnt vmcnt(0)
	s_barrier
	buffer_gl0_inv
	ds_store_b128 v23, v[1:4]
	s_waitcnt lgkmcnt(0)
	s_barrier
	buffer_gl0_inv
	s_and_b32 exec_lo, exec_lo, vcc_lo
	s_cbranch_execz .LBB110_226
; %bb.215:
	v_mul_lo_u32 v1, s5, v0
	v_mov_b32_e32 v4, 0
	v_mov_b32_e32 v5, 0
	s_cmp_lt_u32 s5, 8
	s_cbranch_scc1 .LBB110_218
; %bb.216:
	s_delay_alu instid0(VALU_DEP_3) | instskip(SKIP_1) | instid1(VALU_DEP_2)
	v_dual_mov_b32 v11, 0 :: v_dual_lshlrev_b32 v2, 4, v1
	v_mov_b32_e32 v12, 0
	v_mov_b32_e32 v4, v11
	s_and_b32 s1, s5, 0x7ffffff8
	s_mov_b32 s2, 0
	s_delay_alu instid0(VALU_DEP_2)
	v_mov_b32_e32 v5, v12
.LBB110_217:                            ; =>This Inner Loop Header: Depth=1
	ds_load_b128 v[13:16], v2
	ds_load_b128 v[17:20], v2 offset:16
	s_add_i32 s2, s2, 8
	s_delay_alu instid0(SALU_CYCLE_1) | instskip(SKIP_4) | instid1(VALU_DEP_2)
	s_cmp_eq_u32 s1, s2
	s_waitcnt lgkmcnt(1)
	v_add_f64 v[3:4], v[4:5], v[13:14]
	v_add_f64 v[5:6], v[11:12], v[15:16]
	s_waitcnt lgkmcnt(0)
	v_add_f64 v[7:8], v[3:4], v[17:18]
	s_delay_alu instid0(VALU_DEP_2)
	v_add_f64 v[14:15], v[5:6], v[19:20]
	ds_load_b128 v[3:6], v2 offset:32
	ds_load_b128 v[10:13], v2 offset:48
	s_waitcnt lgkmcnt(1)
	v_add_f64 v[3:4], v[7:8], v[3:4]
	v_add_f64 v[5:6], v[14:15], v[5:6]
	s_waitcnt lgkmcnt(0)
	s_delay_alu instid0(VALU_DEP_2) | instskip(NEXT) | instid1(VALU_DEP_2)
	v_add_f64 v[7:8], v[3:4], v[10:11]
	v_add_f64 v[14:15], v[5:6], v[12:13]
	ds_load_b128 v[3:6], v2 offset:64
	ds_load_b128 v[10:13], v2 offset:80
	s_waitcnt lgkmcnt(1)
	v_add_f64 v[3:4], v[7:8], v[3:4]
	v_add_f64 v[5:6], v[14:15], v[5:6]
	s_waitcnt lgkmcnt(0)
	s_delay_alu instid0(VALU_DEP_2) | instskip(NEXT) | instid1(VALU_DEP_2)
	v_add_f64 v[7:8], v[3:4], v[10:11]
	v_add_f64 v[14:15], v[5:6], v[12:13]
	ds_load_b128 v[3:6], v2 offset:96
	ds_load_b128 v[10:13], v2 offset:112
	v_add_nc_u32_e32 v2, 0x80, v2
	s_waitcnt lgkmcnt(1)
	v_add_f64 v[3:4], v[7:8], v[3:4]
	v_add_f64 v[6:7], v[14:15], v[5:6]
	s_waitcnt lgkmcnt(0)
	s_delay_alu instid0(VALU_DEP_2) | instskip(NEXT) | instid1(VALU_DEP_2)
	v_add_f64 v[4:5], v[3:4], v[10:11]
	v_add_f64 v[11:12], v[6:7], v[12:13]
	s_cbranch_scc0 .LBB110_217
	s_branch .LBB110_219
.LBB110_218:
	s_delay_alu instid0(VALU_DEP_1)
	v_dual_mov_b32 v12, v5 :: v_dual_mov_b32 v11, v4
	s_mov_b32 s1, 0
.LBB110_219:
	s_bfe_u32 s2, s4, 0x30001
	s_delay_alu instid0(SALU_CYCLE_1)
	s_cmp_eq_u32 s2, 0
	s_cbranch_scc1 .LBB110_222
; %bb.220:
	v_add_lshl_u32 v1, s1, v1, 4
.LBB110_221:                            ; =>This Inner Loop Header: Depth=1
	ds_load_b128 v[13:16], v1
	v_add_nc_u32_e32 v1, 16, v1
	s_add_i32 s2, s2, -1
	s_delay_alu instid0(SALU_CYCLE_1)
	s_cmp_lg_u32 s2, 0
	s_waitcnt lgkmcnt(0)
	v_add_f64 v[4:5], v[4:5], v[13:14]
	v_add_f64 v[11:12], v[11:12], v[15:16]
	s_cbranch_scc1 .LBB110_221
.LBB110_222:
	v_ashrrev_i32_e32 v10, 31, v9
	v_lshlrev_b32_e32 v0, 4, v0
	s_lshl_b32 s0, s0, 4
	s_delay_alu instid0(VALU_DEP_2) | instskip(NEXT) | instid1(VALU_DEP_2)
	v_lshlrev_b64 v[1:2], 4, v[9:10]
	v_add3_u32 v0, 0x4000, s0, v0
	s_mov_b32 s0, 0
	s_delay_alu instid0(VALU_DEP_2) | instskip(NEXT) | instid1(VALU_DEP_3)
	v_add_co_u32 v8, vcc_lo, s20, v1
	v_add_co_ci_u32_e32 v9, vcc_lo, s21, v2, vcc_lo
	ds_load_2addr_b64 v[0:3], v0 offset1:1
	global_load_b64 v[6:7], v[8:9], off
	s_waitcnt lgkmcnt(0)
	v_add_f64 v[0:1], v[4:5], v[0:1]
.LBB110_223:                            ; =>This Inner Loop Header: Depth=1
	s_waitcnt vmcnt(0)
	s_delay_alu instid0(VALU_DEP_1)
	v_add_f64 v[4:5], v[6:7], v[0:1]
	global_atomic_cmpswap_b64 v[4:5], v[8:9], v[4:7], off glc
	s_waitcnt vmcnt(0)
	v_cmp_eq_u64_e32 vcc_lo, v[4:5], v[6:7]
	v_dual_mov_b32 v7, v5 :: v_dual_mov_b32 v6, v4
	s_or_b32 s0, vcc_lo, s0
	s_delay_alu instid0(SALU_CYCLE_1)
	s_and_not1_b32 exec_lo, exec_lo, s0
	s_cbranch_execnz .LBB110_223
; %bb.224:
	s_or_b32 exec_lo, exec_lo, s0
	global_load_b64 v[4:5], v[8:9], off offset:8
	v_add_f64 v[0:1], v[11:12], v[2:3]
	s_mov_b32 s0, 0
.LBB110_225:                            ; =>This Inner Loop Header: Depth=1
	s_waitcnt vmcnt(0)
	s_delay_alu instid0(VALU_DEP_1)
	v_add_f64 v[2:3], v[4:5], v[0:1]
	global_atomic_cmpswap_b64 v[2:3], v[8:9], v[2:5], off offset:8 glc
	s_waitcnt vmcnt(0)
	v_cmp_eq_u64_e32 vcc_lo, v[2:3], v[4:5]
	v_dual_mov_b32 v5, v3 :: v_dual_mov_b32 v4, v2
	s_or_b32 s0, vcc_lo, s0
	s_delay_alu instid0(SALU_CYCLE_1)
	s_and_not1_b32 exec_lo, exec_lo, s0
	s_cbranch_execnz .LBB110_225
.LBB110_226:
	s_endpgm
	.section	.rodata,"a",@progbits
	.p2align	6, 0x0
	.amdhsa_kernel _ZN9rocsparseL27csrmvn_symm_adaptive_kernelIii21rocsparse_complex_numIfES1_IdES3_S3_EEvbT_S4_PKS4_NS_24const_host_device_scalarIT4_EES6_PKT0_PKT1_PKT2_S9_PT3_21rocsparse_index_base_b
		.amdhsa_group_segment_fixed_size 16384
		.amdhsa_private_segment_fixed_size 24
		.amdhsa_kernarg_size 360
		.amdhsa_user_sgpr_count 15
		.amdhsa_user_sgpr_dispatch_ptr 0
		.amdhsa_user_sgpr_queue_ptr 0
		.amdhsa_user_sgpr_kernarg_segment_ptr 1
		.amdhsa_user_sgpr_dispatch_id 0
		.amdhsa_user_sgpr_private_segment_size 0
		.amdhsa_wavefront_size32 1
		.amdhsa_uses_dynamic_stack 0
		.amdhsa_enable_private_segment 1
		.amdhsa_system_sgpr_workgroup_id_x 1
		.amdhsa_system_sgpr_workgroup_id_y 0
		.amdhsa_system_sgpr_workgroup_id_z 0
		.amdhsa_system_sgpr_workgroup_info 0
		.amdhsa_system_vgpr_workitem_id 0
		.amdhsa_next_free_vgpr 36
		.amdhsa_next_free_sgpr 38
		.amdhsa_reserve_vcc 1
		.amdhsa_float_round_mode_32 0
		.amdhsa_float_round_mode_16_64 0
		.amdhsa_float_denorm_mode_32 3
		.amdhsa_float_denorm_mode_16_64 3
		.amdhsa_dx10_clamp 1
		.amdhsa_ieee_mode 1
		.amdhsa_fp16_overflow 0
		.amdhsa_workgroup_processor_mode 1
		.amdhsa_memory_ordered 1
		.amdhsa_forward_progress 0
		.amdhsa_shared_vgpr_count 0
		.amdhsa_exception_fp_ieee_invalid_op 0
		.amdhsa_exception_fp_denorm_src 0
		.amdhsa_exception_fp_ieee_div_zero 0
		.amdhsa_exception_fp_ieee_overflow 0
		.amdhsa_exception_fp_ieee_underflow 0
		.amdhsa_exception_fp_ieee_inexact 0
		.amdhsa_exception_int_div_zero 0
	.end_amdhsa_kernel
	.section	.text._ZN9rocsparseL27csrmvn_symm_adaptive_kernelIii21rocsparse_complex_numIfES1_IdES3_S3_EEvbT_S4_PKS4_NS_24const_host_device_scalarIT4_EES6_PKT0_PKT1_PKT2_S9_PT3_21rocsparse_index_base_b,"axG",@progbits,_ZN9rocsparseL27csrmvn_symm_adaptive_kernelIii21rocsparse_complex_numIfES1_IdES3_S3_EEvbT_S4_PKS4_NS_24const_host_device_scalarIT4_EES6_PKT0_PKT1_PKT2_S9_PT3_21rocsparse_index_base_b,comdat
.Lfunc_end110:
	.size	_ZN9rocsparseL27csrmvn_symm_adaptive_kernelIii21rocsparse_complex_numIfES1_IdES3_S3_EEvbT_S4_PKS4_NS_24const_host_device_scalarIT4_EES6_PKT0_PKT1_PKT2_S9_PT3_21rocsparse_index_base_b, .Lfunc_end110-_ZN9rocsparseL27csrmvn_symm_adaptive_kernelIii21rocsparse_complex_numIfES1_IdES3_S3_EEvbT_S4_PKS4_NS_24const_host_device_scalarIT4_EES6_PKT0_PKT1_PKT2_S9_PT3_21rocsparse_index_base_b
                                        ; -- End function
	.section	.AMDGPU.csdata,"",@progbits
; Kernel info:
; codeLenInByte = 11136
; NumSgprs: 40
; NumVgprs: 36
; ScratchSize: 24
; MemoryBound: 0
; FloatMode: 240
; IeeeMode: 1
; LDSByteSize: 16384 bytes/workgroup (compile time only)
; SGPRBlocks: 4
; VGPRBlocks: 4
; NumSGPRsForWavesPerEU: 40
; NumVGPRsForWavesPerEU: 36
; Occupancy: 16
; WaveLimiterHint : 1
; COMPUTE_PGM_RSRC2:SCRATCH_EN: 1
; COMPUTE_PGM_RSRC2:USER_SGPR: 15
; COMPUTE_PGM_RSRC2:TRAP_HANDLER: 0
; COMPUTE_PGM_RSRC2:TGID_X_EN: 1
; COMPUTE_PGM_RSRC2:TGID_Y_EN: 0
; COMPUTE_PGM_RSRC2:TGID_Z_EN: 0
; COMPUTE_PGM_RSRC2:TIDIG_COMP_CNT: 0
	.section	.text._ZL33csrmvn_symm_large_adaptive_kernelIii21rocsparse_complex_numIfES0_IdES2_S2_EvbT_PKS3_N9rocsparse24const_host_device_scalarIT4_EES5_PKT0_PKT1_PKT2_S9_PT3_21rocsparse_index_base_b,"axG",@progbits,_ZL33csrmvn_symm_large_adaptive_kernelIii21rocsparse_complex_numIfES0_IdES2_S2_EvbT_PKS3_N9rocsparse24const_host_device_scalarIT4_EES5_PKT0_PKT1_PKT2_S9_PT3_21rocsparse_index_base_b,comdat
	.globl	_ZL33csrmvn_symm_large_adaptive_kernelIii21rocsparse_complex_numIfES0_IdES2_S2_EvbT_PKS3_N9rocsparse24const_host_device_scalarIT4_EES5_PKT0_PKT1_PKT2_S9_PT3_21rocsparse_index_base_b ; -- Begin function _ZL33csrmvn_symm_large_adaptive_kernelIii21rocsparse_complex_numIfES0_IdES2_S2_EvbT_PKS3_N9rocsparse24const_host_device_scalarIT4_EES5_PKT0_PKT1_PKT2_S9_PT3_21rocsparse_index_base_b
	.p2align	8
	.type	_ZL33csrmvn_symm_large_adaptive_kernelIii21rocsparse_complex_numIfES0_IdES2_S2_EvbT_PKS3_N9rocsparse24const_host_device_scalarIT4_EES5_PKT0_PKT1_PKT2_S9_PT3_21rocsparse_index_base_b,@function
_ZL33csrmvn_symm_large_adaptive_kernelIii21rocsparse_complex_numIfES0_IdES2_S2_EvbT_PKS3_N9rocsparse24const_host_device_scalarIT4_EES5_PKT0_PKT1_PKT2_S9_PT3_21rocsparse_index_base_b: ; @_ZL33csrmvn_symm_large_adaptive_kernelIii21rocsparse_complex_numIfES0_IdES2_S2_EvbT_PKS3_N9rocsparse24const_host_device_scalarIT4_EES5_PKT0_PKT1_PKT2_S9_PT3_21rocsparse_index_base_b
; %bb.0:
	s_clause 0x2
	s_load_b64 s[16:17], s[0:1], 0x58
	s_load_b128 s[8:11], s[0:1], 0x10
	s_load_b128 s[4:7], s[0:1], 0x40
	s_mov_b64 s[2:3], src_private_base
	v_mov_b32_e32 v1, 0
	s_mov_b32 s12, s15
	s_waitcnt lgkmcnt(0)
	s_bitcmp1_b32 s17, 0
	v_dual_mov_b32 v3, s8 :: v_dual_mov_b32 v6, s5
	s_cselect_b32 s2, -1, 0
	v_mov_b32_e32 v4, s9
	s_and_b32 vcc_lo, s2, exec_lo
	s_cselect_b32 s13, s3, s9
	v_cndmask_b32_e64 v1, s8, v1, s2
	v_dual_mov_b32 v5, s4 :: v_dual_mov_b32 v2, s13
	s_clause 0x1
	scratch_store_b64 off, v[3:4], off
	scratch_store_b64 off, v[5:6], off offset:8
	v_dual_mov_b32 v10, s10 :: v_dual_mov_b32 v11, s11
	flat_load_b64 v[8:9], v[1:2]
	s_xor_b32 s10, s2, -1
	s_cbranch_vccnz .LBB111_2
; %bb.1:
	v_dual_mov_b32 v1, s8 :: v_dual_mov_b32 v2, s9
	flat_load_b64 v[10:11], v[1:2] offset:8
.LBB111_2:
	s_and_b32 s8, s2, exec_lo
	s_cselect_b32 s3, s3, s5
	s_delay_alu instid0(SALU_CYCLE_1) | instskip(SKIP_2) | instid1(VALU_DEP_2)
	v_dual_mov_b32 v1, 8 :: v_dual_mov_b32 v2, s3
	v_dual_mov_b32 v3, s6 :: v_dual_mov_b32 v4, s7
	s_and_not1_b32 vcc_lo, exec_lo, s10
	v_cndmask_b32_e64 v1, s4, v1, s2
	flat_load_b64 v[1:2], v[1:2]
	s_cbranch_vccnz .LBB111_4
; %bb.3:
	v_dual_mov_b32 v3, s4 :: v_dual_mov_b32 v4, s5
	flat_load_b64 v[3:4], v[3:4] offset:8
.LBB111_4:
	s_waitcnt vmcnt(1) lgkmcnt(1)
	v_cmp_eq_f64_e32 vcc_lo, 0, v[8:9]
	v_cmp_eq_f64_e64 s2, 0, v[10:11]
	s_delay_alu instid0(VALU_DEP_1)
	s_and_b32 s4, vcc_lo, s2
	s_mov_b32 s2, -1
	s_and_saveexec_b32 s3, s4
	s_cbranch_execz .LBB111_6
; %bb.5:
	s_waitcnt vmcnt(0) lgkmcnt(0)
	v_cmp_neq_f64_e32 vcc_lo, 1.0, v[1:2]
	v_cmp_neq_f64_e64 s2, 0, v[3:4]
	s_delay_alu instid0(VALU_DEP_1) | instskip(NEXT) | instid1(SALU_CYCLE_1)
	s_or_b32 s2, vcc_lo, s2
	s_or_not1_b32 s2, s2, exec_lo
.LBB111_6:
	s_or_b32 exec_lo, exec_lo, s3
	s_and_saveexec_b32 s3, s2
	s_cbranch_execz .LBB111_51
; %bb.7:
	s_clause 0x1
	s_load_b32 s8, s[0:1], 0x0
	s_load_b64 s[2:3], s[0:1], 0x8
	s_mov_b32 s4, 0
	s_delay_alu instid0(SALU_CYCLE_1)
	s_mov_b32 s5, s4
	s_mov_b32 s6, s4
	;; [unrolled: 1-line block ×3, first 2 shown]
	s_waitcnt vmcnt(0) lgkmcnt(0)
	v_dual_mov_b32 v1, s4 :: v_dual_lshlrev_b32 v14, 4, v0
	v_dual_mov_b32 v2, s5 :: v_dual_mov_b32 v3, s6
	v_mov_b32_e32 v4, s7
	ds_store_b128 v14, v[1:4]
	ds_store_b128 v14, v[1:4] offset:4096
	ds_store_b128 v14, v[1:4] offset:8192
	;; [unrolled: 1-line block ×3, first 2 shown]
	s_waitcnt lgkmcnt(0)
	s_waitcnt_vscnt null, 0x0
	s_barrier
	s_bitcmp1_b32 s8, 0
	buffer_gl0_inv
	s_cselect_b32 s17, -1, 0
	s_ashr_i32 s13, s12, 31
	s_delay_alu instid0(SALU_CYCLE_1) | instskip(NEXT) | instid1(SALU_CYCLE_1)
	s_lshl_b64 s[6:7], s[12:13], 2
	s_add_u32 s2, s2, s6
	s_addc_u32 s3, s3, s7
	s_load_b64 s[6:7], s[2:3], 0x0
	s_clause 0x1
	s_load_b64 s[18:19], s[0:1], 0x50
	s_load_b256 s[8:15], s[0:1], 0x20
	s_waitcnt lgkmcnt(0)
	s_cmp_lt_i32 s6, s7
	s_cbranch_scc1 .LBB111_9
; %bb.8:
	s_ashr_i32 s1, s6, 31
	s_mov_b32 s0, s6
	s_delay_alu instid0(SALU_CYCLE_1) | instskip(NEXT) | instid1(SALU_CYCLE_1)
	s_lshl_b64 s[0:1], s[0:1], 2
	s_add_u32 s0, s8, s0
	s_addc_u32 s1, s9, s1
	s_load_b32 s24, s[0:1], 0x0
	v_subrev_nc_u32_e32 v15, s16, v0
	s_and_not1_b32 vcc_lo, exec_lo, s4
	s_cbranch_vccz .LBB111_10
	s_branch .LBB111_39
.LBB111_9:
                                        ; implicit-def: $sgpr24
	v_subrev_nc_u32_e32 v15, s16, v0
.LBB111_10:
	s_ashr_i32 s1, s6, 31
	s_mov_b32 s0, s6
	v_cmp_gt_u32_e32 vcc_lo, 0x100, v0
	s_lshl_b64 s[0:1], s[0:1], 2
	v_cmp_gt_u32_e64 s2, 4, v0
	s_add_u32 s0, s8, s0
	s_addc_u32 s1, s9, s1
	v_cmp_eq_u32_e64 s3, 0, v0
	s_waitcnt lgkmcnt(0)
	s_load_b32 s24, s[0:1], 0x0
	v_cmp_gt_u32_e64 s0, 64, v0
	v_cmp_gt_u32_e64 s1, 16, v0
	v_mov_b32_e32 v16, 0
	s_add_u32 s25, s8, 4
	s_addc_u32 s26, s9, 0
	s_add_u32 s27, s12, 4
	s_addc_u32 s28, s13, 0
	s_mov_b32 s20, s6
	s_waitcnt lgkmcnt(0)
	s_mov_b32 s29, s24
	s_branch .LBB111_12
.LBB111_11:                             ;   in Loop: Header=BB111_12 Depth=1
	s_or_b32 exec_lo, exec_lo, s5
	s_add_i32 s20, s20, 1
	s_delay_alu instid0(SALU_CYCLE_1)
	s_cmp_ge_i32 s20, s7
	s_cbranch_scc1 .LBB111_39
.LBB111_12:                             ; =>This Loop Header: Depth=1
                                        ;     Child Loop BB111_14 Depth 2
                                        ;     Child Loop BB111_28 Depth 2
	;; [unrolled: 1-line block ×5, first 2 shown]
	s_ashr_i32 s21, s20, 31
	s_mov_b32 s22, s29
	s_lshl_b64 s[4:5], s[20:21], 2
	v_mov_b32_e32 v2, 0
	s_add_u32 s4, s25, s4
	s_addc_u32 s5, s26, s5
	v_dual_mov_b32 v3, 0 :: v_dual_add_nc_u32 v4, s22, v15
	s_load_b32 s29, s[4:5], 0x0
	v_mov_b32_e32 v0, v2
	s_mov_b32 s22, exec_lo
	s_delay_alu instid0(VALU_DEP_2) | instskip(SKIP_2) | instid1(SALU_CYCLE_1)
	v_mov_b32_e32 v1, v3
	s_waitcnt lgkmcnt(0)
	s_sub_i32 s23, s29, s16
	v_cmpx_gt_i32_e64 s23, v4
	s_cbranch_execz .LBB111_16
; %bb.13:                               ;   in Loop: Header=BB111_12 Depth=1
	v_ashrrev_i32_e32 v5, 31, v4
	v_mov_b32_e32 v2, 0
	v_mov_b32_e32 v3, 0
	s_mov_b32 s30, 0
	s_delay_alu instid0(VALU_DEP_3) | instskip(SKIP_1) | instid1(VALU_DEP_2)
	v_lshlrev_b64 v[0:1], 2, v[4:5]
	v_lshlrev_b64 v[12:13], 3, v[4:5]
	v_add_co_u32 v5, s4, s10, v0
	s_delay_alu instid0(VALU_DEP_1) | instskip(NEXT) | instid1(VALU_DEP_3)
	v_add_co_ci_u32_e64 v6, s4, s11, v1, s4
	v_add_co_u32 v12, s4, s27, v12
	s_delay_alu instid0(VALU_DEP_1)
	v_add_co_ci_u32_e64 v13, s4, s28, v13, s4
	v_dual_mov_b32 v0, v2 :: v_dual_mov_b32 v1, v3
	s_set_inst_prefetch_distance 0x1
	.p2align	6
.LBB111_14:                             ;   Parent Loop BB111_12 Depth=1
                                        ; =>  This Inner Loop Header: Depth=2
	global_load_b32 v7, v[5:6], off
	global_load_b64 v[21:22], v[12:13], off offset:-4
	v_add_nc_u32_e32 v4, 0x100, v4
	v_add_co_u32 v12, s5, 0x800, v12
	s_delay_alu instid0(VALU_DEP_1)
	v_add_co_ci_u32_e64 v13, s5, 0, v13, s5
	s_waitcnt vmcnt(1)
	v_subrev_nc_u32_e32 v17, s16, v7
	s_waitcnt vmcnt(0)
	v_cndmask_b32_e64 v7, v22, -v22, s17
	v_cvt_f64_f32_e32 v[21:22], v21
	s_delay_alu instid0(VALU_DEP_3) | instskip(NEXT) | instid1(VALU_DEP_3)
	v_ashrrev_i32_e32 v18, 31, v17
	v_cvt_f64_f32_e32 v[23:24], v7
	s_delay_alu instid0(VALU_DEP_2) | instskip(NEXT) | instid1(VALU_DEP_1)
	v_lshlrev_b64 v[17:18], 4, v[17:18]
	v_add_co_u32 v17, s4, s14, v17
	s_delay_alu instid0(VALU_DEP_1) | instskip(SKIP_1) | instid1(VALU_DEP_1)
	v_add_co_ci_u32_e64 v18, s4, s15, v18, s4
	v_add_co_u32 v5, s4, 0x400, v5
	v_add_co_ci_u32_e64 v6, s4, 0, v6, s4
	global_load_b128 v[17:20], v[17:18], off
	v_cmp_le_i32_e64 s4, s23, v4
	s_delay_alu instid0(VALU_DEP_1) | instskip(SKIP_3) | instid1(VALU_DEP_2)
	s_or_b32 s30, s4, s30
	s_waitcnt vmcnt(0)
	v_fma_f64 v[0:1], v[21:22], v[17:18], v[0:1]
	v_fma_f64 v[2:3], v[23:24], v[17:18], v[2:3]
	v_fma_f64 v[0:1], -v[23:24], v[19:20], v[0:1]
	s_delay_alu instid0(VALU_DEP_2)
	v_fma_f64 v[2:3], v[21:22], v[19:20], v[2:3]
	s_and_not1_b32 exec_lo, exec_lo, s30
	s_cbranch_execnz .LBB111_14
; %bb.15:                               ;   in Loop: Header=BB111_12 Depth=1
	s_set_inst_prefetch_distance 0x2
	s_or_b32 exec_lo, exec_lo, s30
.LBB111_16:                             ;   in Loop: Header=BB111_12 Depth=1
	s_delay_alu instid0(SALU_CYCLE_1)
	s_or_b32 exec_lo, exec_lo, s22
	ds_store_b128 v14, v[0:3]
	s_waitcnt lgkmcnt(0)
	s_barrier
	buffer_gl0_inv
	s_and_saveexec_b32 s4, vcc_lo
	s_cbranch_execz .LBB111_18
; %bb.17:                               ;   in Loop: Header=BB111_12 Depth=1
	ds_load_b128 v[0:3], v14 offset:4096
	ds_load_b128 v[4:7], v14 offset:8192
	ds_load_b128 v[17:20], v14 offset:12288
	ds_load_b128 v[21:24], v14
	s_waitcnt lgkmcnt(2)
	v_add_f64 v[0:1], v[4:5], v[0:1]
	v_add_f64 v[2:3], v[6:7], v[2:3]
	s_waitcnt lgkmcnt(1)
	s_delay_alu instid0(VALU_DEP_2) | instskip(NEXT) | instid1(VALU_DEP_2)
	v_add_f64 v[0:1], v[0:1], v[17:18]
	v_add_f64 v[2:3], v[2:3], v[19:20]
	s_waitcnt lgkmcnt(0)
	s_delay_alu instid0(VALU_DEP_2) | instskip(NEXT) | instid1(VALU_DEP_2)
	v_add_f64 v[0:1], v[0:1], v[21:22]
	v_add_f64 v[2:3], v[2:3], v[23:24]
	ds_store_b128 v14, v[0:3]
.LBB111_18:                             ;   in Loop: Header=BB111_12 Depth=1
	s_or_b32 exec_lo, exec_lo, s4
	s_waitcnt lgkmcnt(0)
	s_barrier
	buffer_gl0_inv
	s_and_saveexec_b32 s4, s0
	s_cbranch_execz .LBB111_20
; %bb.19:                               ;   in Loop: Header=BB111_12 Depth=1
	ds_load_b128 v[0:3], v14 offset:1024
	ds_load_b128 v[4:7], v14 offset:2048
	ds_load_b128 v[17:20], v14 offset:3072
	ds_load_b128 v[21:24], v14
	s_waitcnt lgkmcnt(2)
	v_add_f64 v[0:1], v[4:5], v[0:1]
	v_add_f64 v[2:3], v[6:7], v[2:3]
	s_waitcnt lgkmcnt(1)
	s_delay_alu instid0(VALU_DEP_2) | instskip(NEXT) | instid1(VALU_DEP_2)
	v_add_f64 v[0:1], v[0:1], v[17:18]
	v_add_f64 v[2:3], v[2:3], v[19:20]
	s_waitcnt lgkmcnt(0)
	s_delay_alu instid0(VALU_DEP_2) | instskip(NEXT) | instid1(VALU_DEP_2)
	v_add_f64 v[0:1], v[0:1], v[21:22]
	v_add_f64 v[2:3], v[2:3], v[23:24]
	ds_store_b128 v14, v[0:3]
.LBB111_20:                             ;   in Loop: Header=BB111_12 Depth=1
	s_or_b32 exec_lo, exec_lo, s4
	s_waitcnt lgkmcnt(0)
	s_barrier
	buffer_gl0_inv
	s_and_saveexec_b32 s4, s1
	;; [unrolled: 24-line block ×5, first 2 shown]
	s_cbranch_execz .LBB111_11
; %bb.27:                               ;   in Loop: Header=BB111_12 Depth=1
	ds_load_b128 v[0:3], v16
	v_mov_b32_e32 v12, 0
	v_bfrev_b32_e32 v13, 1
	s_mov_b32 s4, exec_lo
	s_waitcnt lgkmcnt(0)
	v_mul_f64 v[4:5], v[2:3], -v[10:11]
	s_delay_alu instid0(VALU_DEP_1)
	v_fma_f64 v[4:5], v[8:9], v[0:1], v[4:5]
.LBB111_28:                             ;   Parent Loop BB111_12 Depth=1
                                        ; =>  This Inner Loop Header: Depth=2
	s_ctz_i32_b32 s30, s4
	s_delay_alu instid0(VALU_DEP_1) | instid1(SALU_CYCLE_1)
	v_readlane_b32 s23, v5, s30
	s_delay_alu instid0(VALU_DEP_2) | instskip(NEXT) | instid1(VALU_DEP_1)
	v_readlane_b32 s22, v4, s30
	v_add_f64 v[12:13], v[12:13], s[22:23]
	s_lshl_b32 s22, 1, s30
	s_delay_alu instid0(SALU_CYCLE_1) | instskip(NEXT) | instid1(SALU_CYCLE_1)
	s_and_not1_b32 s4, s4, s22
	s_cmp_lg_u32 s4, 0
	s_cbranch_scc1 .LBB111_28
; %bb.29:                               ;   in Loop: Header=BB111_12 Depth=1
	v_mbcnt_lo_u32_b32 v4, exec_lo, 0
	s_lshl_b64 s[22:23], s[20:21], 4
	s_mov_b32 s21, exec_lo
	s_add_u32 s22, s18, s22
	s_addc_u32 s23, s19, s23
	v_cmpx_eq_u32_e32 0, v4
	s_xor_b32 s21, exec_lo, s21
	s_cbranch_execz .LBB111_33
; %bb.30:                               ;   in Loop: Header=BB111_12 Depth=1
	global_load_b64 v[6:7], v16, s[22:23]
	s_mov_b32 s30, 0
.LBB111_31:                             ;   Parent Loop BB111_12 Depth=1
                                        ; =>  This Inner Loop Header: Depth=2
	s_waitcnt vmcnt(0)
	v_add_f64 v[4:5], v[6:7], v[12:13]
	global_atomic_cmpswap_b64 v[4:5], v16, v[4:7], s[22:23] glc
	s_waitcnt vmcnt(0)
	v_cmp_eq_u64_e64 s4, v[4:5], v[6:7]
	v_dual_mov_b32 v7, v5 :: v_dual_mov_b32 v6, v4
	s_delay_alu instid0(VALU_DEP_2) | instskip(NEXT) | instid1(SALU_CYCLE_1)
	s_or_b32 s30, s4, s30
	s_and_not1_b32 exec_lo, exec_lo, s30
	s_cbranch_execnz .LBB111_31
; %bb.32:                               ;   in Loop: Header=BB111_12 Depth=1
	s_or_b32 exec_lo, exec_lo, s30
.LBB111_33:                             ;   in Loop: Header=BB111_12 Depth=1
	s_delay_alu instid0(SALU_CYCLE_1) | instskip(SKIP_4) | instid1(VALU_DEP_3)
	s_or_b32 exec_lo, exec_lo, s21
	v_mul_f64 v[2:3], v[8:9], v[2:3]
	v_mov_b32_e32 v4, 0
	v_bfrev_b32_e32 v5, 1
	s_mov_b32 s4, exec_lo
	v_fma_f64 v[0:1], v[10:11], v[0:1], v[2:3]
.LBB111_34:                             ;   Parent Loop BB111_12 Depth=1
                                        ; =>  This Inner Loop Header: Depth=2
	s_ctz_i32_b32 s21, s4
	s_delay_alu instid0(VALU_DEP_1) | instid1(SALU_CYCLE_1)
	v_readlane_b32 s31, v1, s21
	s_delay_alu instid0(VALU_DEP_2) | instskip(SKIP_1) | instid1(SALU_CYCLE_1)
	v_readlane_b32 s30, v0, s21
	s_lshl_b32 s21, 1, s21
	s_and_not1_b32 s4, s4, s21
	s_delay_alu instid0(VALU_DEP_1)
	v_add_f64 v[4:5], v[4:5], s[30:31]
	s_cmp_lg_u32 s4, 0
	s_cbranch_scc1 .LBB111_34
; %bb.35:                               ;   in Loop: Header=BB111_12 Depth=1
	v_mbcnt_lo_u32_b32 v0, exec_lo, 0
	s_mov_b32 s21, exec_lo
	s_delay_alu instid0(VALU_DEP_1)
	v_cmpx_eq_u32_e32 0, v0
	s_xor_b32 s21, exec_lo, s21
	s_cbranch_execz .LBB111_11
; %bb.36:                               ;   in Loop: Header=BB111_12 Depth=1
	global_load_b64 v[2:3], v16, s[22:23] offset:8
	s_mov_b32 s21, 0
.LBB111_37:                             ;   Parent Loop BB111_12 Depth=1
                                        ; =>  This Inner Loop Header: Depth=2
	s_waitcnt vmcnt(0)
	v_add_f64 v[0:1], v[2:3], v[4:5]
	global_atomic_cmpswap_b64 v[0:1], v16, v[0:3], s[22:23] offset:8 glc
	s_waitcnt vmcnt(0)
	v_cmp_eq_u64_e64 s4, v[0:1], v[2:3]
	v_dual_mov_b32 v3, v1 :: v_dual_mov_b32 v2, v0
	s_delay_alu instid0(VALU_DEP_2) | instskip(NEXT) | instid1(SALU_CYCLE_1)
	s_or_b32 s21, s4, s21
	s_and_not1_b32 exec_lo, exec_lo, s21
	s_cbranch_execnz .LBB111_37
; %bb.38:                               ;   in Loop: Header=BB111_12 Depth=1
	s_or_b32 exec_lo, exec_lo, s21
	s_branch .LBB111_11
.LBB111_39:
	s_ashr_i32 s1, s7, 31
	s_mov_b32 s0, s7
	s_waitcnt lgkmcnt(0)
	v_add_nc_u32_e32 v12, s24, v15
	s_lshl_b64 s[0:1], s[0:1], 2
	s_delay_alu instid0(SALU_CYCLE_1) | instskip(SKIP_4) | instid1(SALU_CYCLE_1)
	s_add_u32 s0, s8, s0
	s_addc_u32 s1, s9, s1
	s_load_b32 s0, s[0:1], 0x0
	s_waitcnt lgkmcnt(0)
	s_sub_i32 s1, s0, s16
	v_cmp_gt_i32_e32 vcc_lo, s1, v12
	s_and_b32 exec_lo, exec_lo, vcc_lo
	s_cbranch_execz .LBB111_51
; %bb.40:
	s_add_i32 s2, s7, -1
	s_mov_b32 s4, 0
	s_cmp_gt_i32 s2, s6
	s_cselect_b32 s0, -1, 0
	s_add_i32 s3, s7, -2
	s_delay_alu instid0(SALU_CYCLE_1) | instskip(SKIP_1) | instid1(SALU_CYCLE_1)
	s_cmp_lg_u32 s3, s6
	s_cselect_b32 s3, -1, 0
	s_and_b32 s3, s0, s3
	s_branch .LBB111_42
.LBB111_41:                             ;   in Loop: Header=BB111_42 Depth=1
	s_or_b32 exec_lo, exec_lo, s0
	v_add_nc_u32_e32 v12, 0x100, v12
	s_delay_alu instid0(VALU_DEP_1) | instskip(SKIP_1) | instid1(SALU_CYCLE_1)
	v_cmp_le_i32_e32 vcc_lo, s1, v12
	s_or_b32 s4, vcc_lo, s4
	s_and_not1_b32 exec_lo, exec_lo, s4
	s_cbranch_execz .LBB111_51
.LBB111_42:                             ; =>This Loop Header: Depth=1
                                        ;     Child Loop BB111_44 Depth 2
                                        ;     Child Loop BB111_48 Depth 2
	;; [unrolled: 1-line block ×3, first 2 shown]
	v_mov_b32_e32 v2, s6
	v_mov_b32_e32 v0, s2
	s_and_not1_b32 vcc_lo, exec_lo, s3
	s_cbranch_vccnz .LBB111_46
; %bb.43:                               ;   in Loop: Header=BB111_42 Depth=1
	v_mov_b32_e32 v2, s6
	v_mov_b32_e32 v0, s2
	s_mov_b32 s5, 0
	.p2align	6
.LBB111_44:                             ;   Parent Loop BB111_42 Depth=1
                                        ; =>  This Inner Loop Header: Depth=2
	s_delay_alu instid0(VALU_DEP_1) | instskip(NEXT) | instid1(VALU_DEP_1)
	v_add_nc_u32_e32 v1, v0, v2
	v_lshrrev_b32_e32 v3, 31, v1
	s_delay_alu instid0(VALU_DEP_1) | instskip(NEXT) | instid1(VALU_DEP_1)
	v_add_nc_u32_e32 v1, v1, v3
	v_ashrrev_i32_e32 v3, 1, v1
	s_delay_alu instid0(VALU_DEP_1) | instskip(NEXT) | instid1(VALU_DEP_1)
	v_ashrrev_i32_e32 v4, 31, v3
	v_lshlrev_b64 v[4:5], 2, v[3:4]
	s_delay_alu instid0(VALU_DEP_1) | instskip(NEXT) | instid1(VALU_DEP_2)
	v_add_co_u32 v4, vcc_lo, s8, v4
	v_add_co_ci_u32_e32 v5, vcc_lo, s9, v5, vcc_lo
	global_load_b32 v1, v[4:5], off
	s_waitcnt vmcnt(0)
	v_subrev_nc_u32_e32 v1, s16, v1
	s_delay_alu instid0(VALU_DEP_1) | instskip(SKIP_2) | instid1(VALU_DEP_1)
	v_cmp_gt_i32_e32 vcc_lo, v1, v12
	v_cndmask_b32_e32 v2, v3, v2, vcc_lo
	v_cndmask_b32_e32 v0, v0, v3, vcc_lo
	v_add_nc_u32_e32 v1, -1, v0
	s_delay_alu instid0(VALU_DEP_3) | instskip(NEXT) | instid1(VALU_DEP_2)
	v_cmp_ge_i32_e32 vcc_lo, v2, v0
	v_cmp_eq_u32_e64 s0, v2, v1
	s_delay_alu instid0(VALU_DEP_1) | instskip(NEXT) | instid1(SALU_CYCLE_1)
	s_or_b32 s0, vcc_lo, s0
	s_and_b32 s0, exec_lo, s0
	s_delay_alu instid0(SALU_CYCLE_1) | instskip(NEXT) | instid1(SALU_CYCLE_1)
	s_or_b32 s5, s0, s5
	s_and_not1_b32 exec_lo, exec_lo, s5
	s_cbranch_execnz .LBB111_44
; %bb.45:                               ;   in Loop: Header=BB111_42 Depth=1
	s_or_b32 exec_lo, exec_lo, s5
.LBB111_46:                             ;   in Loop: Header=BB111_42 Depth=1
	s_delay_alu instid0(VALU_DEP_1) | instskip(SKIP_2) | instid1(VALU_DEP_2)
	v_ashrrev_i32_e32 v1, 31, v0
	v_ashrrev_i32_e32 v13, 31, v12
	s_mov_b32 s0, exec_lo
	v_lshlrev_b64 v[3:4], 2, v[0:1]
	s_delay_alu instid0(VALU_DEP_2) | instskip(NEXT) | instid1(VALU_DEP_2)
	v_lshlrev_b64 v[5:6], 2, v[12:13]
	v_add_co_u32 v3, vcc_lo, s8, v3
	s_delay_alu instid0(VALU_DEP_3)
	v_add_co_ci_u32_e32 v4, vcc_lo, s9, v4, vcc_lo
	global_load_b32 v1, v[3:4], off
	v_add_co_u32 v3, vcc_lo, s10, v5
	v_add_co_ci_u32_e32 v4, vcc_lo, s11, v6, vcc_lo
	global_load_b32 v3, v[3:4], off
	s_waitcnt vmcnt(1)
	v_subrev_nc_u32_e32 v1, s16, v1
	s_delay_alu instid0(VALU_DEP_1) | instskip(SKIP_3) | instid1(VALU_DEP_1)
	v_cmp_gt_i32_e32 vcc_lo, v1, v12
	s_waitcnt vmcnt(0)
	v_subrev_nc_u32_e32 v4, s16, v3
	v_cndmask_b32_e32 v0, v0, v2, vcc_lo
	v_cmpx_ne_u32_e64 v4, v0
	s_cbranch_execz .LBB111_41
; %bb.47:                               ;   in Loop: Header=BB111_42 Depth=1
	v_lshlrev_b64 v[1:2], 3, v[12:13]
	v_ashrrev_i32_e32 v5, 31, v4
	s_mov_b32 s5, 0
	s_delay_alu instid0(VALU_DEP_1) | instskip(NEXT) | instid1(VALU_DEP_3)
	v_lshlrev_b64 v[4:5], 4, v[4:5]
	v_add_co_u32 v1, vcc_lo, s12, v1
	s_delay_alu instid0(VALU_DEP_4) | instskip(SKIP_2) | instid1(VALU_DEP_1)
	v_add_co_ci_u32_e32 v2, vcc_lo, s13, v2, vcc_lo
	global_load_b64 v[15:16], v[1:2], off
	v_ashrrev_i32_e32 v1, 31, v0
	v_lshlrev_b64 v[0:1], 4, v[0:1]
	s_delay_alu instid0(VALU_DEP_1) | instskip(NEXT) | instid1(VALU_DEP_2)
	v_add_co_u32 v0, vcc_lo, s14, v0
	v_add_co_ci_u32_e32 v1, vcc_lo, s15, v1, vcc_lo
	v_add_co_u32 v13, vcc_lo, s18, v4
	v_add_co_ci_u32_e32 v14, vcc_lo, s19, v5, vcc_lo
	global_load_b128 v[0:3], v[0:1], off
	global_load_b64 v[6:7], v[13:14], off
	s_waitcnt vmcnt(2)
	v_cndmask_b32_e64 v4, v16, -v16, s17
	v_cvt_f64_f32_e32 v[17:18], v15
	s_delay_alu instid0(VALU_DEP_2) | instskip(NEXT) | instid1(VALU_DEP_1)
	v_cvt_f64_f32_e32 v[4:5], v4
	v_mul_f64 v[15:16], v[8:9], v[4:5]
	v_mul_f64 v[4:5], -v[10:11], v[4:5]
	s_delay_alu instid0(VALU_DEP_2) | instskip(NEXT) | instid1(VALU_DEP_2)
	v_fma_f64 v[15:16], v[10:11], v[17:18], v[15:16]
	v_fma_f64 v[17:18], v[8:9], v[17:18], v[4:5]
	s_waitcnt vmcnt(1)
	s_delay_alu instid0(VALU_DEP_2) | instskip(NEXT) | instid1(VALU_DEP_1)
	v_mul_f64 v[4:5], v[2:3], -v[15:16]
	v_fma_f64 v[19:20], v[17:18], v[0:1], v[4:5]
.LBB111_48:                             ;   Parent Loop BB111_42 Depth=1
                                        ; =>  This Inner Loop Header: Depth=2
	s_waitcnt vmcnt(0)
	s_delay_alu instid0(VALU_DEP_1)
	v_add_f64 v[4:5], v[6:7], v[19:20]
	global_atomic_cmpswap_b64 v[4:5], v[13:14], v[4:7], off glc
	s_waitcnt vmcnt(0)
	v_cmp_eq_u64_e32 vcc_lo, v[4:5], v[6:7]
	v_dual_mov_b32 v7, v5 :: v_dual_mov_b32 v6, v4
	s_or_b32 s5, vcc_lo, s5
	s_delay_alu instid0(SALU_CYCLE_1)
	s_and_not1_b32 exec_lo, exec_lo, s5
	s_cbranch_execnz .LBB111_48
; %bb.49:                               ;   in Loop: Header=BB111_42 Depth=1
	s_or_b32 exec_lo, exec_lo, s5
	global_load_b64 v[4:5], v[13:14], off offset:8
	v_mul_f64 v[2:3], v[2:3], v[17:18]
	s_mov_b32 s5, 0
	s_delay_alu instid0(VALU_DEP_1)
	v_fma_f64 v[0:1], v[15:16], v[0:1], v[2:3]
.LBB111_50:                             ;   Parent Loop BB111_42 Depth=1
                                        ; =>  This Inner Loop Header: Depth=2
	s_waitcnt vmcnt(0)
	s_delay_alu instid0(VALU_DEP_1)
	v_add_f64 v[2:3], v[4:5], v[0:1]
	global_atomic_cmpswap_b64 v[2:3], v[13:14], v[2:5], off offset:8 glc
	s_waitcnt vmcnt(0)
	v_cmp_eq_u64_e32 vcc_lo, v[2:3], v[4:5]
	v_dual_mov_b32 v5, v3 :: v_dual_mov_b32 v4, v2
	s_or_b32 s5, vcc_lo, s5
	s_delay_alu instid0(SALU_CYCLE_1)
	s_and_not1_b32 exec_lo, exec_lo, s5
	s_cbranch_execnz .LBB111_50
	s_branch .LBB111_41
.LBB111_51:
	s_endpgm
	.section	.rodata,"a",@progbits
	.p2align	6, 0x0
	.amdhsa_kernel _ZL33csrmvn_symm_large_adaptive_kernelIii21rocsparse_complex_numIfES0_IdES2_S2_EvbT_PKS3_N9rocsparse24const_host_device_scalarIT4_EES5_PKT0_PKT1_PKT2_S9_PT3_21rocsparse_index_base_b
		.amdhsa_group_segment_fixed_size 16384
		.amdhsa_private_segment_fixed_size 24
		.amdhsa_kernarg_size 96
		.amdhsa_user_sgpr_count 15
		.amdhsa_user_sgpr_dispatch_ptr 0
		.amdhsa_user_sgpr_queue_ptr 0
		.amdhsa_user_sgpr_kernarg_segment_ptr 1
		.amdhsa_user_sgpr_dispatch_id 0
		.amdhsa_user_sgpr_private_segment_size 0
		.amdhsa_wavefront_size32 1
		.amdhsa_uses_dynamic_stack 0
		.amdhsa_enable_private_segment 1
		.amdhsa_system_sgpr_workgroup_id_x 1
		.amdhsa_system_sgpr_workgroup_id_y 0
		.amdhsa_system_sgpr_workgroup_id_z 0
		.amdhsa_system_sgpr_workgroup_info 0
		.amdhsa_system_vgpr_workitem_id 0
		.amdhsa_next_free_vgpr 25
		.amdhsa_next_free_sgpr 32
		.amdhsa_reserve_vcc 1
		.amdhsa_float_round_mode_32 0
		.amdhsa_float_round_mode_16_64 0
		.amdhsa_float_denorm_mode_32 3
		.amdhsa_float_denorm_mode_16_64 3
		.amdhsa_dx10_clamp 1
		.amdhsa_ieee_mode 1
		.amdhsa_fp16_overflow 0
		.amdhsa_workgroup_processor_mode 1
		.amdhsa_memory_ordered 1
		.amdhsa_forward_progress 0
		.amdhsa_shared_vgpr_count 0
		.amdhsa_exception_fp_ieee_invalid_op 0
		.amdhsa_exception_fp_denorm_src 0
		.amdhsa_exception_fp_ieee_div_zero 0
		.amdhsa_exception_fp_ieee_overflow 0
		.amdhsa_exception_fp_ieee_underflow 0
		.amdhsa_exception_fp_ieee_inexact 0
		.amdhsa_exception_int_div_zero 0
	.end_amdhsa_kernel
	.section	.text._ZL33csrmvn_symm_large_adaptive_kernelIii21rocsparse_complex_numIfES0_IdES2_S2_EvbT_PKS3_N9rocsparse24const_host_device_scalarIT4_EES5_PKT0_PKT1_PKT2_S9_PT3_21rocsparse_index_base_b,"axG",@progbits,_ZL33csrmvn_symm_large_adaptive_kernelIii21rocsparse_complex_numIfES0_IdES2_S2_EvbT_PKS3_N9rocsparse24const_host_device_scalarIT4_EES5_PKT0_PKT1_PKT2_S9_PT3_21rocsparse_index_base_b,comdat
.Lfunc_end111:
	.size	_ZL33csrmvn_symm_large_adaptive_kernelIii21rocsparse_complex_numIfES0_IdES2_S2_EvbT_PKS3_N9rocsparse24const_host_device_scalarIT4_EES5_PKT0_PKT1_PKT2_S9_PT3_21rocsparse_index_base_b, .Lfunc_end111-_ZL33csrmvn_symm_large_adaptive_kernelIii21rocsparse_complex_numIfES0_IdES2_S2_EvbT_PKS3_N9rocsparse24const_host_device_scalarIT4_EES5_PKT0_PKT1_PKT2_S9_PT3_21rocsparse_index_base_b
                                        ; -- End function
	.section	.AMDGPU.csdata,"",@progbits
; Kernel info:
; codeLenInByte = 2928
; NumSgprs: 34
; NumVgprs: 25
; ScratchSize: 24
; MemoryBound: 0
; FloatMode: 240
; IeeeMode: 1
; LDSByteSize: 16384 bytes/workgroup (compile time only)
; SGPRBlocks: 4
; VGPRBlocks: 3
; NumSGPRsForWavesPerEU: 34
; NumVGPRsForWavesPerEU: 25
; Occupancy: 16
; WaveLimiterHint : 1
; COMPUTE_PGM_RSRC2:SCRATCH_EN: 1
; COMPUTE_PGM_RSRC2:USER_SGPR: 15
; COMPUTE_PGM_RSRC2:TRAP_HANDLER: 0
; COMPUTE_PGM_RSRC2:TGID_X_EN: 1
; COMPUTE_PGM_RSRC2:TGID_Y_EN: 0
; COMPUTE_PGM_RSRC2:TGID_Z_EN: 0
; COMPUTE_PGM_RSRC2:TIDIG_COMP_CNT: 0
	.section	.text._ZN9rocsparseL22csrmvn_adaptive_kernelIli21rocsparse_complex_numIfES1_IdES3_S3_EEvbT_PKS4_PjPKT0_NS_24const_host_device_scalarIT4_EES6_SA_PKT1_PKT2_SD_PT3_21rocsparse_index_base_b,"axG",@progbits,_ZN9rocsparseL22csrmvn_adaptive_kernelIli21rocsparse_complex_numIfES1_IdES3_S3_EEvbT_PKS4_PjPKT0_NS_24const_host_device_scalarIT4_EES6_SA_PKT1_PKT2_SD_PT3_21rocsparse_index_base_b,comdat
	.globl	_ZN9rocsparseL22csrmvn_adaptive_kernelIli21rocsparse_complex_numIfES1_IdES3_S3_EEvbT_PKS4_PjPKT0_NS_24const_host_device_scalarIT4_EES6_SA_PKT1_PKT2_SD_PT3_21rocsparse_index_base_b ; -- Begin function _ZN9rocsparseL22csrmvn_adaptive_kernelIli21rocsparse_complex_numIfES1_IdES3_S3_EEvbT_PKS4_PjPKT0_NS_24const_host_device_scalarIT4_EES6_SA_PKT1_PKT2_SD_PT3_21rocsparse_index_base_b
	.p2align	8
	.type	_ZN9rocsparseL22csrmvn_adaptive_kernelIli21rocsparse_complex_numIfES1_IdES3_S3_EEvbT_PKS4_PjPKT0_NS_24const_host_device_scalarIT4_EES6_SA_PKT1_PKT2_SD_PT3_21rocsparse_index_base_b,@function
_ZN9rocsparseL22csrmvn_adaptive_kernelIli21rocsparse_complex_numIfES1_IdES3_S3_EEvbT_PKS4_PjPKT0_NS_24const_host_device_scalarIT4_EES6_SA_PKT1_PKT2_SD_PT3_21rocsparse_index_base_b: ; @_ZN9rocsparseL22csrmvn_adaptive_kernelIli21rocsparse_complex_numIfES1_IdES3_S3_EEvbT_PKS4_PjPKT0_NS_24const_host_device_scalarIT4_EES6_SA_PKT1_PKT2_SD_PT3_21rocsparse_index_base_b
; %bb.0:
	s_clause 0x2
	s_load_b64 s[30:31], s[0:1], 0x70
	s_load_b128 s[8:11], s[0:1], 0x28
	s_load_b128 s[4:7], s[0:1], 0x58
	s_mov_b64 s[2:3], src_private_base
	v_mov_b32_e32 v1, 0
	s_mov_b32 s34, s15
	s_waitcnt lgkmcnt(0)
	s_bitcmp1_b32 s31, 0
	v_dual_mov_b32 v3, s8 :: v_dual_mov_b32 v6, s5
	s_cselect_b32 s2, -1, 0
	v_mov_b32_e32 v4, s9
	s_and_b32 vcc_lo, s2, exec_lo
	s_cselect_b32 s12, s3, s9
	v_cndmask_b32_e64 v1, s8, v1, s2
	v_dual_mov_b32 v5, s4 :: v_dual_mov_b32 v2, s12
	s_clause 0x1
	scratch_store_b64 off, v[3:4], off
	scratch_store_b64 off, v[5:6], off offset:8
	v_dual_mov_b32 v16, s11 :: v_dual_mov_b32 v15, s10
	flat_load_b64 v[13:14], v[1:2]
	s_xor_b32 s10, s2, -1
	s_cbranch_vccnz .LBB112_2
; %bb.1:
	v_dual_mov_b32 v1, s8 :: v_dual_mov_b32 v2, s9
	flat_load_b64 v[15:16], v[1:2] offset:8
.LBB112_2:
	s_and_b32 s8, s2, exec_lo
	s_cselect_b32 s3, s3, s5
	s_delay_alu instid0(SALU_CYCLE_1) | instskip(SKIP_2) | instid1(VALU_DEP_2)
	v_dual_mov_b32 v1, 8 :: v_dual_mov_b32 v2, s3
	v_dual_mov_b32 v12, s7 :: v_dual_mov_b32 v11, s6
	s_and_not1_b32 vcc_lo, exec_lo, s10
	v_cndmask_b32_e64 v1, s4, v1, s2
	flat_load_b64 v[9:10], v[1:2]
	s_cbranch_vccnz .LBB112_4
; %bb.3:
	v_dual_mov_b32 v1, s4 :: v_dual_mov_b32 v2, s5
	flat_load_b64 v[11:12], v[1:2] offset:8
.LBB112_4:
	s_waitcnt vmcnt(1) lgkmcnt(1)
	v_cmp_eq_f64_e32 vcc_lo, 0, v[13:14]
	v_cmp_eq_f64_e64 s2, 0, v[15:16]
	s_delay_alu instid0(VALU_DEP_1)
	s_and_b32 s4, vcc_lo, s2
	s_mov_b32 s2, -1
	s_and_saveexec_b32 s3, s4
	s_cbranch_execz .LBB112_6
; %bb.5:
	s_waitcnt vmcnt(0) lgkmcnt(0)
	v_cmp_neq_f64_e32 vcc_lo, 1.0, v[9:10]
	v_cmp_neq_f64_e64 s2, 0, v[11:12]
	s_delay_alu instid0(VALU_DEP_1) | instskip(NEXT) | instid1(SALU_CYCLE_1)
	s_or_b32 s2, vcc_lo, s2
	s_or_not1_b32 s2, s2, exec_lo
.LBB112_6:
	s_or_b32 exec_lo, exec_lo, s3
	s_and_saveexec_b32 s3, s2
	s_cbranch_execz .LBB112_121
; %bb.7:
	s_clause 0x3
	s_load_b64 s[4:5], s[0:1], 0x20
	s_load_b32 s6, s[0:1], 0x0
	s_load_b64 s[2:3], s[0:1], 0x10
	s_load_b64 s[24:25], s[0:1], 0x68
	s_waitcnt lgkmcnt(0)
	s_bitcmp1_b32 s6, 0
	s_cselect_b32 s33, -1, 0
	s_ashr_i32 s35, s34, 31
	s_delay_alu instid0(SALU_CYCLE_1) | instskip(NEXT) | instid1(SALU_CYCLE_1)
	s_lshl_b64 s[6:7], s[34:35], 3
	s_add_u32 s2, s2, s6
	s_addc_u32 s3, s3, s7
	s_load_b128 s[20:23], s[2:3], 0x0
	s_load_b256 s[12:19], s[0:1], 0x38
	s_lshl_b64 s[36:37], s[34:35], 2
	s_mov_b32 s3, -1
	s_waitcnt lgkmcnt(0)
	s_sub_i32 s2, s22, s20
	s_add_u32 s4, s4, s36
	s_addc_u32 s5, s5, s37
	s_lshl_b64 s[6:7], s[20:21], 3
	s_delay_alu instid0(SALU_CYCLE_1)
	s_add_u32 s26, s12, s6
	s_addc_u32 s27, s13, s7
	s_load_b32 s31, s[4:5], 0x0
	s_load_b64 s[28:29], s[26:27], 0x0
	s_cmp_lt_i32 s2, 2
	s_cbranch_scc0 .LBB112_77
; %bb.8:
	s_cmp_lg_u32 s2, 1
	s_cselect_b32 s2, -1, 0
	s_waitcnt lgkmcnt(0)
	s_cmp_lg_u32 s31, 0
	s_cselect_b32 s3, -1, 0
	s_delay_alu instid0(SALU_CYCLE_1) | instskip(NEXT) | instid1(SALU_CYCLE_1)
	s_or_b32 s2, s2, s3
	s_and_b32 vcc_lo, exec_lo, s2
	s_mov_b32 s2, -1
	s_cbranch_vccnz .LBB112_37
; %bb.9:
	v_cmp_le_i64_e64 s2, s[22:23], s[20:21]
	s_delay_alu instid0(VALU_DEP_1)
	s_and_b32 vcc_lo, exec_lo, s2
	s_cbranch_vccnz .LBB112_36
; %bb.10:
	s_waitcnt vmcnt(0)
	v_cmp_neq_f64_e32 vcc_lo, 0, v[9:10]
	v_cmp_neq_f64_e64 s10, 0, v[11:12]
	v_sub_co_u32 v19, s2, v0, s30
	s_delay_alu instid0(VALU_DEP_1)
	v_sub_co_ci_u32_e64 v20, null, 0, 0, s2
	v_dual_mov_b32 v22, 0 :: v_dual_lshlrev_b32 v21, 4, v0
	v_cmp_gt_u32_e64 s2, 0x80, v0
	v_cmp_gt_u32_e64 s3, 64, v0
	;; [unrolled: 1-line block ×7, first 2 shown]
	v_cmp_eq_u32_e64 s9, 0, v0
	s_mov_b64 s[38:39], s[28:29]
	s_mov_b64 s[40:41], s[20:21]
	s_or_b32 s11, vcc_lo, s10
	s_add_u32 s35, s12, 8
	s_addc_u32 s44, s13, 0
	s_add_u32 s45, s16, 4
	s_addc_u32 s46, s17, 0
	s_branch .LBB112_13
.LBB112_11:                             ;   in Loop: Header=BB112_13 Depth=1
	s_or_b32 exec_lo, exec_lo, s42
	s_lshl_b64 s[42:43], s[40:41], 4
	s_delay_alu instid0(SALU_CYCLE_1)
	s_add_u32 s42, s24, s42
	s_addc_u32 s43, s25, s43
	s_waitcnt lgkmcnt(0)
	global_store_b128 v22, v[1:4], s[42:43]
.LBB112_12:                             ;   in Loop: Header=BB112_13 Depth=1
	s_or_b32 exec_lo, exec_lo, s10
	s_add_u32 s40, s40, 1
	s_addc_u32 s41, s41, 0
	s_delay_alu instid0(SALU_CYCLE_1) | instskip(NEXT) | instid1(VALU_DEP_1)
	v_cmp_ge_i64_e64 s10, s[40:41], s[22:23]
	s_and_b32 vcc_lo, exec_lo, s10
	s_cbranch_vccnz .LBB112_36
.LBB112_13:                             ; =>This Loop Header: Depth=1
                                        ;     Child Loop BB112_15 Depth 2
	s_lshl_b64 s[42:43], s[40:41], 3
	s_mov_b64 s[48:49], s[38:39]
	s_add_u32 s42, s35, s42
	s_addc_u32 s43, s44, s43
	v_mov_b32_e32 v3, 0
	s_load_b64 s[38:39], s[42:43], 0x0
	v_mov_b32_e32 v4, 0
	v_add_co_u32 v5, vcc_lo, s48, v19
	v_add_co_ci_u32_e32 v6, vcc_lo, s49, v20, vcc_lo
	s_delay_alu instid0(VALU_DEP_3) | instskip(SKIP_4) | instid1(SALU_CYCLE_1)
	v_dual_mov_b32 v1, v3 :: v_dual_mov_b32 v2, v4
	s_mov_b32 s47, exec_lo
	s_waitcnt lgkmcnt(0)
	s_sub_u32 s42, s38, s30
	s_subb_u32 s43, s39, 0
	v_cmpx_gt_i64_e64 s[42:43], v[5:6]
	s_cbranch_execz .LBB112_17
; %bb.14:                               ;   in Loop: Header=BB112_13 Depth=1
	v_lshlrev_b64 v[1:2], 3, v[5:6]
	v_lshlrev_b64 v[17:18], 2, v[5:6]
	v_mov_b32_e32 v3, 0
	v_mov_b32_e32 v4, 0
	s_mov_b32 s48, 0
	s_delay_alu instid0(VALU_DEP_4)
	v_add_co_u32 v7, vcc_lo, s45, v1
	v_add_co_ci_u32_e32 v8, vcc_lo, s46, v2, vcc_lo
	v_add_co_u32 v17, vcc_lo, s14, v17
	v_add_co_ci_u32_e32 v18, vcc_lo, s15, v18, vcc_lo
	v_dual_mov_b32 v1, v3 :: v_dual_mov_b32 v2, v4
.LBB112_15:                             ;   Parent Loop BB112_13 Depth=1
                                        ; =>  This Inner Loop Header: Depth=2
	global_load_b32 v23, v[17:18], off
	global_load_b64 v[27:28], v[7:8], off offset:-4
	v_add_co_u32 v17, s10, 0x400, v17
	s_delay_alu instid0(VALU_DEP_1)
	v_add_co_ci_u32_e64 v18, s10, 0, v18, s10
	s_waitcnt vmcnt(1)
	v_subrev_nc_u32_e32 v23, s30, v23
	s_waitcnt vmcnt(0)
	v_cndmask_b32_e64 v28, v28, -v28, s33
	v_cvt_f64_f32_e32 v[30:31], v27
	s_delay_alu instid0(VALU_DEP_3) | instskip(NEXT) | instid1(VALU_DEP_3)
	v_ashrrev_i32_e32 v24, 31, v23
	v_cvt_f64_f32_e32 v[28:29], v28
	s_delay_alu instid0(VALU_DEP_2) | instskip(NEXT) | instid1(VALU_DEP_1)
	v_lshlrev_b64 v[23:24], 4, v[23:24]
	v_add_co_u32 v23, vcc_lo, s18, v23
	s_delay_alu instid0(VALU_DEP_2)
	v_add_co_ci_u32_e32 v24, vcc_lo, s19, v24, vcc_lo
	v_add_co_u32 v5, vcc_lo, 0x100, v5
	v_add_co_ci_u32_e32 v6, vcc_lo, 0, v6, vcc_lo
	global_load_b128 v[23:26], v[23:24], off
	v_add_co_u32 v7, vcc_lo, 0x800, v7
	v_add_co_ci_u32_e32 v8, vcc_lo, 0, v8, vcc_lo
	v_cmp_le_i64_e32 vcc_lo, s[42:43], v[5:6]
	s_or_b32 s48, vcc_lo, s48
	v_mul_f64 v[32:33], -v[15:16], v[28:29]
	v_mul_f64 v[27:28], v[13:14], v[28:29]
	s_delay_alu instid0(VALU_DEP_2) | instskip(NEXT) | instid1(VALU_DEP_2)
	v_fma_f64 v[32:33], v[13:14], v[30:31], v[32:33]
	v_fma_f64 v[27:28], v[15:16], v[30:31], v[27:28]
	s_waitcnt vmcnt(0)
	s_delay_alu instid0(VALU_DEP_2) | instskip(NEXT) | instid1(VALU_DEP_2)
	v_fma_f64 v[1:2], v[32:33], v[23:24], v[1:2]
	v_fma_f64 v[3:4], v[27:28], v[23:24], v[3:4]
	s_delay_alu instid0(VALU_DEP_2) | instskip(NEXT) | instid1(VALU_DEP_2)
	v_fma_f64 v[1:2], -v[27:28], v[25:26], v[1:2]
	v_fma_f64 v[3:4], v[32:33], v[25:26], v[3:4]
	s_and_not1_b32 exec_lo, exec_lo, s48
	s_cbranch_execnz .LBB112_15
; %bb.16:                               ;   in Loop: Header=BB112_13 Depth=1
	s_or_b32 exec_lo, exec_lo, s48
.LBB112_17:                             ;   in Loop: Header=BB112_13 Depth=1
	s_delay_alu instid0(SALU_CYCLE_1)
	s_or_b32 exec_lo, exec_lo, s47
	ds_store_b128 v21, v[1:4]
	s_waitcnt lgkmcnt(0)
	s_waitcnt_vscnt null, 0x0
	s_barrier
	buffer_gl0_inv
	s_and_saveexec_b32 s10, s2
	s_cbranch_execz .LBB112_19
; %bb.18:                               ;   in Loop: Header=BB112_13 Depth=1
	ds_load_b128 v[1:4], v21 offset:2048
	ds_load_b128 v[5:8], v21
	s_waitcnt lgkmcnt(0)
	v_add_f64 v[1:2], v[1:2], v[5:6]
	v_add_f64 v[3:4], v[3:4], v[7:8]
	ds_store_b128 v21, v[1:4]
.LBB112_19:                             ;   in Loop: Header=BB112_13 Depth=1
	s_or_b32 exec_lo, exec_lo, s10
	s_waitcnt lgkmcnt(0)
	s_barrier
	buffer_gl0_inv
	s_and_saveexec_b32 s10, s3
	s_cbranch_execz .LBB112_21
; %bb.20:                               ;   in Loop: Header=BB112_13 Depth=1
	ds_load_b128 v[1:4], v21 offset:1024
	ds_load_b128 v[5:8], v21
	s_waitcnt lgkmcnt(0)
	v_add_f64 v[1:2], v[1:2], v[5:6]
	v_add_f64 v[3:4], v[3:4], v[7:8]
	ds_store_b128 v21, v[1:4]
.LBB112_21:                             ;   in Loop: Header=BB112_13 Depth=1
	s_or_b32 exec_lo, exec_lo, s10
	s_waitcnt lgkmcnt(0)
	s_barrier
	buffer_gl0_inv
	s_and_saveexec_b32 s10, s4
	s_cbranch_execz .LBB112_23
; %bb.22:                               ;   in Loop: Header=BB112_13 Depth=1
	ds_load_b128 v[1:4], v21 offset:512
	ds_load_b128 v[5:8], v21
	s_waitcnt lgkmcnt(0)
	v_add_f64 v[1:2], v[1:2], v[5:6]
	v_add_f64 v[3:4], v[3:4], v[7:8]
	ds_store_b128 v21, v[1:4]
.LBB112_23:                             ;   in Loop: Header=BB112_13 Depth=1
	s_or_b32 exec_lo, exec_lo, s10
	s_waitcnt lgkmcnt(0)
	s_barrier
	buffer_gl0_inv
	s_and_saveexec_b32 s10, s5
	s_cbranch_execz .LBB112_25
; %bb.24:                               ;   in Loop: Header=BB112_13 Depth=1
	ds_load_b128 v[1:4], v21 offset:256
	ds_load_b128 v[5:8], v21
	s_waitcnt lgkmcnt(0)
	v_add_f64 v[1:2], v[1:2], v[5:6]
	v_add_f64 v[3:4], v[3:4], v[7:8]
	ds_store_b128 v21, v[1:4]
.LBB112_25:                             ;   in Loop: Header=BB112_13 Depth=1
	s_or_b32 exec_lo, exec_lo, s10
	s_waitcnt lgkmcnt(0)
	s_barrier
	buffer_gl0_inv
	s_and_saveexec_b32 s10, s6
	s_cbranch_execz .LBB112_27
; %bb.26:                               ;   in Loop: Header=BB112_13 Depth=1
	ds_load_b128 v[1:4], v21 offset:128
	ds_load_b128 v[5:8], v21
	s_waitcnt lgkmcnt(0)
	v_add_f64 v[1:2], v[1:2], v[5:6]
	v_add_f64 v[3:4], v[3:4], v[7:8]
	ds_store_b128 v21, v[1:4]
.LBB112_27:                             ;   in Loop: Header=BB112_13 Depth=1
	s_or_b32 exec_lo, exec_lo, s10
	s_waitcnt lgkmcnt(0)
	s_barrier
	buffer_gl0_inv
	s_and_saveexec_b32 s10, s7
	s_cbranch_execz .LBB112_29
; %bb.28:                               ;   in Loop: Header=BB112_13 Depth=1
	ds_load_b128 v[1:4], v21 offset:64
	ds_load_b128 v[5:8], v21
	s_waitcnt lgkmcnt(0)
	v_add_f64 v[1:2], v[1:2], v[5:6]
	v_add_f64 v[3:4], v[3:4], v[7:8]
	ds_store_b128 v21, v[1:4]
.LBB112_29:                             ;   in Loop: Header=BB112_13 Depth=1
	s_or_b32 exec_lo, exec_lo, s10
	s_waitcnt lgkmcnt(0)
	s_barrier
	buffer_gl0_inv
	s_and_saveexec_b32 s10, s8
	s_cbranch_execz .LBB112_31
; %bb.30:                               ;   in Loop: Header=BB112_13 Depth=1
	ds_load_b128 v[1:4], v21
	ds_load_b128 v[5:8], v21 offset:32
	s_waitcnt lgkmcnt(0)
	v_add_f64 v[1:2], v[5:6], v[1:2]
	v_add_f64 v[3:4], v[7:8], v[3:4]
	ds_store_b128 v21, v[1:4]
.LBB112_31:                             ;   in Loop: Header=BB112_13 Depth=1
	s_or_b32 exec_lo, exec_lo, s10
	s_waitcnt lgkmcnt(0)
	s_barrier
	buffer_gl0_inv
	s_and_saveexec_b32 s10, s9
	s_cbranch_execz .LBB112_33
; %bb.32:                               ;   in Loop: Header=BB112_13 Depth=1
	ds_load_b128 v[1:4], v22
	ds_load_b128 v[5:8], v22 offset:16
	s_waitcnt lgkmcnt(0)
	v_add_f64 v[1:2], v[5:6], v[1:2]
	v_add_f64 v[3:4], v[7:8], v[3:4]
	ds_store_b128 v22, v[1:4]
.LBB112_33:                             ;   in Loop: Header=BB112_13 Depth=1
	s_or_b32 exec_lo, exec_lo, s10
	s_waitcnt lgkmcnt(0)
	s_barrier
	buffer_gl0_inv
	s_and_saveexec_b32 s10, s9
	s_cbranch_execz .LBB112_12
; %bb.34:                               ;   in Loop: Header=BB112_13 Depth=1
	ds_load_b128 v[1:4], v22
	s_and_saveexec_b32 s42, s11
	s_cbranch_execz .LBB112_11
; %bb.35:                               ;   in Loop: Header=BB112_13 Depth=1
	s_lshl_b64 s[48:49], s[40:41], 4
	s_delay_alu instid0(SALU_CYCLE_1)
	s_add_u32 s48, s24, s48
	s_addc_u32 s49, s25, s49
	global_load_b128 v[5:8], v22, s[48:49]
	s_waitcnt vmcnt(0) lgkmcnt(0)
	v_fma_f64 v[1:2], v[9:10], v[5:6], v[1:2]
	v_fma_f64 v[3:4], v[11:12], v[5:6], v[3:4]
	s_delay_alu instid0(VALU_DEP_2) | instskip(NEXT) | instid1(VALU_DEP_2)
	v_fma_f64 v[1:2], -v[11:12], v[7:8], v[1:2]
	v_fma_f64 v[3:4], v[9:10], v[7:8], v[3:4]
	s_branch .LBB112_11
.LBB112_36:
	s_mov_b32 s2, 0
.LBB112_37:
	s_delay_alu instid0(SALU_CYCLE_1)
	s_and_not1_b32 vcc_lo, exec_lo, s2
	s_cbranch_vccnz .LBB112_76
; %bb.38:
	s_load_b64 s[6:7], s[0:1], 0x18
	s_sub_i32 s8, s34, s31
	v_mov_b32_e32 v1, 0
	v_or_b32_e32 v3, s31, v0
	v_mov_b32_e32 v2, 0
	s_delay_alu instid0(VALU_DEP_2) | instskip(NEXT) | instid1(VALU_DEP_2)
	v_cmp_eq_u32_e32 vcc_lo, 0, v3
	v_dual_mov_b32 v4, v2 :: v_dual_mov_b32 v3, v1
	s_waitcnt lgkmcnt(0)
	s_add_u32 s4, s6, s36
	s_addc_u32 s5, s7, s37
	s_load_b32 s34, s[4:5], 0x0
	s_and_saveexec_b32 s2, vcc_lo
	s_cbranch_execz .LBB112_42
; %bb.39:
	s_lshl_b64 s[10:11], s[20:21], 4
	v_mov_b32_e32 v17, 0
	s_add_u32 s10, s24, s10
	s_addc_u32 s11, s25, s11
	s_waitcnt vmcnt(0)
	v_add_f64 v[1:2], v[9:10], -1.0
	s_mov_b32 s3, exec_lo
	global_load_b128 v[3:6], v17, s[10:11]
	v_mbcnt_lo_u32_b32 v18, s3, 0
	s_mov_b32 s10, exec_lo
	s_waitcnt vmcnt(0) expcnt(0) lgkmcnt(0)
	s_waitcnt_vscnt null, 0x0
	v_mul_f64 v[7:8], v[5:6], -v[11:12]
	v_mul_f64 v[5:6], v[1:2], v[5:6]
	v_cmpx_eq_u32_e32 0, v18
	s_cbranch_execz .LBB112_41
; %bb.40:
	s_ashr_i32 s9, s8, 31
	s_delay_alu instid0(SALU_CYCLE_1) | instskip(NEXT) | instid1(SALU_CYCLE_1)
	s_lshl_b64 s[36:37], s[8:9], 2
	s_add_u32 s36, s6, s36
	s_addc_u32 s37, s7, s37
	s_bcnt1_i32_b32 s3, s3
	s_delay_alu instid0(SALU_CYCLE_1) | instskip(NEXT) | instid1(SALU_CYCLE_1)
	s_and_b32 s3, s3, 1
	v_mov_b32_e32 v18, s3
	global_atomic_xor_b32 v17, v18, s[36:37]
.LBB112_41:
	s_or_b32 exec_lo, exec_lo, s10
	s_delay_alu instid0(VALU_DEP_3) | instskip(NEXT) | instid1(VALU_DEP_3)
	v_fma_f64 v[1:2], v[1:2], v[3:4], v[7:8]
	v_fma_f64 v[3:4], v[11:12], v[3:4], v[5:6]
.LBB112_42:
	s_or_b32 exec_lo, exec_lo, s2
	s_load_b64 s[2:3], s[26:27], 0x8
	s_mul_i32 s10, s31, 0xc00
	s_sub_u32 s11, s28, s30
	s_subb_u32 s35, s29, 0
	s_mul_hi_i32 s9, s31, 0xc00
	s_add_u32 s11, s11, s10
	s_addc_u32 s10, s35, s9
	v_add_co_u32 v5, s9, s11, v0
	s_delay_alu instid0(VALU_DEP_1) | instskip(SKIP_4) | instid1(SALU_CYCLE_1)
	v_add_co_ci_u32_e64 v6, null, s10, 0, s9
	s_mov_b32 s9, exec_lo
	s_waitcnt lgkmcnt(0)
	s_sub_u32 s2, s2, s30
	s_subb_u32 s3, s3, 0
	v_cmpx_gt_i64_e64 s[2:3], v[5:6]
	s_cbranch_execz .LBB112_46
; %bb.43:
	v_lshlrev_b64 v[7:8], 3, v[5:6]
	v_lshlrev_b64 v[17:18], 2, v[5:6]
	s_add_u32 s36, s11, 0xc00
	s_addc_u32 s37, s10, 0
	s_delay_alu instid0(SALU_CYCLE_1) | instskip(NEXT) | instid1(VALU_DEP_3)
	v_cmp_lt_i64_e64 s10, s[36:37], s[2:3]
	v_add_co_u32 v7, vcc_lo, v7, s16
	v_add_co_ci_u32_e32 v8, vcc_lo, s17, v8, vcc_lo
	s_delay_alu instid0(VALU_DEP_3) | instskip(NEXT) | instid1(VALU_DEP_2)
	s_and_b32 s10, s10, exec_lo
	v_add_co_u32 v7, vcc_lo, v7, 4
	s_delay_alu instid0(VALU_DEP_2)
	v_add_co_ci_u32_e32 v8, vcc_lo, 0, v8, vcc_lo
	v_add_co_u32 v17, vcc_lo, s14, v17
	v_add_co_ci_u32_e32 v18, vcc_lo, s15, v18, vcc_lo
	s_cselect_b32 s11, s37, s3
	s_cselect_b32 s10, s36, s2
	s_mov_b32 s3, 0
.LBB112_44:                             ; =>This Inner Loop Header: Depth=1
	global_load_b32 v19, v[17:18], off
	global_load_b64 v[23:24], v[7:8], off offset:-4
	v_add_co_u32 v17, s2, 0x400, v17
	s_delay_alu instid0(VALU_DEP_1)
	v_add_co_ci_u32_e64 v18, s2, 0, v18, s2
	s_waitcnt vmcnt(1)
	v_subrev_nc_u32_e32 v19, s30, v19
	s_waitcnt vmcnt(0)
	v_cndmask_b32_e64 v24, v24, -v24, s33
	v_cvt_f64_f32_e32 v[26:27], v23
	s_delay_alu instid0(VALU_DEP_3) | instskip(NEXT) | instid1(VALU_DEP_3)
	v_ashrrev_i32_e32 v20, 31, v19
	v_cvt_f64_f32_e32 v[24:25], v24
	s_delay_alu instid0(VALU_DEP_2) | instskip(NEXT) | instid1(VALU_DEP_1)
	v_lshlrev_b64 v[19:20], 4, v[19:20]
	v_add_co_u32 v19, vcc_lo, s18, v19
	s_delay_alu instid0(VALU_DEP_2)
	v_add_co_ci_u32_e32 v20, vcc_lo, s19, v20, vcc_lo
	v_add_co_u32 v5, vcc_lo, 0x100, v5
	v_add_co_ci_u32_e32 v6, vcc_lo, 0, v6, vcc_lo
	global_load_b128 v[19:22], v[19:20], off
	v_add_co_u32 v7, vcc_lo, 0x800, v7
	v_add_co_ci_u32_e32 v8, vcc_lo, 0, v8, vcc_lo
	v_cmp_le_i64_e32 vcc_lo, s[10:11], v[5:6]
	s_or_b32 s3, vcc_lo, s3
	v_mul_f64 v[28:29], -v[15:16], v[24:25]
	v_mul_f64 v[23:24], v[13:14], v[24:25]
	s_delay_alu instid0(VALU_DEP_2) | instskip(NEXT) | instid1(VALU_DEP_2)
	v_fma_f64 v[28:29], v[13:14], v[26:27], v[28:29]
	v_fma_f64 v[23:24], v[15:16], v[26:27], v[23:24]
	s_waitcnt vmcnt(0)
	s_delay_alu instid0(VALU_DEP_2) | instskip(NEXT) | instid1(VALU_DEP_2)
	v_fma_f64 v[1:2], v[28:29], v[19:20], v[1:2]
	v_fma_f64 v[3:4], v[23:24], v[19:20], v[3:4]
	s_delay_alu instid0(VALU_DEP_2) | instskip(NEXT) | instid1(VALU_DEP_2)
	v_fma_f64 v[1:2], -v[23:24], v[21:22], v[1:2]
	v_fma_f64 v[3:4], v[28:29], v[21:22], v[3:4]
	s_and_not1_b32 exec_lo, exec_lo, s3
	s_cbranch_execnz .LBB112_44
; %bb.45:
	s_or_b32 exec_lo, exec_lo, s3
.LBB112_46:
	s_delay_alu instid0(SALU_CYCLE_1)
	s_or_b32 exec_lo, exec_lo, s9
	v_lshlrev_b32_e32 v5, 4, v0
	s_mov_b32 s2, exec_lo
	ds_store_b128 v5, v[1:4]
	s_waitcnt vmcnt(0) lgkmcnt(0)
	s_waitcnt_vscnt null, 0x0
	s_barrier
	buffer_gl0_inv
	v_cmpx_gt_u32_e32 0x80, v0
	s_cbranch_execz .LBB112_48
; %bb.47:
	ds_load_b128 v[1:4], v5 offset:2048
	ds_load_b128 v[17:20], v5
	s_waitcnt lgkmcnt(0)
	v_add_f64 v[1:2], v[1:2], v[17:18]
	v_add_f64 v[3:4], v[3:4], v[19:20]
	ds_store_b128 v5, v[1:4]
.LBB112_48:
	s_or_b32 exec_lo, exec_lo, s2
	s_delay_alu instid0(SALU_CYCLE_1)
	s_mov_b32 s2, exec_lo
	s_waitcnt lgkmcnt(0)
	s_barrier
	buffer_gl0_inv
	v_cmpx_gt_u32_e32 64, v0
	s_cbranch_execz .LBB112_50
; %bb.49:
	ds_load_b128 v[1:4], v5 offset:1024
	ds_load_b128 v[17:20], v5
	s_waitcnt lgkmcnt(0)
	v_add_f64 v[1:2], v[1:2], v[17:18]
	v_add_f64 v[3:4], v[3:4], v[19:20]
	ds_store_b128 v5, v[1:4]
.LBB112_50:
	s_or_b32 exec_lo, exec_lo, s2
	s_delay_alu instid0(SALU_CYCLE_1)
	s_mov_b32 s2, exec_lo
	s_waitcnt lgkmcnt(0)
	;; [unrolled: 16-line block ×6, first 2 shown]
	s_barrier
	buffer_gl0_inv
	v_cmpx_gt_u32_e32 2, v0
	s_cbranch_execz .LBB112_60
; %bb.59:
	ds_load_b128 v[1:4], v5
	ds_load_b128 v[17:20], v5 offset:32
	s_waitcnt lgkmcnt(0)
	v_add_f64 v[1:2], v[17:18], v[1:2]
	v_add_f64 v[3:4], v[19:20], v[3:4]
	ds_store_b128 v5, v[1:4]
.LBB112_60:
	s_or_b32 exec_lo, exec_lo, s2
	v_cmp_eq_u32_e32 vcc_lo, 0, v0
	s_waitcnt lgkmcnt(0)
	s_barrier
	buffer_gl0_inv
	s_and_saveexec_b32 s2, vcc_lo
	s_cbranch_execz .LBB112_62
; %bb.61:
	v_mov_b32_e32 v17, 0
	ds_load_b128 v[1:4], v17
	ds_load_b128 v[5:8], v17 offset:16
	s_waitcnt lgkmcnt(0)
	v_add_f64 v[1:2], v[5:6], v[1:2]
	v_add_f64 v[3:4], v[7:8], v[3:4]
	ds_store_b128 v17, v[1:4]
.LBB112_62:
	s_or_b32 exec_lo, exec_lo, s2
	s_waitcnt lgkmcnt(0)
	s_barrier
	buffer_gl0_inv
	s_and_saveexec_b32 s10, vcc_lo
	s_cbranch_execz .LBB112_75
; %bb.63:
	s_cmp_eq_u32 s31, 0
	s_cbranch_scc1 .LBB112_69
; %bb.64:
	s_ashr_i32 s9, s8, 31
	v_mov_b32_e32 v1, 0
	s_lshl_b64 s[2:3], s[8:9], 2
	s_delay_alu instid0(SALU_CYCLE_1)
	s_add_u32 s2, s6, s2
	s_addc_u32 s3, s7, s3
	s_branch .LBB112_66
.LBB112_65:                             ;   in Loop: Header=BB112_66 Depth=1
	s_or_b32 exec_lo, exec_lo, s6
	s_waitcnt vmcnt(0)
	v_readfirstlane_b32 s6, v2
	s_delay_alu instid0(VALU_DEP_1)
	s_cmp_eq_u32 s6, s34
	s_cbranch_scc0 .LBB112_68
.LBB112_66:                             ; =>This Inner Loop Header: Depth=1
	v_mbcnt_lo_u32_b32 v2, exec_lo, 0
	s_delay_alu instid0(VALU_DEP_1)
	v_cmp_eq_u32_e32 vcc_lo, 0, v2
                                        ; implicit-def: $vgpr2
	s_and_saveexec_b32 s6, vcc_lo
	s_cbranch_execz .LBB112_65
; %bb.67:                               ;   in Loop: Header=BB112_66 Depth=1
	global_load_b32 v2, v1, s[2:3] glc
	s_branch .LBB112_65
.LBB112_68:
	v_mov_b32_e32 v1, 0
	global_load_b32 v2, v1, s[4:5]
	s_waitcnt vmcnt(0)
	v_xor_b32_e32 v2, 1, v2
	global_store_b32 v1, v2, s[4:5]
.LBB112_69:
	v_mov_b32_e32 v17, 0
	s_mov_b32 s5, exec_lo
	s_lshl_b64 s[2:3], s[20:21], 4
	v_mbcnt_lo_u32_b32 v5, s5, 0
	s_add_u32 s2, s24, s2
	ds_load_b128 v[1:4], v17
	s_addc_u32 s3, s25, s3
	s_mov_b32 s4, exec_lo
	v_cmpx_eq_u32_e32 0, v5
	s_cbranch_execz .LBB112_72
; %bb.70:
	global_load_b64 v[7:8], v17, s[2:3]
	s_bcnt1_i32_b32 s5, s5
	s_delay_alu instid0(SALU_CYCLE_1) | instskip(SKIP_2) | instid1(VALU_DEP_1)
	v_cvt_f64_u32_e32 v[5:6], s5
	s_mov_b32 s5, 0
	s_waitcnt lgkmcnt(0)
	v_mul_f64 v[1:2], v[1:2], v[5:6]
.LBB112_71:                             ; =>This Inner Loop Header: Depth=1
	s_waitcnt vmcnt(0)
	s_delay_alu instid0(VALU_DEP_1)
	v_add_f64 v[5:6], v[7:8], v[1:2]
	global_atomic_cmpswap_b64 v[5:6], v17, v[5:8], s[2:3] glc
	s_waitcnt vmcnt(0)
	v_cmp_eq_u64_e32 vcc_lo, v[5:6], v[7:8]
	v_dual_mov_b32 v8, v6 :: v_dual_mov_b32 v7, v5
	s_or_b32 s5, vcc_lo, s5
	s_delay_alu instid0(SALU_CYCLE_1)
	s_and_not1_b32 exec_lo, exec_lo, s5
	s_cbranch_execnz .LBB112_71
.LBB112_72:
	s_or_b32 exec_lo, exec_lo, s4
	s_delay_alu instid0(SALU_CYCLE_1) | instskip(SKIP_3) | instid1(VALU_DEP_1)
	s_mov_b32 s5, exec_lo
	s_mov_b32 s4, 0
	s_waitcnt lgkmcnt(0)
	v_mbcnt_lo_u32_b32 v1, s5, 0
	v_cmp_eq_u32_e32 vcc_lo, 0, v1
	s_and_b32 s6, exec_lo, vcc_lo
	s_delay_alu instid0(SALU_CYCLE_1)
	s_mov_b32 exec_lo, s6
	s_cbranch_execz .LBB112_75
; %bb.73:
	v_mov_b32_e32 v7, 0
	s_bcnt1_i32_b32 s5, s5
	s_delay_alu instid0(SALU_CYCLE_1)
	v_cvt_f64_u32_e32 v[1:2], s5
	global_load_b64 v[5:6], v7, s[2:3] offset:8
	v_mul_f64 v[1:2], v[3:4], v[1:2]
.LBB112_74:                             ; =>This Inner Loop Header: Depth=1
	s_waitcnt vmcnt(0)
	s_delay_alu instid0(VALU_DEP_1)
	v_add_f64 v[3:4], v[5:6], v[1:2]
	global_atomic_cmpswap_b64 v[3:4], v7, v[3:6], s[2:3] offset:8 glc
	s_waitcnt vmcnt(0)
	v_cmp_eq_u64_e32 vcc_lo, v[3:4], v[5:6]
	v_dual_mov_b32 v6, v4 :: v_dual_mov_b32 v5, v3
	s_or_b32 s4, vcc_lo, s4
	s_delay_alu instid0(SALU_CYCLE_1)
	s_and_not1_b32 exec_lo, exec_lo, s4
	s_cbranch_execnz .LBB112_74
.LBB112_75:
	s_or_b32 exec_lo, exec_lo, s10
.LBB112_76:
	s_mov_b32 s3, 0
.LBB112_77:
	s_delay_alu instid0(SALU_CYCLE_1)
	s_and_not1_b32 vcc_lo, exec_lo, s3
	s_cbranch_vccnz .LBB112_121
; %bb.78:
	s_load_b64 s[0:1], s[0:1], 0x8
	v_sub_co_u32 v1, s2, v0, s30
	s_delay_alu instid0(VALU_DEP_1) | instskip(SKIP_1) | instid1(VALU_DEP_2)
	v_sub_co_ci_u32_e64 v2, null, 0, 0, s2
	s_waitcnt lgkmcnt(0)
	v_add_co_u32 v1, vcc_lo, s28, v1
	s_delay_alu instid0(VALU_DEP_2) | instskip(NEXT) | instid1(VALU_DEP_2)
	v_add_co_ci_u32_e32 v2, vcc_lo, s29, v2, vcc_lo
	v_add_co_u32 v3, vcc_lo, 0x300, v1
	s_delay_alu instid0(VALU_DEP_2) | instskip(NEXT) | instid1(VALU_DEP_1)
	v_add_co_ci_u32_e32 v4, vcc_lo, 0, v2, vcc_lo
	v_cmp_le_i64_e32 vcc_lo, s[0:1], v[3:4]
	s_and_saveexec_b32 s0, vcc_lo
	s_delay_alu instid0(SALU_CYCLE_1)
	s_xor_b32 s1, exec_lo, s0
	s_cbranch_execz .LBB112_83
; %bb.79:
	s_lshl_b64 s[2:3], s[22:23], 3
	s_mov_b32 s4, exec_lo
	s_add_u32 s2, s12, s2
	s_addc_u32 s3, s13, s3
	s_load_b64 s[2:3], s[2:3], 0x0
	s_waitcnt lgkmcnt(0)
	s_sub_u32 s2, s2, s30
	s_subb_u32 s3, s3, 0
	s_delay_alu instid0(SALU_CYCLE_1)
	v_cmpx_gt_i64_e64 s[2:3], v[1:2]
	s_cbranch_execz .LBB112_82
; %bb.80:
	v_lshlrev_b64 v[3:4], 3, v[1:2]
	v_lshlrev_b64 v[5:6], 2, v[1:2]
	v_lshlrev_b32_e32 v7, 4, v0
	s_mov_b32 s5, 0
	s_delay_alu instid0(VALU_DEP_3) | instskip(NEXT) | instid1(VALU_DEP_4)
	v_add_co_u32 v3, vcc_lo, v3, s16
	v_add_co_ci_u32_e32 v4, vcc_lo, s17, v4, vcc_lo
	s_delay_alu instid0(VALU_DEP_2) | instskip(NEXT) | instid1(VALU_DEP_2)
	v_add_co_u32 v3, vcc_lo, v3, 4
	v_add_co_ci_u32_e32 v4, vcc_lo, 0, v4, vcc_lo
	v_add_co_u32 v5, vcc_lo, s14, v5
	v_add_co_ci_u32_e32 v6, vcc_lo, s15, v6, vcc_lo
.LBB112_81:                             ; =>This Inner Loop Header: Depth=1
	global_load_b32 v8, v[5:6], off
	global_load_b64 v[21:22], v[3:4], off offset:-4
	s_waitcnt vmcnt(1)
	v_subrev_nc_u32_e32 v17, s30, v8
	s_waitcnt vmcnt(0)
	v_cndmask_b32_e64 v8, v22, -v22, s33
	v_cvt_f64_f32_e32 v[24:25], v21
	s_delay_alu instid0(VALU_DEP_3) | instskip(NEXT) | instid1(VALU_DEP_3)
	v_ashrrev_i32_e32 v18, 31, v17
	v_cvt_f64_f32_e32 v[22:23], v8
	s_delay_alu instid0(VALU_DEP_2) | instskip(NEXT) | instid1(VALU_DEP_1)
	v_lshlrev_b64 v[17:18], 4, v[17:18]
	v_add_co_u32 v17, vcc_lo, s18, v17
	s_delay_alu instid0(VALU_DEP_2)
	v_add_co_ci_u32_e32 v18, vcc_lo, s19, v18, vcc_lo
	v_add_co_u32 v1, vcc_lo, 0x100, v1
	v_add_co_ci_u32_e32 v2, vcc_lo, 0, v2, vcc_lo
	global_load_b128 v[17:20], v[17:18], off
	v_add_co_u32 v3, vcc_lo, 0x800, v3
	v_add_co_ci_u32_e32 v4, vcc_lo, 0, v4, vcc_lo
	v_cmp_le_i64_e64 s0, s[2:3], v[1:2]
	v_add_co_u32 v5, vcc_lo, 0x400, v5
	v_add_co_ci_u32_e32 v6, vcc_lo, 0, v6, vcc_lo
	s_delay_alu instid0(VALU_DEP_3) | instskip(SKIP_2) | instid1(VALU_DEP_2)
	s_or_b32 s5, s0, s5
	v_mul_f64 v[26:27], v[13:14], v[22:23]
	v_mul_f64 v[21:22], -v[15:16], v[22:23]
	v_fma_f64 v[26:27], v[15:16], v[24:25], v[26:27]
	s_delay_alu instid0(VALU_DEP_2) | instskip(SKIP_1) | instid1(VALU_DEP_2)
	v_fma_f64 v[21:22], v[13:14], v[24:25], v[21:22]
	s_waitcnt vmcnt(0)
	v_mul_f64 v[23:24], v[19:20], -v[26:27]
	s_delay_alu instid0(VALU_DEP_2) | instskip(NEXT) | instid1(VALU_DEP_2)
	v_mul_f64 v[28:29], v[19:20], v[21:22]
	v_fma_f64 v[19:20], v[21:22], v[17:18], v[23:24]
	s_delay_alu instid0(VALU_DEP_2)
	v_fma_f64 v[21:22], v[26:27], v[17:18], v[28:29]
	ds_store_b128 v7, v[19:22]
	v_add_nc_u32_e32 v7, 0x1000, v7
	s_and_not1_b32 exec_lo, exec_lo, s5
	s_cbranch_execnz .LBB112_81
.LBB112_82:
	s_or_b32 exec_lo, exec_lo, s4
                                        ; implicit-def: $vgpr1_vgpr2
                                        ; implicit-def: $vgpr15_vgpr16
                                        ; implicit-def: $vgpr13_vgpr14
.LBB112_83:
	s_or_saveexec_b32 s0, s1
	v_lshlrev_b32_e32 v17, 4, v0
	s_xor_b32 exec_lo, exec_lo, s0
	s_cbranch_execz .LBB112_85
; %bb.84:
	v_lshlrev_b64 v[3:4], 2, v[1:2]
	v_lshlrev_b64 v[1:2], 3, v[1:2]
	s_delay_alu instid0(VALU_DEP_2) | instskip(NEXT) | instid1(VALU_DEP_3)
	v_add_co_u32 v3, vcc_lo, s14, v3
	v_add_co_ci_u32_e32 v4, vcc_lo, s15, v4, vcc_lo
	s_delay_alu instid0(VALU_DEP_3) | instskip(NEXT) | instid1(VALU_DEP_4)
	v_add_co_u32 v1, vcc_lo, s16, v1
	v_add_co_ci_u32_e32 v2, vcc_lo, s17, v2, vcc_lo
	s_clause 0x3
	global_load_b32 v5, v[3:4], off
	global_load_b32 v6, v[3:4], off offset:1024
	global_load_b32 v7, v[3:4], off offset:2048
	;; [unrolled: 1-line block ×3, first 2 shown]
	v_add_co_u32 v3, vcc_lo, 0x1000, v1
	v_add_co_ci_u32_e32 v4, vcc_lo, 0, v2, vcc_lo
	s_clause 0x3
	global_load_b64 v[26:27], v[1:2], off
	global_load_b64 v[28:29], v[1:2], off offset:2048
	global_load_b64 v[30:31], v[3:4], off
	global_load_b64 v[32:33], v[3:4], off offset:2048
	s_waitcnt vmcnt(7)
	v_subrev_nc_u32_e32 v1, s30, v5
	s_waitcnt vmcnt(6)
	v_subrev_nc_u32_e32 v3, s30, v6
	;; [unrolled: 2-line block ×4, first 2 shown]
	v_ashrrev_i32_e32 v2, 31, v1
	v_ashrrev_i32_e32 v4, 31, v3
	v_ashrrev_i32_e32 v6, 31, v5
	s_delay_alu instid0(VALU_DEP_4)
	v_ashrrev_i32_e32 v8, 31, v7
	s_waitcnt vmcnt(3)
	v_cndmask_b32_e64 v27, v27, -v27, s33
	v_lshlrev_b64 v[1:2], 4, v[1:2]
	v_lshlrev_b64 v[3:4], 4, v[3:4]
	;; [unrolled: 1-line block ×4, first 2 shown]
	s_waitcnt vmcnt(2)
	v_cndmask_b32_e64 v29, v29, -v29, s33
	s_waitcnt vmcnt(1)
	v_cndmask_b32_e64 v31, v31, -v31, s33
	v_add_co_u32 v1, vcc_lo, s18, v1
	v_add_co_ci_u32_e32 v2, vcc_lo, s19, v2, vcc_lo
	v_add_co_u32 v18, vcc_lo, s18, v3
	v_add_co_ci_u32_e32 v19, vcc_lo, s19, v4, vcc_lo
	;; [unrolled: 2-line block ×3, first 2 shown]
	v_add_co_u32 v22, vcc_lo, s18, v7
	global_load_b128 v[1:4], v[1:2], off
	v_add_co_ci_u32_e32 v23, vcc_lo, s19, v8, vcc_lo
	s_clause 0x2
	global_load_b128 v[5:8], v[18:19], off
	global_load_b128 v[18:21], v[20:21], off
	;; [unrolled: 1-line block ×3, first 2 shown]
	v_cvt_f64_f32_e32 v[34:35], v27
	s_waitcnt vmcnt(4)
	v_cndmask_b32_e64 v27, v33, -v33, s33
	v_cvt_f64_f32_e32 v[36:37], v29
	v_cvt_f64_f32_e32 v[38:39], v31
	;; [unrolled: 1-line block ×7, first 2 shown]
	v_mul_f64 v[42:43], v[13:14], v[34:35]
	v_mul_f64 v[34:35], -v[15:16], v[34:35]
	v_mul_f64 v[44:45], v[13:14], v[36:37]
	v_mul_f64 v[36:37], -v[15:16], v[36:37]
	;; [unrolled: 2-line block ×4, first 2 shown]
	v_fma_f64 v[42:43], v[15:16], v[26:27], v[42:43]
	v_fma_f64 v[26:27], v[13:14], v[26:27], v[34:35]
	;; [unrolled: 1-line block ×8, first 2 shown]
	s_waitcnt vmcnt(3)
	v_mul_f64 v[13:14], v[3:4], -v[42:43]
	v_mul_f64 v[3:4], v[3:4], v[26:27]
	s_waitcnt vmcnt(2)
	v_mul_f64 v[40:41], v[7:8], -v[34:35]
	v_mul_f64 v[7:8], v[7:8], v[28:29]
	;; [unrolled: 3-line block ×4, first 2 shown]
	v_fma_f64 v[13:14], v[26:27], v[1:2], v[13:14]
	v_fma_f64 v[15:16], v[42:43], v[1:2], v[3:4]
	;; [unrolled: 1-line block ×8, first 2 shown]
	ds_store_b128 v17, v[13:16]
	ds_store_b128 v17, v[1:4] offset:4096
	ds_store_b128 v17, v[5:8] offset:8192
	;; [unrolled: 1-line block ×3, first 2 shown]
.LBB112_85:
	s_or_b32 exec_lo, exec_lo, s0
	s_cmp_lt_i32 s31, 2
	s_mov_b32 s0, -1
	s_waitcnt vmcnt(0) lgkmcnt(0)
	s_waitcnt_vscnt null, 0x0
	s_barrier
	buffer_gl0_inv
	s_cbranch_scc0 .LBB112_96
; %bb.86:
	v_add_co_u32 v13, s0, s20, v0
	s_delay_alu instid0(VALU_DEP_1) | instskip(SKIP_1) | instid1(VALU_DEP_1)
	v_add_co_ci_u32_e64 v14, null, s21, 0, s0
	s_mov_b32 s1, exec_lo
	v_cmpx_gt_i64_e64 s[22:23], v[13:14]
	s_cbranch_execz .LBB112_95
; %bb.87:
	v_cmp_neq_f64_e32 vcc_lo, 0, v[9:10]
	v_cmp_neq_f64_e64 s0, 0, v[11:12]
	s_lshl_b32 s4, s28, 4
	s_mov_b32 s2, 0
	s_sub_i32 s4, 0, s4
	s_delay_alu instid0(VALU_DEP_1)
	s_or_b32 s3, vcc_lo, s0
	s_branch .LBB112_89
.LBB112_88:                             ;   in Loop: Header=BB112_89 Depth=1
	s_or_b32 exec_lo, exec_lo, s0
	v_add_co_u32 v13, vcc_lo, 0x100, v13
	v_add_co_ci_u32_e32 v14, vcc_lo, 0, v14, vcc_lo
	v_add_co_u32 v5, s0, s24, v5
	s_delay_alu instid0(VALU_DEP_1) | instskip(NEXT) | instid1(VALU_DEP_3)
	v_add_co_ci_u32_e64 v6, s0, s25, v6, s0
	v_cmp_le_i64_e32 vcc_lo, s[22:23], v[13:14]
	global_store_b128 v[5:6], v[1:4], off
	s_or_b32 s2, vcc_lo, s2
	s_delay_alu instid0(SALU_CYCLE_1)
	s_and_not1_b32 exec_lo, exec_lo, s2
	s_cbranch_execz .LBB112_95
.LBB112_89:                             ; =>This Loop Header: Depth=1
                                        ;     Child Loop BB112_91 Depth 2
	v_lshlrev_b64 v[1:2], 3, v[13:14]
	v_mov_b32_e32 v3, 0
	v_mov_b32_e32 v4, 0
	s_mov_b32 s0, exec_lo
	s_delay_alu instid0(VALU_DEP_3) | instskip(NEXT) | instid1(VALU_DEP_4)
	v_add_co_u32 v1, vcc_lo, s12, v1
	v_add_co_ci_u32_e32 v2, vcc_lo, s13, v2, vcc_lo
	global_load_b128 v[5:8], v[1:2], off
	v_dual_mov_b32 v1, v3 :: v_dual_mov_b32 v2, v4
	s_waitcnt vmcnt(0)
	v_subrev_nc_u32_e32 v6, s28, v5
	v_subrev_nc_u32_e32 v7, s28, v7
	s_delay_alu instid0(VALU_DEP_1)
	v_cmpx_lt_i32_e64 v6, v7
	s_cbranch_execz .LBB112_93
; %bb.90:                               ;   in Loop: Header=BB112_89 Depth=1
	v_mov_b32_e32 v3, 0
	v_mov_b32_e32 v4, 0
	v_lshl_add_u32 v5, v5, 4, s4
	s_delay_alu instid0(VALU_DEP_3) | instskip(SKIP_1) | instid1(VALU_DEP_3)
	v_mov_b32_e32 v1, v3
	s_mov_b32 s5, 0
	v_mov_b32_e32 v2, v4
.LBB112_91:                             ;   Parent Loop BB112_89 Depth=1
                                        ; =>  This Inner Loop Header: Depth=2
	ds_load_b128 v[18:21], v5
	v_add_nc_u32_e32 v6, 1, v6
	v_add_nc_u32_e32 v5, 16, v5
	s_delay_alu instid0(VALU_DEP_2)
	v_cmp_ge_i32_e32 vcc_lo, v6, v7
	s_or_b32 s5, vcc_lo, s5
	s_waitcnt lgkmcnt(0)
	v_add_f64 v[1:2], v[1:2], v[18:19]
	v_add_f64 v[3:4], v[3:4], v[20:21]
	s_and_not1_b32 exec_lo, exec_lo, s5
	s_cbranch_execnz .LBB112_91
; %bb.92:                               ;   in Loop: Header=BB112_89 Depth=1
	s_or_b32 exec_lo, exec_lo, s5
.LBB112_93:                             ;   in Loop: Header=BB112_89 Depth=1
	s_delay_alu instid0(SALU_CYCLE_1)
	s_or_b32 exec_lo, exec_lo, s0
	v_lshlrev_b64 v[5:6], 4, v[13:14]
	s_and_saveexec_b32 s0, s3
	s_cbranch_execz .LBB112_88
; %bb.94:                               ;   in Loop: Header=BB112_89 Depth=1
	s_delay_alu instid0(VALU_DEP_1) | instskip(NEXT) | instid1(VALU_DEP_2)
	v_add_co_u32 v7, vcc_lo, s24, v5
	v_add_co_ci_u32_e32 v8, vcc_lo, s25, v6, vcc_lo
	global_load_b128 v[18:21], v[7:8], off
	s_waitcnt vmcnt(0)
	v_fma_f64 v[1:2], v[9:10], v[18:19], v[1:2]
	v_fma_f64 v[3:4], v[11:12], v[18:19], v[3:4]
	s_delay_alu instid0(VALU_DEP_2) | instskip(NEXT) | instid1(VALU_DEP_2)
	v_fma_f64 v[1:2], -v[11:12], v[20:21], v[1:2]
	v_fma_f64 v[3:4], v[9:10], v[20:21], v[3:4]
	s_branch .LBB112_88
.LBB112_95:
	s_or_b32 exec_lo, exec_lo, s1
	s_mov_b32 s0, 0
.LBB112_96:
	s_delay_alu instid0(SALU_CYCLE_1)
	s_and_not1_b32 vcc_lo, exec_lo, s0
	s_cbranch_vccnz .LBB112_121
; %bb.97:
	s_clz_i32_u32 s0, s31
	v_mov_b32_e32 v1, 0
	s_xor_b32 s0, s0, 31
	s_mov_b32 s1, exec_lo
	v_lshrrev_b32_e32 v8, s0, v0
	s_delay_alu instid0(VALU_DEP_1) | instskip(NEXT) | instid1(VALU_DEP_1)
	v_add_co_u32 v5, s0, s20, v8
	v_add_co_ci_u32_e64 v6, null, s21, 0, s0
	s_add_i32 s0, s31, -1
	s_delay_alu instid0(SALU_CYCLE_1) | instskip(NEXT) | instid1(VALU_DEP_2)
	v_dual_mov_b32 v2, 0 :: v_dual_and_b32 v7, s0, v0
	v_cmp_le_i64_e32 vcc_lo, s[22:23], v[5:6]
	s_delay_alu instid0(VALU_DEP_2)
	v_dual_mov_b32 v4, v2 :: v_dual_mov_b32 v3, v1
	v_cmpx_gt_i64_e64 s[22:23], v[5:6]
	s_cbranch_execz .LBB112_103
; %bb.98:
	v_dual_mov_b32 v3, 0 :: v_dual_lshlrev_b32 v0, 3, v8
	v_mov_b32_e32 v4, 0
	s_mov_b32 s2, exec_lo
	s_clause 0x1
	global_load_b32 v1, v0, s[26:27]
	global_load_b32 v0, v0, s[26:27] offset:8
	s_waitcnt vmcnt(1)
	v_subrev_nc_u32_e32 v1, s28, v1
	s_waitcnt vmcnt(0)
	v_subrev_nc_u32_e32 v0, s28, v0
	s_delay_alu instid0(VALU_DEP_2) | instskip(SKIP_1) | instid1(VALU_DEP_2)
	v_add_nc_u32_e32 v8, v7, v1
	v_dual_mov_b32 v1, v3 :: v_dual_mov_b32 v2, v4
	v_cmpx_lt_i32_e64 v8, v0
	s_cbranch_execz .LBB112_102
; %bb.99:
	v_mov_b32_e32 v3, 0
	v_dual_mov_b32 v4, 0 :: v_dual_lshlrev_b32 v13, 4, v8
	s_delay_alu instid0(VALU_DEP_2) | instskip(SKIP_2) | instid1(VALU_DEP_2)
	v_mov_b32_e32 v1, v3
	s_lshl_b32 s4, s31, 4
	s_mov_b32 s3, 0
	v_mov_b32_e32 v2, v4
.LBB112_100:                            ; =>This Inner Loop Header: Depth=1
	ds_load_b128 v[18:21], v13
	v_add_nc_u32_e32 v8, s31, v8
	v_add_nc_u32_e32 v13, s4, v13
	s_delay_alu instid0(VALU_DEP_2) | instskip(NEXT) | instid1(VALU_DEP_1)
	v_cmp_ge_i32_e64 s0, v8, v0
	s_or_b32 s3, s0, s3
	s_waitcnt lgkmcnt(0)
	v_add_f64 v[1:2], v[1:2], v[18:19]
	v_add_f64 v[3:4], v[3:4], v[20:21]
	s_and_not1_b32 exec_lo, exec_lo, s3
	s_cbranch_execnz .LBB112_100
; %bb.101:
	s_or_b32 exec_lo, exec_lo, s3
.LBB112_102:
	s_delay_alu instid0(SALU_CYCLE_1)
	s_or_b32 exec_lo, exec_lo, s2
.LBB112_103:
	s_delay_alu instid0(SALU_CYCLE_1)
	s_or_b32 exec_lo, exec_lo, s1
	s_cmpk_lt_i32 s31, 0x81
	s_waitcnt_vscnt null, 0x0
	s_barrier
	buffer_gl0_inv
	ds_store_b128 v17, v[1:4]
	s_waitcnt lgkmcnt(0)
	s_barrier
	buffer_gl0_inv
	s_cbranch_scc1 .LBB112_105
; %bb.104:
	ds_load_b128 v[13:16], v17 offset:2048
	s_waitcnt lgkmcnt(0)
	s_barrier
	buffer_gl0_inv
	v_add_f64 v[1:2], v[1:2], v[13:14]
	v_add_f64 v[3:4], v[3:4], v[15:16]
	ds_store_b128 v17, v[1:4]
.LBB112_105:
	s_cmpk_lt_i32 s31, 0x41
	s_waitcnt lgkmcnt(0)
	s_barrier
	buffer_gl0_inv
	s_cbranch_scc1 .LBB112_107
; %bb.106:
	ds_load_b128 v[13:16], v17 offset:1024
	s_waitcnt lgkmcnt(0)
	s_barrier
	buffer_gl0_inv
	v_add_f64 v[1:2], v[1:2], v[13:14]
	v_add_f64 v[3:4], v[3:4], v[15:16]
	ds_store_b128 v17, v[1:4]
.LBB112_107:
	s_cmp_lt_i32 s31, 33
	s_waitcnt lgkmcnt(0)
	s_barrier
	buffer_gl0_inv
	s_cbranch_scc1 .LBB112_109
; %bb.108:
	ds_load_b128 v[13:16], v17 offset:512
	s_waitcnt lgkmcnt(0)
	s_barrier
	buffer_gl0_inv
	v_add_f64 v[1:2], v[1:2], v[13:14]
	v_add_f64 v[3:4], v[3:4], v[15:16]
	ds_store_b128 v17, v[1:4]
.LBB112_109:
	s_cmp_lt_i32 s31, 17
	;; [unrolled: 14-line block ×4, first 2 shown]
	s_waitcnt lgkmcnt(0)
	s_barrier
	buffer_gl0_inv
	s_cbranch_scc1 .LBB112_115
; %bb.114:
	ds_load_b128 v[13:16], v17 offset:64
	s_waitcnt lgkmcnt(0)
	s_barrier
	buffer_gl0_inv
	v_add_f64 v[1:2], v[1:2], v[13:14]
	v_add_f64 v[3:4], v[3:4], v[15:16]
	ds_store_b128 v17, v[1:4]
.LBB112_115:
	s_cmp_eq_u32 s31, 2
	s_waitcnt lgkmcnt(0)
	s_barrier
	buffer_gl0_inv
	s_cbranch_scc1 .LBB112_117
; %bb.116:
	ds_load_b128 v[13:16], v17 offset:32
	s_waitcnt lgkmcnt(0)
	s_barrier
	buffer_gl0_inv
	v_add_f64 v[1:2], v[1:2], v[13:14]
	v_add_f64 v[3:4], v[3:4], v[15:16]
	ds_store_b128 v17, v[1:4]
.LBB112_117:
	s_waitcnt lgkmcnt(0)
	s_barrier
	buffer_gl0_inv
	ds_load_b128 v[13:16], v17 offset:16
	v_cmp_eq_u32_e64 s0, 0, v7
	s_xor_b32 s1, vcc_lo, -1
	s_waitcnt lgkmcnt(0)
	s_barrier
	buffer_gl0_inv
	s_and_b32 s0, s0, s1
	v_add_f64 v[0:1], v[1:2], v[13:14]
	v_add_f64 v[2:3], v[3:4], v[15:16]
	ds_store_b128 v17, v[0:3]
	s_and_b32 exec_lo, exec_lo, s0
	s_cbranch_execz .LBB112_121
; %bb.118:
	v_cmp_neq_f64_e32 vcc_lo, 0, v[9:10]
	v_cmp_neq_f64_e64 s0, 0, v[11:12]
	v_lshlrev_b64 v[4:5], 4, v[5:6]
	s_delay_alu instid0(VALU_DEP_2) | instskip(NEXT) | instid1(SALU_CYCLE_1)
	s_or_b32 s1, vcc_lo, s0
	s_and_saveexec_b32 s0, s1
	s_cbranch_execz .LBB112_120
; %bb.119:
	s_delay_alu instid0(VALU_DEP_1) | instskip(NEXT) | instid1(VALU_DEP_2)
	v_add_co_u32 v6, vcc_lo, s24, v4
	v_add_co_ci_u32_e32 v7, vcc_lo, s25, v5, vcc_lo
	global_load_b128 v[13:16], v[6:7], off
	s_waitcnt vmcnt(0)
	v_fma_f64 v[0:1], v[9:10], v[13:14], v[0:1]
	v_fma_f64 v[2:3], v[11:12], v[13:14], v[2:3]
	s_delay_alu instid0(VALU_DEP_2) | instskip(NEXT) | instid1(VALU_DEP_2)
	v_fma_f64 v[0:1], -v[11:12], v[15:16], v[0:1]
	v_fma_f64 v[2:3], v[9:10], v[15:16], v[2:3]
.LBB112_120:
	s_or_b32 exec_lo, exec_lo, s0
	s_delay_alu instid0(VALU_DEP_1)
	v_add_co_u32 v4, vcc_lo, s24, v4
	v_add_co_ci_u32_e32 v5, vcc_lo, s25, v5, vcc_lo
	global_store_b128 v[4:5], v[0:3], off
.LBB112_121:
	s_endpgm
	.section	.rodata,"a",@progbits
	.p2align	6, 0x0
	.amdhsa_kernel _ZN9rocsparseL22csrmvn_adaptive_kernelIli21rocsparse_complex_numIfES1_IdES3_S3_EEvbT_PKS4_PjPKT0_NS_24const_host_device_scalarIT4_EES6_SA_PKT1_PKT2_SD_PT3_21rocsparse_index_base_b
		.amdhsa_group_segment_fixed_size 16384
		.amdhsa_private_segment_fixed_size 24
		.amdhsa_kernarg_size 120
		.amdhsa_user_sgpr_count 15
		.amdhsa_user_sgpr_dispatch_ptr 0
		.amdhsa_user_sgpr_queue_ptr 0
		.amdhsa_user_sgpr_kernarg_segment_ptr 1
		.amdhsa_user_sgpr_dispatch_id 0
		.amdhsa_user_sgpr_private_segment_size 0
		.amdhsa_wavefront_size32 1
		.amdhsa_uses_dynamic_stack 0
		.amdhsa_enable_private_segment 1
		.amdhsa_system_sgpr_workgroup_id_x 1
		.amdhsa_system_sgpr_workgroup_id_y 0
		.amdhsa_system_sgpr_workgroup_id_z 0
		.amdhsa_system_sgpr_workgroup_info 0
		.amdhsa_system_vgpr_workitem_id 0
		.amdhsa_next_free_vgpr 50
		.amdhsa_next_free_sgpr 50
		.amdhsa_reserve_vcc 1
		.amdhsa_float_round_mode_32 0
		.amdhsa_float_round_mode_16_64 0
		.amdhsa_float_denorm_mode_32 3
		.amdhsa_float_denorm_mode_16_64 3
		.amdhsa_dx10_clamp 1
		.amdhsa_ieee_mode 1
		.amdhsa_fp16_overflow 0
		.amdhsa_workgroup_processor_mode 1
		.amdhsa_memory_ordered 1
		.amdhsa_forward_progress 0
		.amdhsa_shared_vgpr_count 0
		.amdhsa_exception_fp_ieee_invalid_op 0
		.amdhsa_exception_fp_denorm_src 0
		.amdhsa_exception_fp_ieee_div_zero 0
		.amdhsa_exception_fp_ieee_overflow 0
		.amdhsa_exception_fp_ieee_underflow 0
		.amdhsa_exception_fp_ieee_inexact 0
		.amdhsa_exception_int_div_zero 0
	.end_amdhsa_kernel
	.section	.text._ZN9rocsparseL22csrmvn_adaptive_kernelIli21rocsparse_complex_numIfES1_IdES3_S3_EEvbT_PKS4_PjPKT0_NS_24const_host_device_scalarIT4_EES6_SA_PKT1_PKT2_SD_PT3_21rocsparse_index_base_b,"axG",@progbits,_ZN9rocsparseL22csrmvn_adaptive_kernelIli21rocsparse_complex_numIfES1_IdES3_S3_EEvbT_PKS4_PjPKT0_NS_24const_host_device_scalarIT4_EES6_SA_PKT1_PKT2_SD_PT3_21rocsparse_index_base_b,comdat
.Lfunc_end112:
	.size	_ZN9rocsparseL22csrmvn_adaptive_kernelIli21rocsparse_complex_numIfES1_IdES3_S3_EEvbT_PKS4_PjPKT0_NS_24const_host_device_scalarIT4_EES6_SA_PKT1_PKT2_SD_PT3_21rocsparse_index_base_b, .Lfunc_end112-_ZN9rocsparseL22csrmvn_adaptive_kernelIli21rocsparse_complex_numIfES1_IdES3_S3_EEvbT_PKS4_PjPKT0_NS_24const_host_device_scalarIT4_EES6_SA_PKT1_PKT2_SD_PT3_21rocsparse_index_base_b
                                        ; -- End function
	.section	.AMDGPU.csdata,"",@progbits
; Kernel info:
; codeLenInByte = 6240
; NumSgprs: 52
; NumVgprs: 50
; ScratchSize: 24
; MemoryBound: 0
; FloatMode: 240
; IeeeMode: 1
; LDSByteSize: 16384 bytes/workgroup (compile time only)
; SGPRBlocks: 6
; VGPRBlocks: 6
; NumSGPRsForWavesPerEU: 52
; NumVGPRsForWavesPerEU: 50
; Occupancy: 16
; WaveLimiterHint : 1
; COMPUTE_PGM_RSRC2:SCRATCH_EN: 1
; COMPUTE_PGM_RSRC2:USER_SGPR: 15
; COMPUTE_PGM_RSRC2:TRAP_HANDLER: 0
; COMPUTE_PGM_RSRC2:TGID_X_EN: 1
; COMPUTE_PGM_RSRC2:TGID_Y_EN: 0
; COMPUTE_PGM_RSRC2:TGID_Z_EN: 0
; COMPUTE_PGM_RSRC2:TIDIG_COMP_CNT: 0
	.section	.text._ZN9rocsparseL27csrmvn_symm_adaptive_kernelIli21rocsparse_complex_numIfES1_IdES3_S3_EEvbT_S4_PKS4_NS_24const_host_device_scalarIT4_EES6_PKT0_PKT1_PKT2_S9_PT3_21rocsparse_index_base_b,"axG",@progbits,_ZN9rocsparseL27csrmvn_symm_adaptive_kernelIli21rocsparse_complex_numIfES1_IdES3_S3_EEvbT_S4_PKS4_NS_24const_host_device_scalarIT4_EES6_PKT0_PKT1_PKT2_S9_PT3_21rocsparse_index_base_b,comdat
	.globl	_ZN9rocsparseL27csrmvn_symm_adaptive_kernelIli21rocsparse_complex_numIfES1_IdES3_S3_EEvbT_S4_PKS4_NS_24const_host_device_scalarIT4_EES6_PKT0_PKT1_PKT2_S9_PT3_21rocsparse_index_base_b ; -- Begin function _ZN9rocsparseL27csrmvn_symm_adaptive_kernelIli21rocsparse_complex_numIfES1_IdES3_S3_EEvbT_S4_PKS4_NS_24const_host_device_scalarIT4_EES6_PKT0_PKT1_PKT2_S9_PT3_21rocsparse_index_base_b
	.p2align	8
	.type	_ZN9rocsparseL27csrmvn_symm_adaptive_kernelIli21rocsparse_complex_numIfES1_IdES3_S3_EEvbT_S4_PKS4_NS_24const_host_device_scalarIT4_EES6_PKT0_PKT1_PKT2_S9_PT3_21rocsparse_index_base_b,@function
_ZN9rocsparseL27csrmvn_symm_adaptive_kernelIli21rocsparse_complex_numIfES1_IdES3_S3_EEvbT_S4_PKS4_NS_24const_host_device_scalarIT4_EES6_PKT0_PKT1_PKT2_S9_PT3_21rocsparse_index_base_b: ; @_ZN9rocsparseL27csrmvn_symm_adaptive_kernelIli21rocsparse_complex_numIfES1_IdES3_S3_EEvbT_S4_PKS4_NS_24const_host_device_scalarIT4_EES6_PKT0_PKT1_PKT2_S9_PT3_21rocsparse_index_base_b
; %bb.0:
	s_clause 0x2
	s_load_b64 s[24:25], s[0:1], 0x68
	s_load_b128 s[8:11], s[0:1], 0x20
	s_load_b128 s[4:7], s[0:1], 0x50
	s_mov_b64 s[2:3], src_private_base
	v_mov_b32_e32 v1, 0
	s_mov_b32 s12, s15
	s_waitcnt lgkmcnt(0)
	s_bitcmp1_b32 s25, 0
	v_dual_mov_b32 v3, s8 :: v_dual_mov_b32 v6, s5
	s_cselect_b32 s2, -1, 0
	v_mov_b32_e32 v4, s9
	s_and_b32 vcc_lo, s2, exec_lo
	s_cselect_b32 s13, s3, s9
	v_cndmask_b32_e64 v1, s8, v1, s2
	v_dual_mov_b32 v5, s4 :: v_dual_mov_b32 v2, s13
	s_clause 0x1
	scratch_store_b64 off, v[3:4], off
	scratch_store_b64 off, v[5:6], off offset:8
	v_dual_mov_b32 v12, s11 :: v_dual_mov_b32 v11, s10
	flat_load_b64 v[9:10], v[1:2]
	s_xor_b32 s10, s2, -1
	s_cbranch_vccnz .LBB113_2
; %bb.1:
	v_dual_mov_b32 v1, s8 :: v_dual_mov_b32 v2, s9
	flat_load_b64 v[11:12], v[1:2] offset:8
.LBB113_2:
	s_and_b32 s8, s2, exec_lo
	s_cselect_b32 s3, s3, s5
	s_delay_alu instid0(SALU_CYCLE_1) | instskip(SKIP_2) | instid1(VALU_DEP_2)
	v_dual_mov_b32 v1, 8 :: v_dual_mov_b32 v2, s3
	v_dual_mov_b32 v3, s6 :: v_dual_mov_b32 v4, s7
	s_and_not1_b32 vcc_lo, exec_lo, s10
	v_cndmask_b32_e64 v1, s4, v1, s2
	flat_load_b64 v[1:2], v[1:2]
	s_cbranch_vccnz .LBB113_4
; %bb.3:
	v_dual_mov_b32 v3, s4 :: v_dual_mov_b32 v4, s5
	flat_load_b64 v[3:4], v[3:4] offset:8
.LBB113_4:
	s_waitcnt vmcnt(1) lgkmcnt(1)
	v_cmp_eq_f64_e32 vcc_lo, 0, v[9:10]
	v_cmp_eq_f64_e64 s2, 0, v[11:12]
	s_delay_alu instid0(VALU_DEP_1)
	s_and_b32 s4, vcc_lo, s2
	s_mov_b32 s2, -1
	s_and_saveexec_b32 s3, s4
	s_cbranch_execz .LBB113_6
; %bb.5:
	s_waitcnt vmcnt(0) lgkmcnt(0)
	v_cmp_neq_f64_e32 vcc_lo, 1.0, v[1:2]
	v_cmp_neq_f64_e64 s2, 0, v[3:4]
	s_delay_alu instid0(VALU_DEP_1) | instskip(NEXT) | instid1(SALU_CYCLE_1)
	s_or_b32 s2, vcc_lo, s2
	s_or_not1_b32 s2, s2, exec_lo
.LBB113_6:
	s_or_b32 exec_lo, exec_lo, s3
	s_and_saveexec_b32 s3, s2
	s_cbranch_execz .LBB113_216
; %bb.7:
	s_clause 0x1
	s_load_b32 s8, s[0:1], 0x0
	s_load_b64 s[2:3], s[0:1], 0x18
	s_mov_b32 s4, 0
	s_delay_alu instid0(SALU_CYCLE_1)
	s_mov_b32 s5, s4
	s_mov_b32 s6, s4
	;; [unrolled: 1-line block ×3, first 2 shown]
	s_waitcnt vmcnt(0) lgkmcnt(0)
	v_dual_mov_b32 v1, s4 :: v_dual_lshlrev_b32 v26, 4, v0
	v_dual_mov_b32 v2, s5 :: v_dual_mov_b32 v3, s6
	v_mov_b32_e32 v4, s7
	ds_store_b128 v26, v[1:4]
	ds_store_b128 v26, v[1:4] offset:4096
	ds_store_b128 v26, v[1:4] offset:8192
	;; [unrolled: 1-line block ×3, first 2 shown]
	s_waitcnt lgkmcnt(0)
	s_waitcnt_vscnt null, 0x0
	s_barrier
	s_bitcmp1_b32 s8, 0
	buffer_gl0_inv
	s_cselect_b32 s25, -1, 0
	s_ashr_i32 s13, s12, 31
	s_delay_alu instid0(SALU_CYCLE_1) | instskip(NEXT) | instid1(SALU_CYCLE_1)
	s_lshl_b64 s[4:5], s[12:13], 3
	s_add_u32 s2, s2, s4
	s_addc_u32 s3, s3, s5
	s_load_b128 s[16:19], s[2:3], 0x0
	s_clause 0x1
	s_load_b64 s[20:21], s[0:1], 0x60
	s_load_b256 s[8:15], s[0:1], 0x30
	s_waitcnt lgkmcnt(0)
	s_sub_u32 s22, s18, s16
	s_subb_u32 s23, s19, s17
	s_delay_alu instid0(SALU_CYCLE_1) | instskip(NEXT) | instid1(VALU_DEP_1)
	v_cmp_gt_i64_e64 s2, s[22:23], 2
	s_and_b32 vcc_lo, exec_lo, s2
	s_mov_b32 s2, -1
	s_cbranch_vccnz .LBB113_53
; %bb.8:
	v_cmp_gt_i64_e64 s2, s[18:19], s[16:17]
	v_sub_co_u32 v15, s3, v0, s24
	s_delay_alu instid0(VALU_DEP_1) | instskip(NEXT) | instid1(VALU_DEP_3)
	v_sub_co_ci_u32_e64 v16, null, 0, 0, s3
	s_and_b32 vcc_lo, exec_lo, s2
	s_cbranch_vccnz .LBB113_10
; %bb.9:
	s_lshl_b64 s[2:3], s[16:17], 3
	s_delay_alu instid0(SALU_CYCLE_1)
	s_add_u32 s2, s8, s2
	s_addc_u32 s3, s9, s3
	s_load_b64 s[26:27], s[2:3], 0x0
	s_cbranch_execz .LBB113_11
	s_branch .LBB113_40
.LBB113_10:
                                        ; implicit-def: $sgpr26_sgpr27
.LBB113_11:
	s_lshl_b64 s[2:3], s[16:17], 3
	v_cmp_gt_u32_e64 s4, 16, v0
	s_add_u32 s2, s8, s2
	s_addc_u32 s3, s9, s3
	v_cmp_gt_u32_e64 s5, 4, v0
	s_waitcnt lgkmcnt(0)
	s_load_b64 s[26:27], s[2:3], 0x0
	v_cmp_gt_u32_e64 s2, 0x100, v0
	v_cmp_gt_u32_e64 s3, 64, v0
	v_cmp_eq_u32_e64 s6, 0, v0
	v_mov_b32_e32 v17, 0
	s_add_u32 s33, s8, 8
	s_addc_u32 s36, s9, 0
	s_add_u32 s37, s12, 4
	s_addc_u32 s38, s13, 0
	s_mov_b64 s[28:29], s[16:17]
	s_waitcnt lgkmcnt(0)
	s_mov_b64 s[30:31], s[26:27]
	s_branch .LBB113_13
.LBB113_12:                             ;   in Loop: Header=BB113_13 Depth=1
	s_or_b32 exec_lo, exec_lo, s7
	s_add_u32 s28, s28, 1
	s_addc_u32 s29, s29, 0
	s_delay_alu instid0(SALU_CYCLE_1) | instskip(NEXT) | instid1(VALU_DEP_1)
	v_cmp_ge_i64_e64 s7, s[28:29], s[18:19]
	s_and_b32 vcc_lo, exec_lo, s7
	s_cbranch_vccnz .LBB113_40
.LBB113_13:                             ; =>This Loop Header: Depth=1
                                        ;     Child Loop BB113_15 Depth 2
                                        ;     Child Loop BB113_29 Depth 2
	;; [unrolled: 1-line block ×5, first 2 shown]
	s_lshl_b64 s[34:35], s[28:29], 3
	s_mov_b64 s[40:41], s[30:31]
	s_add_u32 s34, s33, s34
	s_addc_u32 s35, s36, s35
	v_mov_b32_e32 v3, 0
	s_load_b64 s[30:31], s[34:35], 0x0
	v_mov_b32_e32 v4, 0
	v_add_co_u32 v5, vcc_lo, s40, v15
	v_add_co_ci_u32_e32 v6, vcc_lo, s41, v16, vcc_lo
	s_delay_alu instid0(VALU_DEP_3) | instskip(SKIP_4) | instid1(SALU_CYCLE_1)
	v_dual_mov_b32 v1, v3 :: v_dual_mov_b32 v2, v4
	s_mov_b32 s39, exec_lo
	s_waitcnt lgkmcnt(0)
	s_sub_u32 s34, s30, s24
	s_subb_u32 s35, s31, 0
	v_cmpx_gt_i64_e64 s[34:35], v[5:6]
	s_cbranch_execz .LBB113_17
; %bb.14:                               ;   in Loop: Header=BB113_13 Depth=1
	v_lshlrev_b64 v[1:2], 2, v[5:6]
	v_lshlrev_b64 v[13:14], 3, v[5:6]
	v_mov_b32_e32 v3, 0
	v_mov_b32_e32 v4, 0
	s_mov_b32 s40, 0
	s_delay_alu instid0(VALU_DEP_4)
	v_add_co_u32 v7, vcc_lo, s10, v1
	v_add_co_ci_u32_e32 v8, vcc_lo, s11, v2, vcc_lo
	v_add_co_u32 v13, vcc_lo, s37, v13
	v_add_co_ci_u32_e32 v14, vcc_lo, s38, v14, vcc_lo
	v_dual_mov_b32 v1, v3 :: v_dual_mov_b32 v2, v4
	s_set_inst_prefetch_distance 0x1
	.p2align	6
.LBB113_15:                             ;   Parent Loop BB113_13 Depth=1
                                        ; =>  This Inner Loop Header: Depth=2
	global_load_b32 v18, v[7:8], off
	global_load_b64 v[22:23], v[13:14], off offset:-4
	v_add_co_u32 v13, s7, 0x800, v13
	s_delay_alu instid0(VALU_DEP_1)
	v_add_co_ci_u32_e64 v14, s7, 0, v14, s7
	s_waitcnt vmcnt(1)
	v_subrev_nc_u32_e32 v18, s24, v18
	s_waitcnt vmcnt(0)
	v_cndmask_b32_e64 v24, v23, -v23, s25
	v_cvt_f64_f32_e32 v[22:23], v22
	s_delay_alu instid0(VALU_DEP_3) | instskip(NEXT) | instid1(VALU_DEP_3)
	v_ashrrev_i32_e32 v19, 31, v18
	v_cvt_f64_f32_e32 v[24:25], v24
	s_delay_alu instid0(VALU_DEP_2) | instskip(NEXT) | instid1(VALU_DEP_1)
	v_lshlrev_b64 v[18:19], 4, v[18:19]
	v_add_co_u32 v18, vcc_lo, s14, v18
	s_delay_alu instid0(VALU_DEP_2)
	v_add_co_ci_u32_e32 v19, vcc_lo, s15, v19, vcc_lo
	v_add_co_u32 v5, vcc_lo, 0x100, v5
	v_add_co_ci_u32_e32 v6, vcc_lo, 0, v6, vcc_lo
	global_load_b128 v[18:21], v[18:19], off
	v_add_co_u32 v7, vcc_lo, 0x400, v7
	v_add_co_ci_u32_e32 v8, vcc_lo, 0, v8, vcc_lo
	v_cmp_le_i64_e32 vcc_lo, s[34:35], v[5:6]
	s_or_b32 s40, vcc_lo, s40
	s_waitcnt vmcnt(0)
	v_fma_f64 v[1:2], v[22:23], v[18:19], v[1:2]
	v_fma_f64 v[3:4], v[24:25], v[18:19], v[3:4]
	s_delay_alu instid0(VALU_DEP_2) | instskip(NEXT) | instid1(VALU_DEP_2)
	v_fma_f64 v[1:2], -v[24:25], v[20:21], v[1:2]
	v_fma_f64 v[3:4], v[22:23], v[20:21], v[3:4]
	s_and_not1_b32 exec_lo, exec_lo, s40
	s_cbranch_execnz .LBB113_15
; %bb.16:                               ;   in Loop: Header=BB113_13 Depth=1
	s_set_inst_prefetch_distance 0x2
	s_or_b32 exec_lo, exec_lo, s40
.LBB113_17:                             ;   in Loop: Header=BB113_13 Depth=1
	s_delay_alu instid0(SALU_CYCLE_1)
	s_or_b32 exec_lo, exec_lo, s39
	ds_store_b128 v26, v[1:4]
	s_waitcnt lgkmcnt(0)
	s_barrier
	buffer_gl0_inv
	s_and_saveexec_b32 s7, s2
	s_cbranch_execz .LBB113_19
; %bb.18:                               ;   in Loop: Header=BB113_13 Depth=1
	ds_load_b128 v[1:4], v26 offset:4096
	ds_load_b128 v[5:8], v26 offset:8192
	ds_load_b128 v[18:21], v26 offset:12288
	ds_load_b128 v[22:25], v26
	s_waitcnt lgkmcnt(2)
	v_add_f64 v[1:2], v[5:6], v[1:2]
	v_add_f64 v[3:4], v[7:8], v[3:4]
	s_waitcnt lgkmcnt(1)
	s_delay_alu instid0(VALU_DEP_2) | instskip(NEXT) | instid1(VALU_DEP_2)
	v_add_f64 v[1:2], v[1:2], v[18:19]
	v_add_f64 v[3:4], v[3:4], v[20:21]
	s_waitcnt lgkmcnt(0)
	s_delay_alu instid0(VALU_DEP_2) | instskip(NEXT) | instid1(VALU_DEP_2)
	v_add_f64 v[1:2], v[1:2], v[22:23]
	v_add_f64 v[3:4], v[3:4], v[24:25]
	ds_store_b128 v26, v[1:4]
.LBB113_19:                             ;   in Loop: Header=BB113_13 Depth=1
	s_or_b32 exec_lo, exec_lo, s7
	s_waitcnt lgkmcnt(0)
	s_barrier
	buffer_gl0_inv
	s_and_saveexec_b32 s7, s3
	s_cbranch_execz .LBB113_21
; %bb.20:                               ;   in Loop: Header=BB113_13 Depth=1
	ds_load_b128 v[1:4], v26 offset:1024
	ds_load_b128 v[5:8], v26 offset:2048
	ds_load_b128 v[18:21], v26 offset:3072
	ds_load_b128 v[22:25], v26
	s_waitcnt lgkmcnt(2)
	v_add_f64 v[1:2], v[5:6], v[1:2]
	v_add_f64 v[3:4], v[7:8], v[3:4]
	s_waitcnt lgkmcnt(1)
	s_delay_alu instid0(VALU_DEP_2) | instskip(NEXT) | instid1(VALU_DEP_2)
	v_add_f64 v[1:2], v[1:2], v[18:19]
	v_add_f64 v[3:4], v[3:4], v[20:21]
	s_waitcnt lgkmcnt(0)
	s_delay_alu instid0(VALU_DEP_2) | instskip(NEXT) | instid1(VALU_DEP_2)
	v_add_f64 v[1:2], v[1:2], v[22:23]
	v_add_f64 v[3:4], v[3:4], v[24:25]
	ds_store_b128 v26, v[1:4]
.LBB113_21:                             ;   in Loop: Header=BB113_13 Depth=1
	s_or_b32 exec_lo, exec_lo, s7
	;; [unrolled: 24-line block ×5, first 2 shown]
	s_waitcnt lgkmcnt(0)
	s_barrier
	buffer_gl0_inv
	s_and_saveexec_b32 s7, s6
	s_cbranch_execz .LBB113_12
; %bb.28:                               ;   in Loop: Header=BB113_13 Depth=1
	ds_load_b128 v[1:4], v17
	v_mov_b32_e32 v13, 0
	v_bfrev_b32_e32 v14, 1
	s_mov_b32 s34, exec_lo
	s_waitcnt lgkmcnt(0)
	v_mul_f64 v[5:6], v[3:4], -v[11:12]
	s_delay_alu instid0(VALU_DEP_1)
	v_fma_f64 v[5:6], v[9:10], v[1:2], v[5:6]
.LBB113_29:                             ;   Parent Loop BB113_13 Depth=1
                                        ; =>  This Inner Loop Header: Depth=2
	s_ctz_i32_b32 s35, s34
	s_delay_alu instid0(VALU_DEP_1) | instid1(SALU_CYCLE_1)
	v_readlane_b32 s41, v6, s35
	s_delay_alu instid0(VALU_DEP_2) | instskip(SKIP_1) | instid1(SALU_CYCLE_1)
	v_readlane_b32 s40, v5, s35
	s_lshl_b32 s35, 1, s35
	s_and_not1_b32 s34, s34, s35
	s_delay_alu instid0(VALU_DEP_1)
	v_add_f64 v[13:14], v[13:14], s[40:41]
	s_cmp_lg_u32 s34, 0
	s_cbranch_scc1 .LBB113_29
; %bb.30:                               ;   in Loop: Header=BB113_13 Depth=1
	v_mbcnt_lo_u32_b32 v5, exec_lo, 0
	s_lshl_b64 s[34:35], s[28:29], 4
	s_mov_b32 s39, exec_lo
	s_add_u32 s34, s20, s34
	s_addc_u32 s35, s21, s35
	v_cmpx_eq_u32_e32 0, v5
	s_xor_b32 s39, exec_lo, s39
	s_cbranch_execz .LBB113_34
; %bb.31:                               ;   in Loop: Header=BB113_13 Depth=1
	global_load_b64 v[7:8], v17, s[34:35]
	s_mov_b32 s40, 0
.LBB113_32:                             ;   Parent Loop BB113_13 Depth=1
                                        ; =>  This Inner Loop Header: Depth=2
	s_waitcnt vmcnt(0)
	v_add_f64 v[5:6], v[7:8], v[13:14]
	global_atomic_cmpswap_b64 v[5:6], v17, v[5:8], s[34:35] glc
	s_waitcnt vmcnt(0)
	v_cmp_eq_u64_e32 vcc_lo, v[5:6], v[7:8]
	v_dual_mov_b32 v8, v6 :: v_dual_mov_b32 v7, v5
	s_or_b32 s40, vcc_lo, s40
	s_delay_alu instid0(SALU_CYCLE_1)
	s_and_not1_b32 exec_lo, exec_lo, s40
	s_cbranch_execnz .LBB113_32
; %bb.33:                               ;   in Loop: Header=BB113_13 Depth=1
	s_or_b32 exec_lo, exec_lo, s40
.LBB113_34:                             ;   in Loop: Header=BB113_13 Depth=1
	s_delay_alu instid0(SALU_CYCLE_1) | instskip(SKIP_4) | instid1(VALU_DEP_3)
	s_or_b32 exec_lo, exec_lo, s39
	v_mul_f64 v[3:4], v[9:10], v[3:4]
	v_mov_b32_e32 v5, 0
	v_bfrev_b32_e32 v6, 1
	s_mov_b32 s39, exec_lo
	v_fma_f64 v[1:2], v[11:12], v[1:2], v[3:4]
.LBB113_35:                             ;   Parent Loop BB113_13 Depth=1
                                        ; =>  This Inner Loop Header: Depth=2
	s_ctz_i32_b32 s42, s39
	s_delay_alu instid0(VALU_DEP_1) | instid1(SALU_CYCLE_1)
	v_readlane_b32 s41, v2, s42
	s_delay_alu instid0(VALU_DEP_2) | instskip(NEXT) | instid1(VALU_DEP_1)
	v_readlane_b32 s40, v1, s42
	v_add_f64 v[5:6], v[5:6], s[40:41]
	s_lshl_b32 s40, 1, s42
	s_delay_alu instid0(SALU_CYCLE_1) | instskip(NEXT) | instid1(SALU_CYCLE_1)
	s_and_not1_b32 s39, s39, s40
	s_cmp_lg_u32 s39, 0
	s_cbranch_scc1 .LBB113_35
; %bb.36:                               ;   in Loop: Header=BB113_13 Depth=1
	v_mbcnt_lo_u32_b32 v1, exec_lo, 0
	s_mov_b32 s39, exec_lo
	s_delay_alu instid0(VALU_DEP_1)
	v_cmpx_eq_u32_e32 0, v1
	s_xor_b32 s39, exec_lo, s39
	s_cbranch_execz .LBB113_12
; %bb.37:                               ;   in Loop: Header=BB113_13 Depth=1
	global_load_b64 v[3:4], v17, s[34:35] offset:8
	s_mov_b32 s39, 0
.LBB113_38:                             ;   Parent Loop BB113_13 Depth=1
                                        ; =>  This Inner Loop Header: Depth=2
	s_waitcnt vmcnt(0)
	v_add_f64 v[1:2], v[3:4], v[5:6]
	global_atomic_cmpswap_b64 v[1:2], v17, v[1:4], s[34:35] offset:8 glc
	s_waitcnt vmcnt(0)
	v_cmp_eq_u64_e32 vcc_lo, v[1:2], v[3:4]
	v_dual_mov_b32 v4, v2 :: v_dual_mov_b32 v3, v1
	s_or_b32 s39, vcc_lo, s39
	s_delay_alu instid0(SALU_CYCLE_1)
	s_and_not1_b32 exec_lo, exec_lo, s39
	s_cbranch_execnz .LBB113_38
; %bb.39:                               ;   in Loop: Header=BB113_13 Depth=1
	s_or_b32 exec_lo, exec_lo, s39
	s_branch .LBB113_12
.LBB113_40:
	s_lshl_b64 s[2:3], s[18:19], 3
	s_waitcnt lgkmcnt(0)
	v_add_co_u32 v13, vcc_lo, s26, v15
	s_add_u32 s2, s8, s2
	s_addc_u32 s3, s9, s3
	v_add_co_ci_u32_e32 v14, vcc_lo, s27, v16, vcc_lo
	s_load_b64 s[2:3], s[2:3], 0x0
	s_waitcnt lgkmcnt(0)
	s_sub_u32 s4, s2, s24
	s_subb_u32 s5, s3, 0
	s_mov_b32 s3, exec_lo
	v_cmpx_gt_i64_e64 s[4:5], v[13:14]
	s_cbranch_execz .LBB113_52
; %bb.41:
	s_add_u32 s6, s18, -1
	s_addc_u32 s7, s19, -1
	s_add_u32 s26, s18, -2
	v_cmp_gt_i64_e64 s2, s[6:7], s[16:17]
	s_addc_u32 s27, s19, -1
	s_delay_alu instid0(SALU_CYCLE_1)
	s_cmp_lg_u64 s[26:27], s[16:17]
	s_mov_b32 s27, 0
	s_cselect_b32 s26, -1, 0
	s_delay_alu instid0(VALU_DEP_1) | instid1(SALU_CYCLE_1)
	s_and_b32 s26, s2, s26
	s_branch .LBB113_43
.LBB113_42:                             ;   in Loop: Header=BB113_43 Depth=1
	s_or_b32 exec_lo, exec_lo, s2
	v_add_co_u32 v13, vcc_lo, 0x100, v13
	v_add_co_ci_u32_e32 v14, vcc_lo, 0, v14, vcc_lo
	s_delay_alu instid0(VALU_DEP_1) | instskip(SKIP_1) | instid1(SALU_CYCLE_1)
	v_cmp_le_i64_e32 vcc_lo, s[4:5], v[13:14]
	s_or_b32 s27, vcc_lo, s27
	s_and_not1_b32 exec_lo, exec_lo, s27
	s_cbranch_execz .LBB113_52
.LBB113_43:                             ; =>This Loop Header: Depth=1
                                        ;     Child Loop BB113_45 Depth 2
                                        ;     Child Loop BB113_49 Depth 2
	;; [unrolled: 1-line block ×3, first 2 shown]
	v_dual_mov_b32 v1, s16 :: v_dual_mov_b32 v2, s17
	v_dual_mov_b32 v3, s6 :: v_dual_mov_b32 v4, s7
	s_and_not1_b32 vcc_lo, exec_lo, s26
	s_cbranch_vccnz .LBB113_47
; %bb.44:                               ;   in Loop: Header=BB113_43 Depth=1
	v_dual_mov_b32 v1, s16 :: v_dual_mov_b32 v2, s17
	v_dual_mov_b32 v3, s6 :: v_dual_mov_b32 v4, s7
	s_mov_b32 s28, 0
	s_set_inst_prefetch_distance 0x1
	.p2align	6
.LBB113_45:                             ;   Parent Loop BB113_43 Depth=1
                                        ; =>  This Inner Loop Header: Depth=2
	s_delay_alu instid0(VALU_DEP_1) | instskip(NEXT) | instid1(VALU_DEP_2)
	v_add_co_u32 v5, vcc_lo, v3, v1
	v_add_co_ci_u32_e32 v6, vcc_lo, v4, v2, vcc_lo
	s_delay_alu instid0(VALU_DEP_1) | instskip(NEXT) | instid1(VALU_DEP_1)
	v_lshrrev_b32_e32 v7, 31, v6
	v_add_co_u32 v5, vcc_lo, v5, v7
	v_add_co_ci_u32_e32 v6, vcc_lo, 0, v6, vcc_lo
	s_delay_alu instid0(VALU_DEP_1) | instskip(NEXT) | instid1(VALU_DEP_1)
	v_ashrrev_i64 v[5:6], 1, v[5:6]
	v_lshlrev_b64 v[7:8], 3, v[5:6]
	s_delay_alu instid0(VALU_DEP_1) | instskip(NEXT) | instid1(VALU_DEP_2)
	v_add_co_u32 v7, vcc_lo, s8, v7
	v_add_co_ci_u32_e32 v8, vcc_lo, s9, v8, vcc_lo
	global_load_b64 v[7:8], v[7:8], off
	s_waitcnt vmcnt(0)
	v_sub_co_u32 v7, vcc_lo, v7, s24
	v_subrev_co_ci_u32_e32 v8, vcc_lo, 0, v8, vcc_lo
	s_delay_alu instid0(VALU_DEP_1) | instskip(SKIP_2) | instid1(VALU_DEP_2)
	v_cmp_gt_i64_e32 vcc_lo, v[7:8], v[13:14]
	v_dual_cndmask_b32 v4, v4, v6 :: v_dual_cndmask_b32 v3, v3, v5
	v_dual_cndmask_b32 v2, v6, v2 :: v_dual_cndmask_b32 v1, v5, v1
	v_add_co_u32 v5, vcc_lo, v3, -1
	s_delay_alu instid0(VALU_DEP_3) | instskip(NEXT) | instid1(VALU_DEP_3)
	v_add_co_ci_u32_e32 v6, vcc_lo, -1, v4, vcc_lo
	v_cmp_ge_i64_e32 vcc_lo, v[1:2], v[3:4]
	s_delay_alu instid0(VALU_DEP_2) | instskip(NEXT) | instid1(VALU_DEP_1)
	v_cmp_eq_u64_e64 s2, v[1:2], v[5:6]
	s_or_b32 s2, vcc_lo, s2
	s_delay_alu instid0(SALU_CYCLE_1) | instskip(NEXT) | instid1(SALU_CYCLE_1)
	s_and_b32 s2, exec_lo, s2
	s_or_b32 s28, s2, s28
	s_delay_alu instid0(SALU_CYCLE_1)
	s_and_not1_b32 exec_lo, exec_lo, s28
	s_cbranch_execnz .LBB113_45
; %bb.46:                               ;   in Loop: Header=BB113_43 Depth=1
	s_set_inst_prefetch_distance 0x2
	s_or_b32 exec_lo, exec_lo, s28
.LBB113_47:                             ;   in Loop: Header=BB113_43 Depth=1
	s_delay_alu instid0(VALU_DEP_1) | instskip(SKIP_2) | instid1(VALU_DEP_2)
	v_lshlrev_b64 v[5:6], 3, v[3:4]
	v_lshlrev_b64 v[7:8], 2, v[13:14]
	s_mov_b32 s2, exec_lo
	v_add_co_u32 v5, vcc_lo, s8, v5
	s_delay_alu instid0(VALU_DEP_3) | instskip(NEXT) | instid1(VALU_DEP_3)
	v_add_co_ci_u32_e32 v6, vcc_lo, s9, v6, vcc_lo
	v_add_co_u32 v7, vcc_lo, s10, v7
	s_delay_alu instid0(VALU_DEP_4)
	v_add_co_ci_u32_e32 v8, vcc_lo, s11, v8, vcc_lo
	global_load_b64 v[5:6], v[5:6], off
	global_load_b32 v7, v[7:8], off
	s_waitcnt vmcnt(1)
	v_sub_co_u32 v5, vcc_lo, v5, s24
	v_subrev_co_ci_u32_e32 v6, vcc_lo, 0, v6, vcc_lo
	s_delay_alu instid0(VALU_DEP_1) | instskip(SKIP_2) | instid1(VALU_DEP_1)
	v_cmp_gt_i64_e32 vcc_lo, v[5:6], v[13:14]
	s_waitcnt vmcnt(0)
	v_subrev_nc_u32_e32 v5, s24, v7
	v_ashrrev_i32_e32 v6, 31, v5
	v_dual_cndmask_b32 v2, v4, v2 :: v_dual_cndmask_b32 v1, v3, v1
	s_delay_alu instid0(VALU_DEP_1)
	v_cmpx_ne_u64_e64 v[1:2], v[5:6]
	s_cbranch_execz .LBB113_42
; %bb.48:                               ;   in Loop: Header=BB113_43 Depth=1
	v_lshlrev_b64 v[3:4], 3, v[13:14]
	v_lshlrev_b64 v[1:2], 4, v[1:2]
	;; [unrolled: 1-line block ×3, first 2 shown]
	s_mov_b32 s28, 0
	s_delay_alu instid0(VALU_DEP_3) | instskip(NEXT) | instid1(VALU_DEP_4)
	v_add_co_u32 v3, vcc_lo, s12, v3
	v_add_co_ci_u32_e32 v4, vcc_lo, s13, v4, vcc_lo
	s_delay_alu instid0(VALU_DEP_4)
	v_add_co_u32 v1, vcc_lo, s14, v1
	v_add_co_ci_u32_e32 v2, vcc_lo, s15, v2, vcc_lo
	global_load_b64 v[17:18], v[3:4], off
	v_add_co_u32 v15, vcc_lo, s20, v5
	global_load_b128 v[1:4], v[1:2], off
	v_add_co_ci_u32_e32 v16, vcc_lo, s21, v6, vcc_lo
	global_load_b64 v[7:8], v[15:16], off
	s_waitcnt vmcnt(2)
	v_cndmask_b32_e64 v5, v18, -v18, s25
	v_cvt_f64_f32_e32 v[19:20], v17
	s_delay_alu instid0(VALU_DEP_2) | instskip(NEXT) | instid1(VALU_DEP_1)
	v_cvt_f64_f32_e32 v[5:6], v5
	v_mul_f64 v[17:18], v[9:10], v[5:6]
	v_mul_f64 v[5:6], -v[11:12], v[5:6]
	s_delay_alu instid0(VALU_DEP_2) | instskip(NEXT) | instid1(VALU_DEP_2)
	v_fma_f64 v[17:18], v[11:12], v[19:20], v[17:18]
	v_fma_f64 v[19:20], v[9:10], v[19:20], v[5:6]
	s_waitcnt vmcnt(1)
	s_delay_alu instid0(VALU_DEP_2) | instskip(NEXT) | instid1(VALU_DEP_1)
	v_mul_f64 v[5:6], v[3:4], -v[17:18]
	v_fma_f64 v[21:22], v[19:20], v[1:2], v[5:6]
.LBB113_49:                             ;   Parent Loop BB113_43 Depth=1
                                        ; =>  This Inner Loop Header: Depth=2
	s_waitcnt vmcnt(0)
	s_delay_alu instid0(VALU_DEP_1)
	v_add_f64 v[5:6], v[7:8], v[21:22]
	global_atomic_cmpswap_b64 v[5:6], v[15:16], v[5:8], off glc
	s_waitcnt vmcnt(0)
	v_cmp_eq_u64_e32 vcc_lo, v[5:6], v[7:8]
	v_dual_mov_b32 v8, v6 :: v_dual_mov_b32 v7, v5
	s_or_b32 s28, vcc_lo, s28
	s_delay_alu instid0(SALU_CYCLE_1)
	s_and_not1_b32 exec_lo, exec_lo, s28
	s_cbranch_execnz .LBB113_49
; %bb.50:                               ;   in Loop: Header=BB113_43 Depth=1
	s_or_b32 exec_lo, exec_lo, s28
	global_load_b64 v[5:6], v[15:16], off offset:8
	v_mul_f64 v[3:4], v[3:4], v[19:20]
	s_mov_b32 s28, 0
	s_delay_alu instid0(VALU_DEP_1)
	v_fma_f64 v[1:2], v[17:18], v[1:2], v[3:4]
.LBB113_51:                             ;   Parent Loop BB113_43 Depth=1
                                        ; =>  This Inner Loop Header: Depth=2
	s_waitcnt vmcnt(0)
	s_delay_alu instid0(VALU_DEP_1)
	v_add_f64 v[3:4], v[5:6], v[1:2]
	global_atomic_cmpswap_b64 v[3:4], v[15:16], v[3:6], off offset:8 glc
	s_waitcnt vmcnt(0)
	v_cmp_eq_u64_e32 vcc_lo, v[3:4], v[5:6]
	v_dual_mov_b32 v6, v4 :: v_dual_mov_b32 v5, v3
	s_or_b32 s28, vcc_lo, s28
	s_delay_alu instid0(SALU_CYCLE_1)
	s_and_not1_b32 exec_lo, exec_lo, s28
	s_cbranch_execnz .LBB113_51
	s_branch .LBB113_42
.LBB113_52:
	s_or_b32 exec_lo, exec_lo, s3
	s_mov_b32 s2, 0
.LBB113_53:
	s_delay_alu instid0(SALU_CYCLE_1)
	s_and_b32 vcc_lo, exec_lo, s2
	s_cbranch_vccz .LBB113_216
; %bb.54:
	s_load_b32 s2, s[0:1], 0x7c
	s_mov_b32 s7, 0
	s_mov_b64 s[28:29], 0
	s_waitcnt lgkmcnt(0)
	s_and_b32 s6, s2, 0xffff
	s_delay_alu instid0(SALU_CYCLE_1) | instskip(NEXT) | instid1(VALU_DEP_1)
	v_cmp_lt_u64_e64 s2, s[6:7], s[22:23]
	s_and_b32 vcc_lo, exec_lo, s2
	s_cbranch_vccnz .LBB113_56
; %bb.55:
	v_cvt_f32_u32_e32 v1, s22
	s_sub_i32 s3, 0, s22
	s_delay_alu instid0(VALU_DEP_1) | instskip(SKIP_2) | instid1(VALU_DEP_1)
	v_rcp_iflag_f32_e32 v1, v1
	s_waitcnt_depctr 0xfff
	v_mul_f32_e32 v1, 0x4f7ffffe, v1
	v_cvt_u32_f32_e32 v1, v1
	s_delay_alu instid0(VALU_DEP_1) | instskip(NEXT) | instid1(VALU_DEP_1)
	v_readfirstlane_b32 s2, v1
	s_mul_i32 s3, s3, s2
	s_delay_alu instid0(SALU_CYCLE_1) | instskip(NEXT) | instid1(SALU_CYCLE_1)
	s_mul_hi_u32 s3, s2, s3
	s_add_i32 s2, s2, s3
	s_delay_alu instid0(SALU_CYCLE_1) | instskip(NEXT) | instid1(SALU_CYCLE_1)
	s_mul_hi_u32 s2, s6, s2
	s_mul_i32 s3, s2, s22
	s_add_i32 s4, s2, 1
	s_sub_i32 s3, s6, s3
	s_delay_alu instid0(SALU_CYCLE_1)
	s_sub_i32 s5, s3, s22
	s_cmp_ge_u32 s3, s22
	s_cselect_b32 s2, s4, s2
	s_cselect_b32 s3, s5, s3
	s_add_i32 s4, s2, 1
	s_cmp_ge_u32 s3, s22
	s_cselect_b32 s28, s4, s2
.LBB113_56:
	s_lshl_b64 s[2:3], s[16:17], 3
	v_sub_co_u32 v1, s7, v0, s24
	s_add_u32 s26, s8, s2
	s_addc_u32 s27, s9, s3
	s_load_b64 s[4:5], s[26:27], 0x0
	s_load_b128 s[0:3], s[0:1], 0x8
	v_sub_co_ci_u32_e64 v2, null, 0, 0, s7
	s_waitcnt lgkmcnt(0)
	v_add_co_u32 v14, vcc_lo, s4, v1
	s_delay_alu instid0(VALU_DEP_2) | instskip(SKIP_1) | instid1(VALU_DEP_3)
	v_add_co_ci_u32_e32 v15, vcc_lo, s5, v2, vcc_lo
	v_mov_b32_e32 v1, 0
	v_add_co_u32 v16, vcc_lo, 0x300, v14
	s_delay_alu instid0(VALU_DEP_3) | instskip(NEXT) | instid1(VALU_DEP_1)
	v_add_co_ci_u32_e32 v17, vcc_lo, 0, v15, vcc_lo
	v_cmp_le_i64_e32 vcc_lo, s[0:1], v[16:17]
	s_and_saveexec_b32 s0, vcc_lo
	s_delay_alu instid0(SALU_CYCLE_1)
	s_xor_b32 s7, exec_lo, s0
	s_cbranch_execnz .LBB113_59
; %bb.57:
	s_and_not1_saveexec_b32 s1, s7
	s_cbranch_execnz .LBB113_63
.LBB113_58:
	s_or_b32 exec_lo, exec_lo, s1
	s_delay_alu instid0(SALU_CYCLE_1)
	s_mov_b32 s1, exec_lo
	v_cmpx_gt_i64_e64 s[2:3], v[0:1]
	s_cbranch_execnz .LBB113_64
	s_branch .LBB113_66
.LBB113_59:
	s_lshl_b64 s[0:1], s[18:19], 3
	s_mov_b32 s29, exec_lo
	s_add_u32 s0, s8, s0
	s_addc_u32 s1, s9, s1
	s_load_b64 s[0:1], s[0:1], 0x0
	s_waitcnt lgkmcnt(0)
	s_sub_u32 s30, s0, s4
	s_subb_u32 s31, s1, s5
	s_delay_alu instid0(SALU_CYCLE_1)
	v_cmpx_gt_i64_e64 s[30:31], v[0:1]
	s_cbranch_execz .LBB113_62
; %bb.60:
	v_lshlrev_b64 v[2:3], 3, v[14:15]
	v_dual_mov_b32 v6, v26 :: v_dual_mov_b32 v5, v1
	v_mov_b32_e32 v4, v0
	s_mov_b32 s33, 0
	s_delay_alu instid0(VALU_DEP_3) | instskip(NEXT) | instid1(VALU_DEP_1)
	v_add_co_u32 v2, s0, v2, s12
	v_add_co_ci_u32_e64 v3, s0, s13, v3, s0
	s_delay_alu instid0(VALU_DEP_2) | instskip(NEXT) | instid1(VALU_DEP_1)
	v_add_co_u32 v2, s0, v2, 4
	v_add_co_ci_u32_e64 v3, s0, 0, v3, s0
	s_set_inst_prefetch_distance 0x1
	.p2align	6
.LBB113_61:                             ; =>This Inner Loop Header: Depth=1
	global_load_b64 v[7:8], v[2:3], off offset:-4
	v_add_co_u32 v4, s0, 0x100, v4
	s_delay_alu instid0(VALU_DEP_1) | instskip(SKIP_1) | instid1(VALU_DEP_1)
	v_add_co_ci_u32_e64 v5, s0, 0, v5, s0
	v_add_co_u32 v2, s0, 0x800, v2
	v_add_co_ci_u32_e64 v3, s0, 0, v3, s0
	s_delay_alu instid0(VALU_DEP_3) | instskip(NEXT) | instid1(VALU_DEP_1)
	v_cmp_le_i64_e64 s1, s[30:31], v[4:5]
	s_or_b32 s33, s1, s33
	s_waitcnt vmcnt(0)
	v_cndmask_b32_e64 v8, v8, -v8, s25
	s_delay_alu instid0(VALU_DEP_1) | instskip(SKIP_1) | instid1(VALU_DEP_2)
	v_cvt_f64_f32_e32 v[18:19], v8
	v_cvt_f64_f32_e32 v[7:8], v7
	v_mul_f64 v[20:21], -v[11:12], v[18:19]
	v_mul_f64 v[22:23], v[9:10], v[18:19]
	s_delay_alu instid0(VALU_DEP_2) | instskip(NEXT) | instid1(VALU_DEP_2)
	v_fma_f64 v[18:19], v[9:10], v[7:8], v[20:21]
	v_fma_f64 v[20:21], v[11:12], v[7:8], v[22:23]
	ds_store_b128 v6, v[18:21]
	v_add_nc_u32_e32 v6, 0x1000, v6
	s_and_not1_b32 exec_lo, exec_lo, s33
	s_cbranch_execnz .LBB113_61
.LBB113_62:
	s_set_inst_prefetch_distance 0x2
	s_or_b32 exec_lo, exec_lo, s29
                                        ; implicit-def: $vgpr11_vgpr12
                                        ; implicit-def: $vgpr9_vgpr10
	s_and_not1_saveexec_b32 s1, s7
	s_cbranch_execz .LBB113_58
.LBB113_63:
	v_lshlrev_b64 v[2:3], 3, v[14:15]
	s_delay_alu instid0(VALU_DEP_1) | instskip(NEXT) | instid1(VALU_DEP_1)
	v_add_co_u32 v2, s0, s12, v2
	v_add_co_ci_u32_e64 v3, s0, s13, v3, s0
	s_delay_alu instid0(VALU_DEP_2) | instskip(NEXT) | instid1(VALU_DEP_1)
	v_add_co_u32 v4, s0, 0x1000, v2
	v_add_co_ci_u32_e64 v5, s0, 0, v3, s0
	s_clause 0x3
	global_load_b64 v[6:7], v[2:3], off
	global_load_b64 v[2:3], v[2:3], off offset:2048
	global_load_b64 v[18:19], v[4:5], off
	global_load_b64 v[4:5], v[4:5], off offset:2048
	s_waitcnt vmcnt(3)
	v_cndmask_b32_e64 v7, v7, -v7, s25
	s_waitcnt vmcnt(2)
	v_cndmask_b32_e64 v3, v3, -v3, s25
	;; [unrolled: 2-line block ×4, first 2 shown]
	v_cvt_f64_f32_e32 v[27:28], v2
	v_cvt_f64_f32_e32 v[7:8], v7
	;; [unrolled: 1-line block ×8, first 2 shown]
	v_mul_f64 v[2:3], -v[11:12], v[7:8]
	v_mul_f64 v[7:8], v[9:10], v[7:8]
	v_mul_f64 v[33:34], -v[11:12], v[19:20]
	v_mul_f64 v[35:36], v[9:10], v[19:20]
	;; [unrolled: 2-line block ×4, first 2 shown]
	v_fma_f64 v[2:3], v[9:10], v[5:6], v[2:3]
	v_fma_f64 v[4:5], v[11:12], v[5:6], v[7:8]
	;; [unrolled: 1-line block ×8, first 2 shown]
	ds_store_b128 v26, v[2:5]
	ds_store_b128 v26, v[18:21] offset:4096
	ds_store_b128 v26, v[22:25] offset:8192
	;; [unrolled: 1-line block ×3, first 2 shown]
	s_or_b32 exec_lo, exec_lo, s1
	s_delay_alu instid0(SALU_CYCLE_1)
	s_mov_b32 s1, exec_lo
	v_cmpx_gt_i64_e64 s[2:3], v[0:1]
	s_cbranch_execz .LBB113_66
.LBB113_64:
	s_mov_b32 s12, 0
	v_lshl_add_u32 v8, v0, 4, 0x4000
	s_mov_b32 s13, s12
	s_mov_b32 s30, s12
	;; [unrolled: 1-line block ×3, first 2 shown]
	v_dual_mov_b32 v2, s12 :: v_dual_mov_b32 v3, s13
	v_dual_mov_b32 v4, s30 :: v_dual_mov_b32 v5, s31
	;; [unrolled: 1-line block ×3, first 2 shown]
.LBB113_65:                             ; =>This Inner Loop Header: Depth=1
	s_delay_alu instid0(VALU_DEP_1) | instskip(NEXT) | instid1(VALU_DEP_1)
	v_add_co_u32 v6, s0, 0x100, v6
	v_add_co_ci_u32_e64 v7, s0, 0, v7, s0
	ds_store_2addr_b64 v8, v[2:3], v[4:5] offset1:1
	v_add_nc_u32_e32 v8, 0x1000, v8
	v_cmp_le_i64_e64 s0, s[2:3], v[6:7]
	s_delay_alu instid0(VALU_DEP_1) | instskip(NEXT) | instid1(SALU_CYCLE_1)
	s_or_b32 s12, s0, s12
	s_and_not1_b32 exec_lo, exec_lo, s12
	s_cbranch_execnz .LBB113_65
.LBB113_66:
	s_or_b32 exec_lo, exec_lo, s1
	v_cmp_ge_i64_e64 s0, s[18:19], s[2:3]
	s_sub_u32 s1, s18, s2
	s_subb_u32 s7, s19, s3
	s_waitcnt lgkmcnt(0)
	s_barrier
	buffer_gl0_inv
	s_and_b32 s0, s0, exec_lo
	s_cselect_b32 s13, s7, 0
	s_cselect_b32 s12, s1, 0
	s_and_saveexec_b32 s0, vcc_lo
	s_delay_alu instid0(SALU_CYCLE_1)
	s_xor_b32 s7, exec_lo, s0
	s_cbranch_execz .LBB113_91
; %bb.67:
	s_lshl_b64 s[0:1], s[18:19], 3
	s_mov_b32 s25, exec_lo
	s_add_u32 s0, s8, s0
	s_addc_u32 s1, s9, s1
	s_load_b64 s[0:1], s[0:1], 0x0
	s_waitcnt lgkmcnt(0)
	s_sub_u32 s30, s0, s4
	s_subb_u32 s31, s1, s5
	s_delay_alu instid0(SALU_CYCLE_1)
	v_cmpx_gt_i64_e64 s[30:31], v[0:1]
	s_cbranch_execz .LBB113_90
; %bb.68:
	s_add_u32 s34, s18, -1
	s_addc_u32 s35, s19, -1
	s_add_u32 s36, s18, -2
	v_cmp_gt_i64_e64 s29, s[34:35], s[16:17]
	s_addc_u32 s37, s19, -1
	s_mov_b64 s[38:39], 0
	s_cmp_lg_u64 s[36:37], s[16:17]
	s_cselect_b32 s33, -1, 0
	s_delay_alu instid0(VALU_DEP_1) | instid1(SALU_CYCLE_1)
	s_and_b32 s29, s29, s33
	s_sub_u32 s36, s0, s24
	s_subb_u32 s37, s1, 0
	s_mov_b32 s1, 0
	s_branch .LBB113_71
.LBB113_69:                             ;   in Loop: Header=BB113_71 Depth=1
	s_or_b32 exec_lo, exec_lo, s0
.LBB113_70:                             ;   in Loop: Header=BB113_71 Depth=1
	s_delay_alu instid0(SALU_CYCLE_1) | instskip(SKIP_3) | instid1(VALU_DEP_1)
	s_or_b32 exec_lo, exec_lo, s33
	v_lshlrev_b64 v[6:7], 4, v[16:17]
	s_add_u32 s38, s38, 0x100
	s_addc_u32 s39, s39, 0
	v_add_co_u32 v6, vcc_lo, s14, v6
	s_delay_alu instid0(VALU_DEP_2) | instskip(SKIP_4) | instid1(VALU_DEP_2)
	v_add_co_ci_u32_e32 v7, vcc_lo, s15, v7, vcc_lo
	global_load_b128 v[6:9], v[6:7], off
	s_waitcnt vmcnt(0)
	v_mul_f64 v[10:11], v[8:9], v[18:19]
	v_mul_f64 v[8:9], v[8:9], v[2:3]
	v_fma_f64 v[2:3], v[2:3], v[6:7], v[10:11]
	s_delay_alu instid0(VALU_DEP_2) | instskip(SKIP_1) | instid1(VALU_DEP_1)
	v_fma_f64 v[4:5], v[4:5], v[6:7], v[8:9]
	v_add_co_u32 v6, s0, s38, v0
	v_add_co_ci_u32_e64 v7, null, s39, 0, s0
	s_delay_alu instid0(VALU_DEP_1)
	v_cmp_le_i64_e32 vcc_lo, s[30:31], v[6:7]
	v_lshlrev_b32_e32 v6, 4, v24
	s_or_b32 s1, vcc_lo, s1
	ds_store_b128 v6, v[2:5]
	s_and_not1_b32 exec_lo, exec_lo, s1
	s_cbranch_execz .LBB113_90
.LBB113_71:                             ; =>This Loop Header: Depth=1
                                        ;     Child Loop BB113_73 Depth 2
                                        ;     Child Loop BB113_80 Depth 2
	;; [unrolled: 1-line block ×5, first 2 shown]
	v_add_co_u32 v2, vcc_lo, s38, v14
	v_add_co_ci_u32_e32 v3, vcc_lo, s39, v15, vcc_lo
	v_dual_mov_b32 v4, s16 :: v_dual_mov_b32 v5, s17
	v_dual_mov_b32 v6, s34 :: v_dual_mov_b32 v7, s35
	s_and_not1_b32 vcc_lo, exec_lo, s29
	s_cbranch_vccnz .LBB113_75
; %bb.72:                               ;   in Loop: Header=BB113_71 Depth=1
	v_dual_mov_b32 v4, s16 :: v_dual_mov_b32 v5, s17
	v_dual_mov_b32 v6, s34 :: v_dual_mov_b32 v7, s35
	s_mov_b32 s33, 0
	s_set_inst_prefetch_distance 0x1
	.p2align	6
.LBB113_73:                             ;   Parent Loop BB113_71 Depth=1
                                        ; =>  This Inner Loop Header: Depth=2
	s_delay_alu instid0(VALU_DEP_1) | instskip(NEXT) | instid1(VALU_DEP_2)
	v_add_co_u32 v8, vcc_lo, v6, v4
	v_add_co_ci_u32_e32 v9, vcc_lo, v7, v5, vcc_lo
	s_delay_alu instid0(VALU_DEP_1) | instskip(NEXT) | instid1(VALU_DEP_1)
	v_lshrrev_b32_e32 v10, 31, v9
	v_add_co_u32 v8, vcc_lo, v8, v10
	v_add_co_ci_u32_e32 v9, vcc_lo, 0, v9, vcc_lo
	s_delay_alu instid0(VALU_DEP_1) | instskip(NEXT) | instid1(VALU_DEP_1)
	v_ashrrev_i64 v[8:9], 1, v[8:9]
	v_lshlrev_b64 v[10:11], 3, v[8:9]
	s_delay_alu instid0(VALU_DEP_1) | instskip(NEXT) | instid1(VALU_DEP_2)
	v_add_co_u32 v10, vcc_lo, s8, v10
	v_add_co_ci_u32_e32 v11, vcc_lo, s9, v11, vcc_lo
	global_load_b64 v[10:11], v[10:11], off
	s_waitcnt vmcnt(0)
	v_sub_co_u32 v10, vcc_lo, v10, s24
	v_subrev_co_ci_u32_e32 v11, vcc_lo, 0, v11, vcc_lo
	s_delay_alu instid0(VALU_DEP_1) | instskip(SKIP_2) | instid1(VALU_DEP_2)
	v_cmp_gt_i64_e32 vcc_lo, v[10:11], v[2:3]
	v_dual_cndmask_b32 v7, v7, v9 :: v_dual_cndmask_b32 v6, v6, v8
	v_dual_cndmask_b32 v5, v9, v5 :: v_dual_cndmask_b32 v4, v8, v4
	v_add_co_u32 v8, vcc_lo, v6, -1
	s_delay_alu instid0(VALU_DEP_3) | instskip(NEXT) | instid1(VALU_DEP_3)
	v_add_co_ci_u32_e32 v9, vcc_lo, -1, v7, vcc_lo
	v_cmp_ge_i64_e32 vcc_lo, v[4:5], v[6:7]
	s_delay_alu instid0(VALU_DEP_2) | instskip(NEXT) | instid1(VALU_DEP_1)
	v_cmp_eq_u64_e64 s0, v[4:5], v[8:9]
	s_or_b32 s0, vcc_lo, s0
	s_delay_alu instid0(SALU_CYCLE_1) | instskip(NEXT) | instid1(SALU_CYCLE_1)
	s_and_b32 s0, exec_lo, s0
	s_or_b32 s33, s0, s33
	s_delay_alu instid0(SALU_CYCLE_1)
	s_and_not1_b32 exec_lo, exec_lo, s33
	s_cbranch_execnz .LBB113_73
; %bb.74:                               ;   in Loop: Header=BB113_71 Depth=1
	s_set_inst_prefetch_distance 0x2
	s_or_b32 exec_lo, exec_lo, s33
.LBB113_75:                             ;   in Loop: Header=BB113_71 Depth=1
	s_delay_alu instid0(VALU_DEP_1) | instskip(SKIP_3) | instid1(VALU_DEP_4)
	v_lshlrev_b64 v[8:9], 3, v[6:7]
	v_lshlrev_b64 v[10:11], 2, v[2:3]
	v_add_co_u32 v24, null, s38, v0
	v_cmp_le_i64_e64 s0, s[36:37], v[2:3]
                                        ; implicit-def: $vgpr18_vgpr19
	v_add_co_u32 v8, vcc_lo, s8, v8
	v_add_co_ci_u32_e32 v9, vcc_lo, s9, v9, vcc_lo
	v_add_co_u32 v10, vcc_lo, s10, v10
	v_add_co_ci_u32_e32 v11, vcc_lo, s11, v11, vcc_lo
	global_load_b64 v[8:9], v[8:9], off
	global_load_b32 v10, v[10:11], off
	s_waitcnt vmcnt(1)
	v_sub_co_u32 v8, vcc_lo, v8, s24
	v_subrev_co_ci_u32_e32 v9, vcc_lo, 0, v9, vcc_lo
	s_waitcnt vmcnt(0)
	v_subrev_nc_u32_e32 v16, s24, v10
	v_lshlrev_b32_e32 v10, 4, v24
	s_delay_alu instid0(VALU_DEP_3) | instskip(NEXT) | instid1(VALU_DEP_3)
	v_cmp_gt_i64_e32 vcc_lo, v[8:9], v[2:3]
                                        ; implicit-def: $vgpr2_vgpr3
	v_ashrrev_i32_e32 v17, 31, v16
	v_dual_cndmask_b32 v7, v7, v5 :: v_dual_cndmask_b32 v6, v6, v4
	s_delay_alu instid0(VALU_DEP_1) | instskip(SKIP_1) | instid1(SALU_CYCLE_1)
	v_cmp_eq_u64_e32 vcc_lo, v[6:7], v[16:17]
	s_or_b32 s0, vcc_lo, s0
	s_and_saveexec_b32 s33, s0
	s_delay_alu instid0(SALU_CYCLE_1)
	s_xor_b32 s0, exec_lo, s33
	s_cbranch_execz .LBB113_77
; %bb.76:                               ;   in Loop: Header=BB113_71 Depth=1
	ds_load_b128 v[2:5], v10
                                        ; implicit-def: $vgpr6_vgpr7
                                        ; implicit-def: $vgpr10
	s_waitcnt lgkmcnt(0)
	v_xor_b32_e32 v19, 0x80000000, v5
	v_mov_b32_e32 v18, v4
.LBB113_77:                             ;   in Loop: Header=BB113_71 Depth=1
	s_and_not1_saveexec_b32 s33, s0
	s_cbranch_execz .LBB113_70
; %bb.78:                               ;   in Loop: Header=BB113_71 Depth=1
	v_cmp_gt_i64_e32 vcc_lo, s[12:13], v[16:17]
	v_cmp_le_i64_e64 s0, s[18:19], v[16:17]
	v_lshlrev_b64 v[6:7], 4, v[6:7]
                                        ; implicit-def: $vgpr2_vgpr3
                                        ; implicit-def: $vgpr18_vgpr19
	s_delay_alu instid0(VALU_DEP_2) | instskip(NEXT) | instid1(SALU_CYCLE_1)
	s_or_b32 s0, vcc_lo, s0
	s_and_saveexec_b32 s40, s0
	s_delay_alu instid0(SALU_CYCLE_1)
	s_xor_b32 s0, exec_lo, s40
	s_cbranch_execz .LBB113_84
; %bb.79:                               ;   in Loop: Header=BB113_71 Depth=1
	s_delay_alu instid0(VALU_DEP_1) | instskip(SKIP_4) | instid1(VALU_DEP_1)
	v_add_co_u32 v2, vcc_lo, s14, v6
	v_add_co_ci_u32_e32 v3, vcc_lo, s15, v7, vcc_lo
	s_mov_b32 s40, 0
	global_load_b128 v[6:9], v[2:3], off
	v_lshlrev_b64 v[2:3], 4, v[16:17]
	v_add_co_u32 v20, vcc_lo, s20, v2
	s_delay_alu instid0(VALU_DEP_2)
	v_add_co_ci_u32_e32 v21, vcc_lo, s21, v3, vcc_lo
	ds_load_b128 v[2:5], v10
	global_load_b64 v[12:13], v[20:21], off
	s_waitcnt lgkmcnt(0)
	v_xor_b32_e32 v19, 0x80000000, v5
	v_mov_b32_e32 v18, v4
	s_waitcnt vmcnt(1)
	v_mul_f64 v[10:11], v[8:9], -v[4:5]
	s_delay_alu instid0(VALU_DEP_1)
	v_fma_f64 v[22:23], v[2:3], v[6:7], v[10:11]
.LBB113_80:                             ;   Parent Loop BB113_71 Depth=1
                                        ; =>  This Inner Loop Header: Depth=2
	s_waitcnt vmcnt(0)
	s_delay_alu instid0(VALU_DEP_1)
	v_add_f64 v[10:11], v[12:13], v[22:23]
	global_atomic_cmpswap_b64 v[10:11], v[20:21], v[10:13], off glc
	s_waitcnt vmcnt(0)
	v_cmp_eq_u64_e32 vcc_lo, v[10:11], v[12:13]
	v_dual_mov_b32 v13, v11 :: v_dual_mov_b32 v12, v10
	s_or_b32 s40, vcc_lo, s40
	s_delay_alu instid0(SALU_CYCLE_1)
	s_and_not1_b32 exec_lo, exec_lo, s40
	s_cbranch_execnz .LBB113_80
; %bb.81:                               ;   in Loop: Header=BB113_71 Depth=1
	s_or_b32 exec_lo, exec_lo, s40
	global_load_b64 v[10:11], v[20:21], off offset:8
	v_mul_f64 v[8:9], v[8:9], v[2:3]
	s_mov_b32 s40, 0
	s_delay_alu instid0(VALU_DEP_1)
	v_fma_f64 v[6:7], v[4:5], v[6:7], v[8:9]
.LBB113_82:                             ;   Parent Loop BB113_71 Depth=1
                                        ; =>  This Inner Loop Header: Depth=2
	s_waitcnt vmcnt(0)
	s_delay_alu instid0(VALU_DEP_1)
	v_add_f64 v[8:9], v[10:11], v[6:7]
	global_atomic_cmpswap_b64 v[8:9], v[20:21], v[8:11], off offset:8 glc
	s_waitcnt vmcnt(0)
	v_cmp_eq_u64_e32 vcc_lo, v[8:9], v[10:11]
	v_dual_mov_b32 v11, v9 :: v_dual_mov_b32 v10, v8
	s_or_b32 s40, vcc_lo, s40
	s_delay_alu instid0(SALU_CYCLE_1)
	s_and_not1_b32 exec_lo, exec_lo, s40
	s_cbranch_execnz .LBB113_82
; %bb.83:                               ;   in Loop: Header=BB113_71 Depth=1
	s_or_b32 exec_lo, exec_lo, s40
                                        ; implicit-def: $vgpr6_vgpr7
                                        ; implicit-def: $vgpr10
.LBB113_84:                             ;   in Loop: Header=BB113_71 Depth=1
	s_and_not1_saveexec_b32 s0, s0
	s_cbranch_execz .LBB113_69
; %bb.85:                               ;   in Loop: Header=BB113_71 Depth=1
	v_add_co_u32 v2, vcc_lo, s14, v6
	v_add_co_ci_u32_e32 v3, vcc_lo, s15, v7, vcc_lo
	v_subrev_nc_u32_e32 v12, s12, v16
	s_mov_b32 s40, 0
	global_load_b128 v[6:9], v[2:3], off
	ds_load_b128 v[2:5], v10
	v_lshl_add_u32 v20, v12, 4, 0x4000
	ds_load_b64 v[12:13], v20
	s_waitcnt lgkmcnt(1)
	v_xor_b32_e32 v19, 0x80000000, v5
	v_mov_b32_e32 v18, v4
	s_waitcnt vmcnt(0)
	v_mul_f64 v[10:11], v[8:9], -v[4:5]
	s_delay_alu instid0(VALU_DEP_1)
	v_fma_f64 v[10:11], v[2:3], v[6:7], v[10:11]
.LBB113_86:                             ;   Parent Loop BB113_71 Depth=1
                                        ; =>  This Inner Loop Header: Depth=2
	s_waitcnt lgkmcnt(0)
	s_delay_alu instid0(VALU_DEP_1)
	v_add_f64 v[21:22], v[12:13], v[10:11]
	ds_cmpstore_rtn_b64 v[21:22], v20, v[21:22], v[12:13]
	s_waitcnt lgkmcnt(0)
	v_cmp_eq_u64_e32 vcc_lo, v[21:22], v[12:13]
	v_dual_mov_b32 v12, v21 :: v_dual_mov_b32 v13, v22
	s_or_b32 s40, vcc_lo, s40
	s_delay_alu instid0(SALU_CYCLE_1)
	s_and_not1_b32 exec_lo, exec_lo, s40
	s_cbranch_execnz .LBB113_86
; %bb.87:                               ;   in Loop: Header=BB113_71 Depth=1
	s_or_b32 exec_lo, exec_lo, s40
	v_mul_f64 v[8:9], v[8:9], v[2:3]
	s_mov_b32 s40, 0
	s_delay_alu instid0(VALU_DEP_1)
	v_fma_f64 v[6:7], v[4:5], v[6:7], v[8:9]
	ds_load_b64 v[8:9], v20 offset:8
.LBB113_88:                             ;   Parent Loop BB113_71 Depth=1
                                        ; =>  This Inner Loop Header: Depth=2
	s_waitcnt lgkmcnt(0)
	v_add_f64 v[10:11], v[8:9], v[6:7]
	ds_cmpstore_rtn_b64 v[10:11], v20, v[10:11], v[8:9] offset:8
	s_waitcnt lgkmcnt(0)
	v_cmp_eq_u64_e32 vcc_lo, v[10:11], v[8:9]
	v_dual_mov_b32 v8, v10 :: v_dual_mov_b32 v9, v11
	s_or_b32 s40, vcc_lo, s40
	s_delay_alu instid0(SALU_CYCLE_1)
	s_and_not1_b32 exec_lo, exec_lo, s40
	s_cbranch_execnz .LBB113_88
; %bb.89:                               ;   in Loop: Header=BB113_71 Depth=1
	s_or_b32 exec_lo, exec_lo, s40
	s_branch .LBB113_69
.LBB113_90:
	s_or_b32 exec_lo, exec_lo, s25
                                        ; implicit-def: $vgpr16_vgpr17
                                        ; implicit-def: $vgpr14
.LBB113_91:
	s_and_not1_saveexec_b32 s1, s7
	s_cbranch_execz .LBB113_165
; %bb.92:
	s_add_u32 s30, s18, -1
	s_addc_u32 s31, s19, -1
	s_add_u32 s34, s18, -2
	v_cmp_le_i64_e64 s0, s[30:31], s[16:17]
	s_addc_u32 s35, s19, -1
	v_dual_mov_b32 v2, s16 :: v_dual_mov_b32 v3, s17
	s_cmp_eq_u64 s[34:35], s[16:17]
	v_dual_mov_b32 v4, s30 :: v_dual_mov_b32 v5, s31
	s_cselect_b32 s7, -1, 0
	s_delay_alu instid0(SALU_CYCLE_1) | instskip(NEXT) | instid1(SALU_CYCLE_1)
	s_or_b32 s7, s0, s7
	s_and_b32 vcc_lo, exec_lo, s7
	s_cbranch_vccnz .LBB113_96
; %bb.93:
	v_dual_mov_b32 v2, s16 :: v_dual_mov_b32 v3, s17
	v_dual_mov_b32 v4, s30 :: v_dual_mov_b32 v5, s31
	s_mov_b32 s25, 0
	s_set_inst_prefetch_distance 0x1
	.p2align	6
.LBB113_94:                             ; =>This Inner Loop Header: Depth=1
	s_delay_alu instid0(VALU_DEP_1) | instskip(NEXT) | instid1(VALU_DEP_2)
	v_add_co_u32 v6, vcc_lo, v4, v2
	v_add_co_ci_u32_e32 v7, vcc_lo, v5, v3, vcc_lo
	s_delay_alu instid0(VALU_DEP_1) | instskip(NEXT) | instid1(VALU_DEP_1)
	v_lshrrev_b32_e32 v8, 31, v7
	v_add_co_u32 v6, vcc_lo, v6, v8
	v_add_co_ci_u32_e32 v7, vcc_lo, 0, v7, vcc_lo
	s_delay_alu instid0(VALU_DEP_1) | instskip(NEXT) | instid1(VALU_DEP_1)
	v_ashrrev_i64 v[6:7], 1, v[6:7]
	v_lshlrev_b64 v[8:9], 3, v[6:7]
	s_delay_alu instid0(VALU_DEP_1) | instskip(NEXT) | instid1(VALU_DEP_2)
	v_add_co_u32 v8, vcc_lo, s8, v8
	v_add_co_ci_u32_e32 v9, vcc_lo, s9, v9, vcc_lo
	global_load_b64 v[8:9], v[8:9], off
	s_waitcnt vmcnt(0)
	v_sub_co_u32 v8, vcc_lo, v8, s24
	v_subrev_co_ci_u32_e32 v9, vcc_lo, 0, v9, vcc_lo
	s_delay_alu instid0(VALU_DEP_1) | instskip(SKIP_2) | instid1(VALU_DEP_2)
	v_cmp_gt_i64_e32 vcc_lo, v[8:9], v[14:15]
	v_dual_cndmask_b32 v5, v5, v7 :: v_dual_cndmask_b32 v4, v4, v6
	v_dual_cndmask_b32 v3, v7, v3 :: v_dual_cndmask_b32 v2, v6, v2
	v_add_co_u32 v6, vcc_lo, v4, -1
	s_delay_alu instid0(VALU_DEP_3) | instskip(NEXT) | instid1(VALU_DEP_3)
	v_add_co_ci_u32_e32 v7, vcc_lo, -1, v5, vcc_lo
	v_cmp_ge_i64_e32 vcc_lo, v[2:3], v[4:5]
	s_delay_alu instid0(VALU_DEP_2) | instskip(NEXT) | instid1(VALU_DEP_1)
	v_cmp_eq_u64_e64 s0, v[2:3], v[6:7]
	s_or_b32 s0, vcc_lo, s0
	s_delay_alu instid0(SALU_CYCLE_1) | instskip(NEXT) | instid1(SALU_CYCLE_1)
	s_and_b32 s0, exec_lo, s0
	s_or_b32 s25, s0, s25
	s_delay_alu instid0(SALU_CYCLE_1)
	s_and_not1_b32 exec_lo, exec_lo, s25
	s_cbranch_execnz .LBB113_94
; %bb.95:
	s_set_inst_prefetch_distance 0x2
	s_or_b32 exec_lo, exec_lo, s25
.LBB113_96:
	v_lshlrev_b64 v[6:7], 3, v[4:5]
	v_lshlrev_b64 v[8:9], 2, v[14:15]
	s_xor_b32 s7, s7, -1
	s_mov_b32 s25, exec_lo
	s_delay_alu instid0(VALU_DEP_2) | instskip(NEXT) | instid1(VALU_DEP_3)
	v_add_co_u32 v6, vcc_lo, s8, v6
	v_add_co_ci_u32_e32 v7, vcc_lo, s9, v7, vcc_lo
	s_delay_alu instid0(VALU_DEP_3)
	v_add_co_u32 v18, vcc_lo, s10, v8
	v_add_co_ci_u32_e32 v19, vcc_lo, s11, v9, vcc_lo
	global_load_b64 v[6:7], v[6:7], off
	s_lshl_b64 s[10:11], s[18:19], 3
	global_load_b32 v8, v[18:19], off
	s_add_u32 s10, s8, s10
	s_addc_u32 s11, s9, s11
	s_waitcnt vmcnt(1)
	v_sub_co_u32 v6, vcc_lo, v6, s24
	v_subrev_co_ci_u32_e32 v7, vcc_lo, 0, v7, vcc_lo
	s_waitcnt vmcnt(0)
	v_subrev_nc_u32_e32 v20, s24, v8
	s_delay_alu instid0(VALU_DEP_2) | instskip(NEXT) | instid1(VALU_DEP_2)
	v_cmp_gt_i64_e32 vcc_lo, v[6:7], v[14:15]
	v_ashrrev_i32_e32 v21, 31, v20
	v_dual_cndmask_b32 v3, v5, v3 :: v_dual_cndmask_b32 v2, v4, v2
	s_delay_alu instid0(VALU_DEP_1)
	v_cmpx_ne_u64_e64 v[2:3], v[20:21]
	s_cbranch_execz .LBB113_110
; %bb.97:
	s_load_b64 s[34:35], s[10:11], 0x0
	s_waitcnt lgkmcnt(0)
	s_sub_u32 s34, s34, s24
	s_subb_u32 s35, s35, 0
	s_delay_alu instid0(SALU_CYCLE_1)
	v_cmp_gt_i64_e32 vcc_lo, s[34:35], v[14:15]
	s_and_b32 exec_lo, exec_lo, vcc_lo
	s_cbranch_execz .LBB113_110
; %bb.98:
	v_cmp_gt_i64_e32 vcc_lo, s[12:13], v[20:21]
	v_cmp_le_i64_e64 s0, s[18:19], v[20:21]
	v_lshlrev_b64 v[2:3], 4, v[2:3]
	s_delay_alu instid0(VALU_DEP_2) | instskip(NEXT) | instid1(SALU_CYCLE_1)
	s_or_b32 s0, vcc_lo, s0
	s_and_saveexec_b32 s29, s0
	s_delay_alu instid0(SALU_CYCLE_1)
	s_xor_b32 s0, exec_lo, s29
	s_cbranch_execz .LBB113_104
; %bb.99:
	s_delay_alu instid0(VALU_DEP_1)
	v_add_co_u32 v2, vcc_lo, s14, v2
	v_add_co_ci_u32_e32 v3, vcc_lo, s15, v3, vcc_lo
	v_lshlrev_b64 v[6:7], 4, v[20:21]
	s_mov_b32 s29, 0
	global_load_b128 v[2:5], v[2:3], off
	v_add_co_u32 v22, vcc_lo, s20, v6
	v_add_co_ci_u32_e32 v23, vcc_lo, s21, v7, vcc_lo
	ds_load_b128 v[6:9], v26
	global_load_b64 v[12:13], v[22:23], off
	s_waitcnt vmcnt(1) lgkmcnt(0)
	v_mul_f64 v[10:11], v[4:5], -v[8:9]
	s_delay_alu instid0(VALU_DEP_1)
	v_fma_f64 v[24:25], v[6:7], v[2:3], v[10:11]
.LBB113_100:                            ; =>This Inner Loop Header: Depth=1
	s_waitcnt vmcnt(0)
	s_delay_alu instid0(VALU_DEP_1)
	v_add_f64 v[10:11], v[12:13], v[24:25]
	global_atomic_cmpswap_b64 v[10:11], v[22:23], v[10:13], off glc
	s_waitcnt vmcnt(0)
	v_cmp_eq_u64_e32 vcc_lo, v[10:11], v[12:13]
	v_dual_mov_b32 v13, v11 :: v_dual_mov_b32 v12, v10
	s_or_b32 s29, vcc_lo, s29
	s_delay_alu instid0(SALU_CYCLE_1)
	s_and_not1_b32 exec_lo, exec_lo, s29
	s_cbranch_execnz .LBB113_100
; %bb.101:
	s_or_b32 exec_lo, exec_lo, s29
	global_load_b64 v[10:11], v[22:23], off offset:8
	v_mul_f64 v[4:5], v[4:5], v[6:7]
	s_mov_b32 s29, 0
	s_delay_alu instid0(VALU_DEP_1)
	v_fma_f64 v[2:3], v[8:9], v[2:3], v[4:5]
.LBB113_102:                            ; =>This Inner Loop Header: Depth=1
	s_waitcnt vmcnt(0)
	s_delay_alu instid0(VALU_DEP_1)
	v_add_f64 v[8:9], v[10:11], v[2:3]
	global_atomic_cmpswap_b64 v[4:5], v[22:23], v[8:11], off offset:8 glc
	s_waitcnt vmcnt(0)
	v_cmp_eq_u64_e32 vcc_lo, v[4:5], v[10:11]
	v_dual_mov_b32 v11, v5 :: v_dual_mov_b32 v10, v4
	s_or_b32 s29, vcc_lo, s29
	s_delay_alu instid0(SALU_CYCLE_1)
	s_and_not1_b32 exec_lo, exec_lo, s29
	s_cbranch_execnz .LBB113_102
; %bb.103:
	s_or_b32 exec_lo, exec_lo, s29
                                        ; implicit-def: $vgpr2_vgpr3
.LBB113_104:
	s_and_not1_saveexec_b32 s0, s0
	s_cbranch_execz .LBB113_110
; %bb.105:
	v_add_co_u32 v2, vcc_lo, s14, v2
	v_add_co_ci_u32_e32 v3, vcc_lo, s15, v3, vcc_lo
	ds_load_b128 v[6:9], v26
	v_subrev_nc_u32_e32 v12, s12, v20
	s_mov_b32 s0, 0
	global_load_b128 v[2:5], v[2:3], off
	v_lshl_add_u32 v22, v12, 4, 0x4000
	ds_load_b64 v[12:13], v22
	s_waitcnt vmcnt(0) lgkmcnt(1)
	v_mul_f64 v[10:11], v[4:5], -v[8:9]
	s_delay_alu instid0(VALU_DEP_1)
	v_fma_f64 v[10:11], v[6:7], v[2:3], v[10:11]
.LBB113_106:                            ; =>This Inner Loop Header: Depth=1
	s_waitcnt lgkmcnt(0)
	s_delay_alu instid0(VALU_DEP_1)
	v_add_f64 v[23:24], v[12:13], v[10:11]
	ds_cmpstore_rtn_b64 v[23:24], v22, v[23:24], v[12:13]
	s_waitcnt lgkmcnt(0)
	v_cmp_eq_u64_e32 vcc_lo, v[23:24], v[12:13]
	v_dual_mov_b32 v12, v23 :: v_dual_mov_b32 v13, v24
	s_or_b32 s0, vcc_lo, s0
	s_delay_alu instid0(SALU_CYCLE_1)
	s_and_not1_b32 exec_lo, exec_lo, s0
	s_cbranch_execnz .LBB113_106
; %bb.107:
	s_or_b32 exec_lo, exec_lo, s0
	v_mul_f64 v[4:5], v[4:5], v[6:7]
	s_mov_b32 s0, 0
	s_delay_alu instid0(VALU_DEP_1)
	v_fma_f64 v[2:3], v[8:9], v[2:3], v[4:5]
	ds_load_b64 v[4:5], v22 offset:8
.LBB113_108:                            ; =>This Inner Loop Header: Depth=1
	s_waitcnt lgkmcnt(0)
	v_add_f64 v[6:7], v[4:5], v[2:3]
	ds_cmpstore_rtn_b64 v[6:7], v22, v[6:7], v[4:5] offset:8
	s_waitcnt lgkmcnt(0)
	v_cmp_eq_u64_e32 vcc_lo, v[6:7], v[4:5]
	v_dual_mov_b32 v4, v6 :: v_dual_mov_b32 v5, v7
	s_or_b32 s0, vcc_lo, s0
	s_delay_alu instid0(SALU_CYCLE_1)
	s_and_not1_b32 exec_lo, exec_lo, s0
	s_cbranch_execnz .LBB113_108
; %bb.109:
	s_or_b32 exec_lo, exec_lo, s0
.LBB113_110:
	s_delay_alu instid0(SALU_CYCLE_1)
	s_or_b32 exec_lo, exec_lo, s25
	v_lshlrev_b64 v[2:3], 4, v[20:21]
	ds_load_b128 v[6:9], v26
	v_cndmask_b32_e64 v27, 0, 1, s7
	v_add_co_u32 v2, vcc_lo, s14, v2
	v_add_co_ci_u32_e32 v3, vcc_lo, s15, v3, vcc_lo
	global_load_b128 v[2:5], v[2:3], off
	s_waitcnt vmcnt(0) lgkmcnt(0)
	v_mul_f64 v[10:11], v[4:5], -v[8:9]
	v_mul_f64 v[4:5], v[4:5], v[6:7]
	s_delay_alu instid0(VALU_DEP_2) | instskip(NEXT) | instid1(VALU_DEP_2)
	v_fma_f64 v[10:11], v[6:7], v[2:3], v[10:11]
	v_fma_f64 v[12:13], v[8:9], v[2:3], v[4:5]
	v_add_co_u32 v2, vcc_lo, 0x100, v14
	v_add_co_ci_u32_e32 v3, vcc_lo, 0, v15, vcc_lo
	v_dual_mov_b32 v4, s16 :: v_dual_mov_b32 v5, s17
	v_dual_mov_b32 v6, s30 :: v_dual_mov_b32 v7, s31
	s_and_not1_b32 vcc_lo, exec_lo, s7
	ds_store_b128 v26, v[10:13]
	s_cbranch_vccnz .LBB113_114
; %bb.111:
	v_dual_mov_b32 v4, s16 :: v_dual_mov_b32 v5, s17
	v_dual_mov_b32 v6, s30 :: v_dual_mov_b32 v7, s31
	s_mov_b32 s7, 0
	s_set_inst_prefetch_distance 0x1
	.p2align	6
.LBB113_112:                            ; =>This Inner Loop Header: Depth=1
	s_delay_alu instid0(VALU_DEP_1) | instskip(NEXT) | instid1(VALU_DEP_2)
	v_add_co_u32 v8, vcc_lo, v6, v4
	v_add_co_ci_u32_e32 v9, vcc_lo, v7, v5, vcc_lo
	s_delay_alu instid0(VALU_DEP_1) | instskip(NEXT) | instid1(VALU_DEP_1)
	v_lshrrev_b32_e32 v10, 31, v9
	v_add_co_u32 v8, vcc_lo, v8, v10
	v_add_co_ci_u32_e32 v9, vcc_lo, 0, v9, vcc_lo
	s_delay_alu instid0(VALU_DEP_1) | instskip(NEXT) | instid1(VALU_DEP_1)
	v_ashrrev_i64 v[8:9], 1, v[8:9]
	v_lshlrev_b64 v[10:11], 3, v[8:9]
	s_delay_alu instid0(VALU_DEP_1) | instskip(NEXT) | instid1(VALU_DEP_2)
	v_add_co_u32 v10, vcc_lo, s8, v10
	v_add_co_ci_u32_e32 v11, vcc_lo, s9, v11, vcc_lo
	global_load_b64 v[10:11], v[10:11], off
	s_waitcnt vmcnt(0)
	v_sub_co_u32 v10, vcc_lo, v10, s24
	v_subrev_co_ci_u32_e32 v11, vcc_lo, 0, v11, vcc_lo
	s_delay_alu instid0(VALU_DEP_1) | instskip(SKIP_2) | instid1(VALU_DEP_2)
	v_cmp_gt_i64_e32 vcc_lo, v[10:11], v[2:3]
	v_dual_cndmask_b32 v7, v7, v9 :: v_dual_cndmask_b32 v6, v6, v8
	v_dual_cndmask_b32 v5, v9, v5 :: v_dual_cndmask_b32 v4, v8, v4
	v_add_co_u32 v8, vcc_lo, v6, -1
	s_delay_alu instid0(VALU_DEP_3) | instskip(NEXT) | instid1(VALU_DEP_3)
	v_add_co_ci_u32_e32 v9, vcc_lo, -1, v7, vcc_lo
	v_cmp_ge_i64_e32 vcc_lo, v[4:5], v[6:7]
	s_delay_alu instid0(VALU_DEP_2) | instskip(NEXT) | instid1(VALU_DEP_1)
	v_cmp_eq_u64_e64 s0, v[4:5], v[8:9]
	s_or_b32 s0, vcc_lo, s0
	s_delay_alu instid0(SALU_CYCLE_1) | instskip(NEXT) | instid1(SALU_CYCLE_1)
	s_and_b32 s0, exec_lo, s0
	s_or_b32 s7, s0, s7
	s_delay_alu instid0(SALU_CYCLE_1)
	s_and_not1_b32 exec_lo, exec_lo, s7
	s_cbranch_execnz .LBB113_112
; %bb.113:
	s_set_inst_prefetch_distance 0x2
	s_or_b32 exec_lo, exec_lo, s7
.LBB113_114:
	v_lshlrev_b64 v[8:9], 3, v[6:7]
	s_mov_b32 s7, exec_lo
	s_delay_alu instid0(VALU_DEP_1) | instskip(NEXT) | instid1(VALU_DEP_2)
	v_add_co_u32 v8, vcc_lo, s8, v8
	v_add_co_ci_u32_e32 v9, vcc_lo, s9, v9, vcc_lo
	global_load_b64 v[8:9], v[8:9], off
	global_load_b32 v10, v[18:19], off offset:1024
	s_waitcnt vmcnt(1)
	v_sub_co_u32 v8, vcc_lo, v8, s24
	v_subrev_co_ci_u32_e32 v9, vcc_lo, 0, v9, vcc_lo
	s_waitcnt vmcnt(0)
	v_subrev_nc_u32_e32 v20, s24, v10
	s_delay_alu instid0(VALU_DEP_2) | instskip(NEXT) | instid1(VALU_DEP_2)
	v_cmp_gt_i64_e32 vcc_lo, v[8:9], v[2:3]
	v_ashrrev_i32_e32 v21, 31, v20
	v_dual_cndmask_b32 v5, v7, v5 :: v_dual_cndmask_b32 v4, v6, v4
	s_delay_alu instid0(VALU_DEP_1)
	v_cmpx_ne_u64_e64 v[4:5], v[20:21]
	s_cbranch_execz .LBB113_128
; %bb.115:
	s_load_b64 s[34:35], s[10:11], 0x0
	s_waitcnt lgkmcnt(0)
	s_sub_u32 s34, s34, s24
	s_subb_u32 s35, s35, 0
	s_delay_alu instid0(SALU_CYCLE_1)
	v_cmp_gt_i64_e32 vcc_lo, s[34:35], v[2:3]
	s_and_b32 exec_lo, exec_lo, vcc_lo
	s_cbranch_execz .LBB113_128
; %bb.116:
	v_cmp_gt_i64_e32 vcc_lo, s[12:13], v[20:21]
	v_cmp_le_i64_e64 s0, s[18:19], v[20:21]
	v_lshlrev_b64 v[2:3], 4, v[4:5]
	s_delay_alu instid0(VALU_DEP_2) | instskip(NEXT) | instid1(SALU_CYCLE_1)
	s_or_b32 s0, vcc_lo, s0
	s_and_saveexec_b32 s25, s0
	s_delay_alu instid0(SALU_CYCLE_1)
	s_xor_b32 s0, exec_lo, s25
	s_cbranch_execz .LBB113_122
; %bb.117:
	s_delay_alu instid0(VALU_DEP_1)
	v_add_co_u32 v2, vcc_lo, s14, v2
	v_add_co_ci_u32_e32 v3, vcc_lo, s15, v3, vcc_lo
	v_lshlrev_b64 v[6:7], 4, v[20:21]
	s_mov_b32 s25, 0
	global_load_b128 v[2:5], v[2:3], off
	v_add_co_u32 v22, vcc_lo, s20, v6
	v_add_co_ci_u32_e32 v23, vcc_lo, s21, v7, vcc_lo
	ds_load_b128 v[6:9], v26 offset:4096
	global_load_b64 v[12:13], v[22:23], off
	s_waitcnt vmcnt(1) lgkmcnt(0)
	v_mul_f64 v[10:11], v[4:5], -v[8:9]
	s_delay_alu instid0(VALU_DEP_1)
	v_fma_f64 v[24:25], v[6:7], v[2:3], v[10:11]
.LBB113_118:                            ; =>This Inner Loop Header: Depth=1
	s_waitcnt vmcnt(0)
	s_delay_alu instid0(VALU_DEP_1)
	v_add_f64 v[10:11], v[12:13], v[24:25]
	global_atomic_cmpswap_b64 v[10:11], v[22:23], v[10:13], off glc
	s_waitcnt vmcnt(0)
	v_cmp_eq_u64_e32 vcc_lo, v[10:11], v[12:13]
	v_dual_mov_b32 v13, v11 :: v_dual_mov_b32 v12, v10
	s_or_b32 s25, vcc_lo, s25
	s_delay_alu instid0(SALU_CYCLE_1)
	s_and_not1_b32 exec_lo, exec_lo, s25
	s_cbranch_execnz .LBB113_118
; %bb.119:
	s_or_b32 exec_lo, exec_lo, s25
	global_load_b64 v[10:11], v[22:23], off offset:8
	v_mul_f64 v[4:5], v[4:5], v[6:7]
	s_mov_b32 s25, 0
	s_delay_alu instid0(VALU_DEP_1)
	v_fma_f64 v[2:3], v[8:9], v[2:3], v[4:5]
.LBB113_120:                            ; =>This Inner Loop Header: Depth=1
	s_waitcnt vmcnt(0)
	s_delay_alu instid0(VALU_DEP_1)
	v_add_f64 v[8:9], v[10:11], v[2:3]
	global_atomic_cmpswap_b64 v[4:5], v[22:23], v[8:11], off offset:8 glc
	s_waitcnt vmcnt(0)
	v_cmp_eq_u64_e32 vcc_lo, v[4:5], v[10:11]
	v_dual_mov_b32 v11, v5 :: v_dual_mov_b32 v10, v4
	s_or_b32 s25, vcc_lo, s25
	s_delay_alu instid0(SALU_CYCLE_1)
	s_and_not1_b32 exec_lo, exec_lo, s25
	s_cbranch_execnz .LBB113_120
; %bb.121:
	s_or_b32 exec_lo, exec_lo, s25
                                        ; implicit-def: $vgpr2_vgpr3
.LBB113_122:
	s_and_not1_saveexec_b32 s0, s0
	s_cbranch_execz .LBB113_128
; %bb.123:
	v_add_co_u32 v2, vcc_lo, s14, v2
	v_add_co_ci_u32_e32 v3, vcc_lo, s15, v3, vcc_lo
	ds_load_b128 v[6:9], v26 offset:4096
	v_subrev_nc_u32_e32 v12, s12, v20
	s_mov_b32 s0, 0
	global_load_b128 v[2:5], v[2:3], off
	v_lshl_add_u32 v22, v12, 4, 0x4000
	ds_load_b64 v[12:13], v22
	s_waitcnt vmcnt(0) lgkmcnt(1)
	v_mul_f64 v[10:11], v[4:5], -v[8:9]
	s_delay_alu instid0(VALU_DEP_1)
	v_fma_f64 v[10:11], v[6:7], v[2:3], v[10:11]
.LBB113_124:                            ; =>This Inner Loop Header: Depth=1
	s_waitcnt lgkmcnt(0)
	s_delay_alu instid0(VALU_DEP_1)
	v_add_f64 v[23:24], v[12:13], v[10:11]
	ds_cmpstore_rtn_b64 v[23:24], v22, v[23:24], v[12:13]
	s_waitcnt lgkmcnt(0)
	v_cmp_eq_u64_e32 vcc_lo, v[23:24], v[12:13]
	v_dual_mov_b32 v12, v23 :: v_dual_mov_b32 v13, v24
	s_or_b32 s0, vcc_lo, s0
	s_delay_alu instid0(SALU_CYCLE_1)
	s_and_not1_b32 exec_lo, exec_lo, s0
	s_cbranch_execnz .LBB113_124
; %bb.125:
	s_or_b32 exec_lo, exec_lo, s0
	v_mul_f64 v[4:5], v[4:5], v[6:7]
	s_mov_b32 s0, 0
	s_delay_alu instid0(VALU_DEP_1)
	v_fma_f64 v[2:3], v[8:9], v[2:3], v[4:5]
	ds_load_b64 v[4:5], v22 offset:8
.LBB113_126:                            ; =>This Inner Loop Header: Depth=1
	s_waitcnt lgkmcnt(0)
	v_add_f64 v[6:7], v[4:5], v[2:3]
	ds_cmpstore_rtn_b64 v[6:7], v22, v[6:7], v[4:5] offset:8
	s_waitcnt lgkmcnt(0)
	v_cmp_eq_u64_e32 vcc_lo, v[6:7], v[4:5]
	v_dual_mov_b32 v4, v6 :: v_dual_mov_b32 v5, v7
	s_or_b32 s0, vcc_lo, s0
	s_delay_alu instid0(SALU_CYCLE_1)
	s_and_not1_b32 exec_lo, exec_lo, s0
	s_cbranch_execnz .LBB113_126
; %bb.127:
	s_or_b32 exec_lo, exec_lo, s0
.LBB113_128:
	s_delay_alu instid0(SALU_CYCLE_1)
	s_or_b32 exec_lo, exec_lo, s7
	v_lshlrev_b64 v[2:3], 4, v[20:21]
	ds_load_b128 v[6:9], v26 offset:4096
	v_add_co_u32 v2, vcc_lo, s14, v2
	v_add_co_ci_u32_e32 v3, vcc_lo, s15, v3, vcc_lo
	v_cmp_ne_u32_e32 vcc_lo, 1, v27
	global_load_b128 v[2:5], v[2:3], off
	s_and_b32 vcc_lo, exec_lo, vcc_lo
	s_waitcnt vmcnt(0) lgkmcnt(0)
	v_mul_f64 v[10:11], v[4:5], -v[8:9]
	v_mul_f64 v[4:5], v[4:5], v[6:7]
	s_delay_alu instid0(VALU_DEP_2) | instskip(NEXT) | instid1(VALU_DEP_2)
	v_fma_f64 v[10:11], v[6:7], v[2:3], v[10:11]
	v_fma_f64 v[12:13], v[8:9], v[2:3], v[4:5]
	v_add_co_u32 v2, s0, 0x200, v14
	s_delay_alu instid0(VALU_DEP_1)
	v_add_co_ci_u32_e64 v3, s0, 0, v15, s0
	v_dual_mov_b32 v4, s16 :: v_dual_mov_b32 v5, s17
	v_dual_mov_b32 v6, s30 :: v_dual_mov_b32 v7, s31
	ds_store_b128 v26, v[10:13] offset:4096
	s_cbranch_vccnz .LBB113_132
; %bb.129:
	v_dual_mov_b32 v4, s16 :: v_dual_mov_b32 v5, s17
	v_dual_mov_b32 v6, s30 :: v_dual_mov_b32 v7, s31
	s_mov_b32 s7, 0
	s_set_inst_prefetch_distance 0x1
	.p2align	6
.LBB113_130:                            ; =>This Inner Loop Header: Depth=1
	s_delay_alu instid0(VALU_DEP_1) | instskip(NEXT) | instid1(VALU_DEP_2)
	v_add_co_u32 v8, vcc_lo, v6, v4
	v_add_co_ci_u32_e32 v9, vcc_lo, v7, v5, vcc_lo
	s_delay_alu instid0(VALU_DEP_1) | instskip(NEXT) | instid1(VALU_DEP_1)
	v_lshrrev_b32_e32 v10, 31, v9
	v_add_co_u32 v8, vcc_lo, v8, v10
	v_add_co_ci_u32_e32 v9, vcc_lo, 0, v9, vcc_lo
	s_delay_alu instid0(VALU_DEP_1) | instskip(NEXT) | instid1(VALU_DEP_1)
	v_ashrrev_i64 v[8:9], 1, v[8:9]
	v_lshlrev_b64 v[10:11], 3, v[8:9]
	s_delay_alu instid0(VALU_DEP_1) | instskip(NEXT) | instid1(VALU_DEP_2)
	v_add_co_u32 v10, vcc_lo, s8, v10
	v_add_co_ci_u32_e32 v11, vcc_lo, s9, v11, vcc_lo
	global_load_b64 v[10:11], v[10:11], off
	s_waitcnt vmcnt(0)
	v_sub_co_u32 v10, vcc_lo, v10, s24
	v_subrev_co_ci_u32_e32 v11, vcc_lo, 0, v11, vcc_lo
	s_delay_alu instid0(VALU_DEP_1) | instskip(SKIP_2) | instid1(VALU_DEP_2)
	v_cmp_gt_i64_e32 vcc_lo, v[10:11], v[2:3]
	v_dual_cndmask_b32 v7, v7, v9 :: v_dual_cndmask_b32 v6, v6, v8
	v_dual_cndmask_b32 v5, v9, v5 :: v_dual_cndmask_b32 v4, v8, v4
	v_add_co_u32 v8, vcc_lo, v6, -1
	s_delay_alu instid0(VALU_DEP_3) | instskip(NEXT) | instid1(VALU_DEP_3)
	v_add_co_ci_u32_e32 v9, vcc_lo, -1, v7, vcc_lo
	v_cmp_ge_i64_e32 vcc_lo, v[4:5], v[6:7]
	s_delay_alu instid0(VALU_DEP_2) | instskip(NEXT) | instid1(VALU_DEP_1)
	v_cmp_eq_u64_e64 s0, v[4:5], v[8:9]
	s_or_b32 s0, vcc_lo, s0
	s_delay_alu instid0(SALU_CYCLE_1) | instskip(NEXT) | instid1(SALU_CYCLE_1)
	s_and_b32 s0, exec_lo, s0
	s_or_b32 s7, s0, s7
	s_delay_alu instid0(SALU_CYCLE_1)
	s_and_not1_b32 exec_lo, exec_lo, s7
	s_cbranch_execnz .LBB113_130
; %bb.131:
	s_set_inst_prefetch_distance 0x2
	s_or_b32 exec_lo, exec_lo, s7
.LBB113_132:
	v_lshlrev_b64 v[8:9], 3, v[6:7]
	s_mov_b32 s7, exec_lo
	s_delay_alu instid0(VALU_DEP_1) | instskip(NEXT) | instid1(VALU_DEP_2)
	v_add_co_u32 v8, vcc_lo, s8, v8
	v_add_co_ci_u32_e32 v9, vcc_lo, s9, v9, vcc_lo
	global_load_b64 v[8:9], v[8:9], off
	global_load_b32 v10, v[18:19], off offset:2048
	s_waitcnt vmcnt(1)
	v_sub_co_u32 v8, vcc_lo, v8, s24
	v_subrev_co_ci_u32_e32 v9, vcc_lo, 0, v9, vcc_lo
	s_waitcnt vmcnt(0)
	v_subrev_nc_u32_e32 v14, s24, v10
	s_delay_alu instid0(VALU_DEP_2) | instskip(NEXT) | instid1(VALU_DEP_2)
	v_cmp_gt_i64_e32 vcc_lo, v[8:9], v[2:3]
	v_ashrrev_i32_e32 v15, 31, v14
	v_dual_cndmask_b32 v5, v7, v5 :: v_dual_cndmask_b32 v4, v6, v4
	s_delay_alu instid0(VALU_DEP_1)
	v_cmpx_ne_u64_e64 v[4:5], v[14:15]
	s_cbranch_execz .LBB113_146
; %bb.133:
	s_load_b64 s[34:35], s[10:11], 0x0
	s_waitcnt lgkmcnt(0)
	s_sub_u32 s34, s34, s24
	s_subb_u32 s35, s35, 0
	s_delay_alu instid0(SALU_CYCLE_1)
	v_cmp_gt_i64_e32 vcc_lo, s[34:35], v[2:3]
	s_and_b32 exec_lo, exec_lo, vcc_lo
	s_cbranch_execz .LBB113_146
; %bb.134:
	v_cmp_gt_i64_e32 vcc_lo, s[12:13], v[14:15]
	v_cmp_le_i64_e64 s0, s[18:19], v[14:15]
	v_lshlrev_b64 v[2:3], 4, v[4:5]
	s_delay_alu instid0(VALU_DEP_2) | instskip(NEXT) | instid1(SALU_CYCLE_1)
	s_or_b32 s0, vcc_lo, s0
	s_and_saveexec_b32 s25, s0
	s_delay_alu instid0(SALU_CYCLE_1)
	s_xor_b32 s0, exec_lo, s25
	s_cbranch_execz .LBB113_140
; %bb.135:
	s_delay_alu instid0(VALU_DEP_1)
	v_add_co_u32 v2, vcc_lo, s14, v2
	v_add_co_ci_u32_e32 v3, vcc_lo, s15, v3, vcc_lo
	v_lshlrev_b64 v[6:7], 4, v[14:15]
	s_mov_b32 s25, 0
	global_load_b128 v[2:5], v[2:3], off
	v_add_co_u32 v20, vcc_lo, s20, v6
	v_add_co_ci_u32_e32 v21, vcc_lo, s21, v7, vcc_lo
	ds_load_b128 v[6:9], v26 offset:8192
	global_load_b64 v[12:13], v[20:21], off
	s_waitcnt vmcnt(1) lgkmcnt(0)
	v_mul_f64 v[10:11], v[4:5], -v[8:9]
	s_delay_alu instid0(VALU_DEP_1)
	v_fma_f64 v[22:23], v[6:7], v[2:3], v[10:11]
.LBB113_136:                            ; =>This Inner Loop Header: Depth=1
	s_waitcnt vmcnt(0)
	s_delay_alu instid0(VALU_DEP_1)
	v_add_f64 v[10:11], v[12:13], v[22:23]
	global_atomic_cmpswap_b64 v[10:11], v[20:21], v[10:13], off glc
	s_waitcnt vmcnt(0)
	v_cmp_eq_u64_e32 vcc_lo, v[10:11], v[12:13]
	v_dual_mov_b32 v13, v11 :: v_dual_mov_b32 v12, v10
	s_or_b32 s25, vcc_lo, s25
	s_delay_alu instid0(SALU_CYCLE_1)
	s_and_not1_b32 exec_lo, exec_lo, s25
	s_cbranch_execnz .LBB113_136
; %bb.137:
	s_or_b32 exec_lo, exec_lo, s25
	global_load_b64 v[10:11], v[20:21], off offset:8
	v_mul_f64 v[4:5], v[4:5], v[6:7]
	s_mov_b32 s25, 0
	s_delay_alu instid0(VALU_DEP_1)
	v_fma_f64 v[2:3], v[8:9], v[2:3], v[4:5]
.LBB113_138:                            ; =>This Inner Loop Header: Depth=1
	s_waitcnt vmcnt(0)
	s_delay_alu instid0(VALU_DEP_1)
	v_add_f64 v[8:9], v[10:11], v[2:3]
	global_atomic_cmpswap_b64 v[4:5], v[20:21], v[8:11], off offset:8 glc
	s_waitcnt vmcnt(0)
	v_cmp_eq_u64_e32 vcc_lo, v[4:5], v[10:11]
	v_dual_mov_b32 v11, v5 :: v_dual_mov_b32 v10, v4
	s_or_b32 s25, vcc_lo, s25
	s_delay_alu instid0(SALU_CYCLE_1)
	s_and_not1_b32 exec_lo, exec_lo, s25
	s_cbranch_execnz .LBB113_138
; %bb.139:
	s_or_b32 exec_lo, exec_lo, s25
                                        ; implicit-def: $vgpr2_vgpr3
.LBB113_140:
	s_and_not1_saveexec_b32 s0, s0
	s_cbranch_execz .LBB113_146
; %bb.141:
	v_add_co_u32 v2, vcc_lo, s14, v2
	v_add_co_ci_u32_e32 v3, vcc_lo, s15, v3, vcc_lo
	ds_load_b128 v[6:9], v26 offset:8192
	v_subrev_nc_u32_e32 v12, s12, v14
	s_mov_b32 s0, 0
	global_load_b128 v[2:5], v[2:3], off
	v_lshl_add_u32 v20, v12, 4, 0x4000
	ds_load_b64 v[12:13], v20
	s_waitcnt vmcnt(0) lgkmcnt(1)
	v_mul_f64 v[10:11], v[4:5], -v[8:9]
	s_delay_alu instid0(VALU_DEP_1)
	v_fma_f64 v[10:11], v[6:7], v[2:3], v[10:11]
.LBB113_142:                            ; =>This Inner Loop Header: Depth=1
	s_waitcnt lgkmcnt(0)
	s_delay_alu instid0(VALU_DEP_1)
	v_add_f64 v[21:22], v[12:13], v[10:11]
	ds_cmpstore_rtn_b64 v[21:22], v20, v[21:22], v[12:13]
	s_waitcnt lgkmcnt(0)
	v_cmp_eq_u64_e32 vcc_lo, v[21:22], v[12:13]
	v_dual_mov_b32 v12, v21 :: v_dual_mov_b32 v13, v22
	s_or_b32 s0, vcc_lo, s0
	s_delay_alu instid0(SALU_CYCLE_1)
	s_and_not1_b32 exec_lo, exec_lo, s0
	s_cbranch_execnz .LBB113_142
; %bb.143:
	s_or_b32 exec_lo, exec_lo, s0
	v_mul_f64 v[4:5], v[4:5], v[6:7]
	s_mov_b32 s0, 0
	s_delay_alu instid0(VALU_DEP_1)
	v_fma_f64 v[2:3], v[8:9], v[2:3], v[4:5]
	ds_load_b64 v[4:5], v20 offset:8
.LBB113_144:                            ; =>This Inner Loop Header: Depth=1
	s_waitcnt lgkmcnt(0)
	v_add_f64 v[6:7], v[4:5], v[2:3]
	ds_cmpstore_rtn_b64 v[6:7], v20, v[6:7], v[4:5] offset:8
	s_waitcnt lgkmcnt(0)
	v_cmp_eq_u64_e32 vcc_lo, v[6:7], v[4:5]
	v_dual_mov_b32 v4, v6 :: v_dual_mov_b32 v5, v7
	s_or_b32 s0, vcc_lo, s0
	s_delay_alu instid0(SALU_CYCLE_1)
	s_and_not1_b32 exec_lo, exec_lo, s0
	s_cbranch_execnz .LBB113_144
; %bb.145:
	s_or_b32 exec_lo, exec_lo, s0
.LBB113_146:
	s_delay_alu instid0(SALU_CYCLE_1)
	s_or_b32 exec_lo, exec_lo, s7
	v_lshlrev_b64 v[2:3], 4, v[14:15]
	ds_load_b128 v[6:9], v26 offset:8192
	v_add_co_u32 v2, vcc_lo, s14, v2
	v_add_co_ci_u32_e32 v3, vcc_lo, s15, v3, vcc_lo
	v_cmp_ne_u32_e32 vcc_lo, 1, v27
	global_load_b128 v[2:5], v[2:3], off
	s_and_b32 vcc_lo, exec_lo, vcc_lo
	s_waitcnt vmcnt(0) lgkmcnt(0)
	v_mul_f64 v[10:11], v[4:5], -v[8:9]
	v_mul_f64 v[4:5], v[4:5], v[6:7]
	s_delay_alu instid0(VALU_DEP_2) | instskip(NEXT) | instid1(VALU_DEP_2)
	v_fma_f64 v[6:7], v[6:7], v[2:3], v[10:11]
	v_fma_f64 v[8:9], v[8:9], v[2:3], v[4:5]
	v_dual_mov_b32 v2, s16 :: v_dual_mov_b32 v3, s17
	v_dual_mov_b32 v4, s30 :: v_dual_mov_b32 v5, s31
	ds_store_b128 v26, v[6:9] offset:8192
	s_cbranch_vccnz .LBB113_150
; %bb.147:
	v_dual_mov_b32 v2, s16 :: v_dual_mov_b32 v3, s17
	v_dual_mov_b32 v4, s30 :: v_dual_mov_b32 v5, s31
	s_mov_b32 s7, 0
	s_set_inst_prefetch_distance 0x1
	.p2align	6
.LBB113_148:                            ; =>This Inner Loop Header: Depth=1
	s_delay_alu instid0(VALU_DEP_1) | instskip(NEXT) | instid1(VALU_DEP_2)
	v_add_co_u32 v6, vcc_lo, v4, v2
	v_add_co_ci_u32_e32 v7, vcc_lo, v5, v3, vcc_lo
	s_delay_alu instid0(VALU_DEP_1) | instskip(NEXT) | instid1(VALU_DEP_1)
	v_lshrrev_b32_e32 v8, 31, v7
	v_add_co_u32 v6, vcc_lo, v6, v8
	v_add_co_ci_u32_e32 v7, vcc_lo, 0, v7, vcc_lo
	s_delay_alu instid0(VALU_DEP_1) | instskip(NEXT) | instid1(VALU_DEP_1)
	v_ashrrev_i64 v[6:7], 1, v[6:7]
	v_lshlrev_b64 v[8:9], 3, v[6:7]
	s_delay_alu instid0(VALU_DEP_1) | instskip(NEXT) | instid1(VALU_DEP_2)
	v_add_co_u32 v8, vcc_lo, s8, v8
	v_add_co_ci_u32_e32 v9, vcc_lo, s9, v9, vcc_lo
	global_load_b64 v[8:9], v[8:9], off
	s_waitcnt vmcnt(0)
	v_sub_co_u32 v8, vcc_lo, v8, s24
	v_subrev_co_ci_u32_e32 v9, vcc_lo, 0, v9, vcc_lo
	s_delay_alu instid0(VALU_DEP_1) | instskip(SKIP_2) | instid1(VALU_DEP_2)
	v_cmp_gt_i64_e32 vcc_lo, v[8:9], v[16:17]
	v_dual_cndmask_b32 v5, v5, v7 :: v_dual_cndmask_b32 v4, v4, v6
	v_dual_cndmask_b32 v3, v7, v3 :: v_dual_cndmask_b32 v2, v6, v2
	v_add_co_u32 v6, vcc_lo, v4, -1
	s_delay_alu instid0(VALU_DEP_3) | instskip(NEXT) | instid1(VALU_DEP_3)
	v_add_co_ci_u32_e32 v7, vcc_lo, -1, v5, vcc_lo
	v_cmp_ge_i64_e32 vcc_lo, v[2:3], v[4:5]
	s_delay_alu instid0(VALU_DEP_2) | instskip(NEXT) | instid1(VALU_DEP_1)
	v_cmp_eq_u64_e64 s0, v[2:3], v[6:7]
	s_or_b32 s0, vcc_lo, s0
	s_delay_alu instid0(SALU_CYCLE_1) | instskip(NEXT) | instid1(SALU_CYCLE_1)
	s_and_b32 s0, exec_lo, s0
	s_or_b32 s7, s0, s7
	s_delay_alu instid0(SALU_CYCLE_1)
	s_and_not1_b32 exec_lo, exec_lo, s7
	s_cbranch_execnz .LBB113_148
; %bb.149:
	s_set_inst_prefetch_distance 0x2
	s_or_b32 exec_lo, exec_lo, s7
.LBB113_150:
	v_lshlrev_b64 v[6:7], 3, v[4:5]
	s_mov_b32 s7, exec_lo
	s_delay_alu instid0(VALU_DEP_1) | instskip(NEXT) | instid1(VALU_DEP_2)
	v_add_co_u32 v6, vcc_lo, s8, v6
	v_add_co_ci_u32_e32 v7, vcc_lo, s9, v7, vcc_lo
	global_load_b64 v[6:7], v[6:7], off
	global_load_b32 v8, v[18:19], off offset:3072
	s_waitcnt vmcnt(1)
	v_sub_co_u32 v6, vcc_lo, v6, s24
	v_subrev_co_ci_u32_e32 v7, vcc_lo, 0, v7, vcc_lo
	s_waitcnt vmcnt(0)
	v_subrev_nc_u32_e32 v14, s24, v8
	s_delay_alu instid0(VALU_DEP_2) | instskip(NEXT) | instid1(VALU_DEP_2)
	v_cmp_gt_i64_e32 vcc_lo, v[6:7], v[16:17]
	v_ashrrev_i32_e32 v15, 31, v14
	v_dual_cndmask_b32 v3, v5, v3 :: v_dual_cndmask_b32 v2, v4, v2
	s_delay_alu instid0(VALU_DEP_1)
	v_cmpx_ne_u64_e64 v[2:3], v[14:15]
	s_cbranch_execz .LBB113_164
; %bb.151:
	s_load_b64 s[10:11], s[10:11], 0x0
	s_waitcnt lgkmcnt(0)
	s_sub_u32 s10, s10, s24
	s_subb_u32 s11, s11, 0
	s_delay_alu instid0(SALU_CYCLE_1)
	v_cmp_gt_i64_e32 vcc_lo, s[10:11], v[16:17]
	s_and_b32 exec_lo, exec_lo, vcc_lo
	s_cbranch_execz .LBB113_164
; %bb.152:
	v_cmp_gt_i64_e32 vcc_lo, s[12:13], v[14:15]
	v_cmp_le_i64_e64 s0, s[18:19], v[14:15]
	v_lshlrev_b64 v[2:3], 4, v[2:3]
	s_delay_alu instid0(VALU_DEP_2) | instskip(NEXT) | instid1(SALU_CYCLE_1)
	s_or_b32 s0, vcc_lo, s0
	s_and_saveexec_b32 s10, s0
	s_delay_alu instid0(SALU_CYCLE_1)
	s_xor_b32 s0, exec_lo, s10
	s_cbranch_execz .LBB113_158
; %bb.153:
	s_delay_alu instid0(VALU_DEP_1)
	v_add_co_u32 v2, vcc_lo, s14, v2
	v_add_co_ci_u32_e32 v3, vcc_lo, s15, v3, vcc_lo
	v_lshlrev_b64 v[6:7], 4, v[14:15]
	s_mov_b32 s10, 0
	global_load_b128 v[2:5], v[2:3], off
	v_add_co_u32 v16, vcc_lo, s20, v6
	v_add_co_ci_u32_e32 v17, vcc_lo, s21, v7, vcc_lo
	ds_load_b128 v[6:9], v26 offset:12288
	global_load_b64 v[12:13], v[16:17], off
	s_waitcnt vmcnt(1) lgkmcnt(0)
	v_mul_f64 v[10:11], v[4:5], -v[8:9]
	s_delay_alu instid0(VALU_DEP_1)
	v_fma_f64 v[18:19], v[6:7], v[2:3], v[10:11]
.LBB113_154:                            ; =>This Inner Loop Header: Depth=1
	s_waitcnt vmcnt(0)
	s_delay_alu instid0(VALU_DEP_1)
	v_add_f64 v[10:11], v[12:13], v[18:19]
	global_atomic_cmpswap_b64 v[10:11], v[16:17], v[10:13], off glc
	s_waitcnt vmcnt(0)
	v_cmp_eq_u64_e32 vcc_lo, v[10:11], v[12:13]
	v_dual_mov_b32 v13, v11 :: v_dual_mov_b32 v12, v10
	s_or_b32 s10, vcc_lo, s10
	s_delay_alu instid0(SALU_CYCLE_1)
	s_and_not1_b32 exec_lo, exec_lo, s10
	s_cbranch_execnz .LBB113_154
; %bb.155:
	s_or_b32 exec_lo, exec_lo, s10
	global_load_b64 v[10:11], v[16:17], off offset:8
	v_mul_f64 v[4:5], v[4:5], v[6:7]
	s_mov_b32 s10, 0
	s_delay_alu instid0(VALU_DEP_1)
	v_fma_f64 v[2:3], v[8:9], v[2:3], v[4:5]
.LBB113_156:                            ; =>This Inner Loop Header: Depth=1
	s_waitcnt vmcnt(0)
	s_delay_alu instid0(VALU_DEP_1)
	v_add_f64 v[8:9], v[10:11], v[2:3]
	global_atomic_cmpswap_b64 v[4:5], v[16:17], v[8:11], off offset:8 glc
	s_waitcnt vmcnt(0)
	v_cmp_eq_u64_e32 vcc_lo, v[4:5], v[10:11]
	v_dual_mov_b32 v11, v5 :: v_dual_mov_b32 v10, v4
	s_or_b32 s10, vcc_lo, s10
	s_delay_alu instid0(SALU_CYCLE_1)
	s_and_not1_b32 exec_lo, exec_lo, s10
	s_cbranch_execnz .LBB113_156
; %bb.157:
	s_or_b32 exec_lo, exec_lo, s10
                                        ; implicit-def: $vgpr2_vgpr3
.LBB113_158:
	s_and_not1_saveexec_b32 s0, s0
	s_cbranch_execz .LBB113_164
; %bb.159:
	v_add_co_u32 v2, vcc_lo, s14, v2
	v_add_co_ci_u32_e32 v3, vcc_lo, s15, v3, vcc_lo
	ds_load_b128 v[6:9], v26 offset:12288
	v_subrev_nc_u32_e32 v12, s12, v14
	s_mov_b32 s0, 0
	global_load_b128 v[2:5], v[2:3], off
	v_lshl_add_u32 v16, v12, 4, 0x4000
	ds_load_b64 v[12:13], v16
	s_waitcnt vmcnt(0) lgkmcnt(1)
	v_mul_f64 v[10:11], v[4:5], -v[8:9]
	s_delay_alu instid0(VALU_DEP_1)
	v_fma_f64 v[10:11], v[6:7], v[2:3], v[10:11]
.LBB113_160:                            ; =>This Inner Loop Header: Depth=1
	s_waitcnt lgkmcnt(0)
	s_delay_alu instid0(VALU_DEP_1)
	v_add_f64 v[17:18], v[12:13], v[10:11]
	ds_cmpstore_rtn_b64 v[17:18], v16, v[17:18], v[12:13]
	s_waitcnt lgkmcnt(0)
	v_cmp_eq_u64_e32 vcc_lo, v[17:18], v[12:13]
	v_dual_mov_b32 v12, v17 :: v_dual_mov_b32 v13, v18
	s_or_b32 s0, vcc_lo, s0
	s_delay_alu instid0(SALU_CYCLE_1)
	s_and_not1_b32 exec_lo, exec_lo, s0
	s_cbranch_execnz .LBB113_160
; %bb.161:
	s_or_b32 exec_lo, exec_lo, s0
	v_mul_f64 v[4:5], v[4:5], v[6:7]
	s_mov_b32 s0, 0
	s_delay_alu instid0(VALU_DEP_1)
	v_fma_f64 v[2:3], v[8:9], v[2:3], v[4:5]
	ds_load_b64 v[4:5], v16 offset:8
.LBB113_162:                            ; =>This Inner Loop Header: Depth=1
	s_waitcnt lgkmcnt(0)
	v_add_f64 v[6:7], v[4:5], v[2:3]
	ds_cmpstore_rtn_b64 v[6:7], v16, v[6:7], v[4:5] offset:8
	s_waitcnt lgkmcnt(0)
	v_cmp_eq_u64_e32 vcc_lo, v[6:7], v[4:5]
	v_dual_mov_b32 v4, v6 :: v_dual_mov_b32 v5, v7
	s_or_b32 s0, vcc_lo, s0
	s_delay_alu instid0(SALU_CYCLE_1)
	s_and_not1_b32 exec_lo, exec_lo, s0
	s_cbranch_execnz .LBB113_162
; %bb.163:
	s_or_b32 exec_lo, exec_lo, s0
.LBB113_164:
	s_delay_alu instid0(SALU_CYCLE_1)
	s_or_b32 exec_lo, exec_lo, s7
	v_lshlrev_b64 v[2:3], 4, v[14:15]
	ds_load_b128 v[6:9], v26 offset:12288
	v_add_co_u32 v2, vcc_lo, s14, v2
	v_add_co_ci_u32_e32 v3, vcc_lo, s15, v3, vcc_lo
	global_load_b128 v[2:5], v[2:3], off
	s_waitcnt vmcnt(0) lgkmcnt(0)
	v_mul_f64 v[10:11], v[4:5], -v[8:9]
	v_mul_f64 v[12:13], v[4:5], v[6:7]
	s_delay_alu instid0(VALU_DEP_2) | instskip(NEXT) | instid1(VALU_DEP_2)
	v_fma_f64 v[4:5], v[6:7], v[2:3], v[10:11]
	v_fma_f64 v[6:7], v[8:9], v[2:3], v[12:13]
	ds_store_b128 v26, v[4:7] offset:12288
.LBB113_165:
	s_or_b32 exec_lo, exec_lo, s1
	v_cmp_lt_i64_e64 s0, s[18:19], s[2:3]
	s_waitcnt lgkmcnt(0)
	s_barrier
	buffer_gl0_inv
	s_and_b32 s0, s0, exec_lo
	s_cselect_b32 s1, s18, s2
	s_cselect_b32 s0, s19, s3
	s_sub_u32 s2, s1, s22
	s_subb_u32 s3, s0, s23
	s_mov_b32 s0, exec_lo
	v_cmpx_gt_i64_e64 s[2:3], v[0:1]
	s_cbranch_execz .LBB113_172
; %bb.166:
	s_lshl_b64 s[10:11], s[12:13], 4
	v_dual_mov_b32 v11, v1 :: v_dual_mov_b32 v10, v0
	s_add_u32 s7, s20, s10
	s_addc_u32 s10, s21, s11
	s_mov_b32 s11, 0
	s_set_inst_prefetch_distance 0x1
	.p2align	6
.LBB113_167:                            ; =>This Loop Header: Depth=1
                                        ;     Child Loop BB113_168 Depth 2
                                        ;     Child Loop BB113_170 Depth 2
	v_lshlrev_b64 v[2:3], 4, v[10:11]
	s_mov_b32 s12, 0
	s_delay_alu instid0(VALU_DEP_1) | instskip(NEXT) | instid1(VALU_DEP_2)
	v_add_co_u32 v12, vcc_lo, s7, v2
	v_add_co_ci_u32_e32 v13, vcc_lo, s10, v3, vcc_lo
	v_lshl_add_u32 v2, v10, 4, 0x4000
	global_load_b64 v[8:9], v[12:13], off
	ds_load_2addr_b64 v[2:5], v2 offset1:1
.LBB113_168:                            ;   Parent Loop BB113_167 Depth=1
                                        ; =>  This Inner Loop Header: Depth=2
	s_waitcnt vmcnt(0) lgkmcnt(0)
	v_add_f64 v[6:7], v[8:9], v[2:3]
	global_atomic_cmpswap_b64 v[6:7], v[12:13], v[6:9], off glc
	s_waitcnt vmcnt(0)
	v_cmp_eq_u64_e32 vcc_lo, v[6:7], v[8:9]
	v_dual_mov_b32 v9, v7 :: v_dual_mov_b32 v8, v6
	s_or_b32 s12, vcc_lo, s12
	s_delay_alu instid0(SALU_CYCLE_1)
	s_and_not1_b32 exec_lo, exec_lo, s12
	s_cbranch_execnz .LBB113_168
; %bb.169:                              ;   in Loop: Header=BB113_167 Depth=1
	s_or_b32 exec_lo, exec_lo, s12
	global_load_b64 v[8:9], v[12:13], off offset:8
	s_mov_b32 s12, 0
.LBB113_170:                            ;   Parent Loop BB113_167 Depth=1
                                        ; =>  This Inner Loop Header: Depth=2
	s_waitcnt vmcnt(0)
	v_add_f64 v[6:7], v[8:9], v[4:5]
	global_atomic_cmpswap_b64 v[2:3], v[12:13], v[6:9], off offset:8 glc
	s_waitcnt vmcnt(0)
	v_cmp_eq_u64_e32 vcc_lo, v[2:3], v[8:9]
	v_dual_mov_b32 v9, v3 :: v_dual_mov_b32 v8, v2
	s_or_b32 s12, vcc_lo, s12
	s_delay_alu instid0(SALU_CYCLE_1)
	s_and_not1_b32 exec_lo, exec_lo, s12
	s_cbranch_execnz .LBB113_170
; %bb.171:                              ;   in Loop: Header=BB113_167 Depth=1
	s_or_b32 exec_lo, exec_lo, s12
	v_add_co_u32 v10, vcc_lo, 0x100, v10
	v_add_co_ci_u32_e32 v11, vcc_lo, 0, v11, vcc_lo
	s_delay_alu instid0(VALU_DEP_1) | instskip(SKIP_1) | instid1(SALU_CYCLE_1)
	v_cmp_le_i64_e32 vcc_lo, s[2:3], v[10:11]
	s_or_b32 s11, vcc_lo, s11
	s_and_not1_b32 exec_lo, exec_lo, s11
	s_cbranch_execnz .LBB113_167
.LBB113_172:
	s_set_inst_prefetch_distance 0x2
	s_or_b32 exec_lo, exec_lo, s0
	s_add_i32 s0, s28, -1
	v_add_co_u32 v10, s10, s16, v0
	s_ashr_i32 s3, s0, 1
	v_add_co_ci_u32_e64 v11, null, s17, 0, s10
	s_or_b32 s0, s3, s0
	s_delay_alu instid0(SALU_CYCLE_1) | instskip(SKIP_4) | instid1(SALU_CYCLE_1)
	s_ashr_i32 s3, s0, 2
	s_barrier
	s_or_b32 s0, s3, s0
	buffer_gl0_inv
	s_ashr_i32 s3, s0, 4
	s_or_b32 s0, s3, s0
	s_delay_alu instid0(SALU_CYCLE_1) | instskip(NEXT) | instid1(SALU_CYCLE_1)
	s_ashr_i32 s3, s0, 8
	s_or_b32 s0, s3, s0
	s_delay_alu instid0(SALU_CYCLE_1) | instskip(NEXT) | instid1(SALU_CYCLE_1)
	s_ashr_i32 s3, s0, 16
	s_or_b32 s3, s3, s0
	s_mov_b32 s0, -1
	s_add_i32 s3, s3, 1
	s_delay_alu instid0(SALU_CYCLE_1) | instskip(NEXT) | instid1(SALU_CYCLE_1)
	s_ashr_i32 s7, s3, 1
	s_cmp_gt_i32 s7, 1
	s_cbranch_scc1 .LBB113_185
; %bb.173:
	s_mov_b32 s0, exec_lo
	v_cmpx_gt_i64_e64 s[18:19], v[10:11]
	s_cbranch_execz .LBB113_184
; %bb.174:
	s_sub_i32 s1, s1, s18
	v_dual_mov_b32 v13, v11 :: v_dual_mov_b32 v12, v10
	s_lshl_b32 s11, s4, 4
	s_lshl_b32 s1, s1, 4
	s_mov_b32 s10, 0
	s_addk_i32 s1, 0x4000
	s_sub_i32 s11, 0, s11
.LBB113_175:                            ; =>This Loop Header: Depth=1
                                        ;     Child Loop BB113_177 Depth 2
                                        ;     Child Loop BB113_180 Depth 2
	;; [unrolled: 1-line block ×3, first 2 shown]
	v_lshlrev_b64 v[2:3], 3, v[12:13]
	v_mov_b32_e32 v14, 0
	v_mov_b32_e32 v15, 0
	s_delay_alu instid0(VALU_DEP_2) | instskip(SKIP_1) | instid1(VALU_DEP_4)
	v_mov_b32_e32 v6, v14
	s_mov_b32 s12, exec_lo
	v_add_co_u32 v2, vcc_lo, s8, v2
	s_delay_alu instid0(VALU_DEP_3)
	v_mov_b32_e32 v7, v15
	v_add_co_ci_u32_e32 v3, vcc_lo, s9, v3, vcc_lo
	global_load_b128 v[2:5], v[2:3], off
	s_waitcnt vmcnt(0)
	v_cmpx_lt_i64_e64 v[2:3], v[4:5]
	s_cbranch_execz .LBB113_179
; %bb.176:                              ;   in Loop: Header=BB113_175 Depth=1
	v_mov_b32_e32 v14, 0
	v_sub_co_u32 v4, vcc_lo, v4, s4
	v_mov_b32_e32 v15, 0
	v_subrev_co_ci_u32_e32 v5, vcc_lo, s5, v5, vcc_lo
	v_sub_co_u32 v8, vcc_lo, v2, s4
	v_subrev_co_ci_u32_e32 v9, vcc_lo, s5, v3, vcc_lo
	v_lshl_add_u32 v2, v2, 4, s11
	v_dual_mov_b32 v6, v14 :: v_dual_mov_b32 v7, v15
	s_mov_b32 s13, 0
.LBB113_177:                            ;   Parent Loop BB113_175 Depth=1
                                        ; =>  This Inner Loop Header: Depth=2
	ds_load_b128 v[16:19], v2
	v_add_co_u32 v8, vcc_lo, v8, 1
	v_add_co_ci_u32_e32 v9, vcc_lo, 0, v9, vcc_lo
	v_add_nc_u32_e32 v2, 16, v2
	s_delay_alu instid0(VALU_DEP_2)
	v_cmp_ge_i64_e32 vcc_lo, v[8:9], v[4:5]
	s_or_b32 s13, vcc_lo, s13
	s_waitcnt lgkmcnt(0)
	v_add_f64 v[6:7], v[6:7], v[16:17]
	v_add_f64 v[14:15], v[14:15], v[18:19]
	s_and_not1_b32 exec_lo, exec_lo, s13
	s_cbranch_execnz .LBB113_177
; %bb.178:                              ;   in Loop: Header=BB113_175 Depth=1
	s_or_b32 exec_lo, exec_lo, s13
.LBB113_179:                            ;   in Loop: Header=BB113_175 Depth=1
	s_delay_alu instid0(SALU_CYCLE_1) | instskip(SKIP_2) | instid1(VALU_DEP_1)
	s_or_b32 exec_lo, exec_lo, s12
	v_lshlrev_b64 v[2:3], 4, v[12:13]
	s_mov_b32 s12, 0
	v_add_co_u32 v16, vcc_lo, s20, v2
	s_delay_alu instid0(VALU_DEP_2)
	v_add_co_ci_u32_e32 v17, vcc_lo, s21, v3, vcc_lo
	v_lshl_add_u32 v2, v12, 4, s1
	global_load_b64 v[8:9], v[16:17], off
	ds_load_2addr_b64 v[2:5], v2 offset1:1
	s_waitcnt lgkmcnt(0)
	v_add_f64 v[2:3], v[6:7], v[2:3]
.LBB113_180:                            ;   Parent Loop BB113_175 Depth=1
                                        ; =>  This Inner Loop Header: Depth=2
	s_waitcnt vmcnt(0)
	s_delay_alu instid0(VALU_DEP_1)
	v_add_f64 v[6:7], v[8:9], v[2:3]
	global_atomic_cmpswap_b64 v[6:7], v[16:17], v[6:9], off glc
	s_waitcnt vmcnt(0)
	v_cmp_eq_u64_e32 vcc_lo, v[6:7], v[8:9]
	v_dual_mov_b32 v9, v7 :: v_dual_mov_b32 v8, v6
	s_or_b32 s12, vcc_lo, s12
	s_delay_alu instid0(SALU_CYCLE_1)
	s_and_not1_b32 exec_lo, exec_lo, s12
	s_cbranch_execnz .LBB113_180
; %bb.181:                              ;   in Loop: Header=BB113_175 Depth=1
	s_or_b32 exec_lo, exec_lo, s12
	global_load_b64 v[6:7], v[16:17], off offset:8
	v_add_f64 v[2:3], v[14:15], v[4:5]
	s_mov_b32 s12, 0
.LBB113_182:                            ;   Parent Loop BB113_175 Depth=1
                                        ; =>  This Inner Loop Header: Depth=2
	s_waitcnt vmcnt(0)
	s_delay_alu instid0(VALU_DEP_1)
	v_add_f64 v[4:5], v[6:7], v[2:3]
	global_atomic_cmpswap_b64 v[4:5], v[16:17], v[4:7], off offset:8 glc
	s_waitcnt vmcnt(0)
	v_cmp_eq_u64_e32 vcc_lo, v[4:5], v[6:7]
	v_dual_mov_b32 v7, v5 :: v_dual_mov_b32 v6, v4
	s_or_b32 s12, vcc_lo, s12
	s_delay_alu instid0(SALU_CYCLE_1)
	s_and_not1_b32 exec_lo, exec_lo, s12
	s_cbranch_execnz .LBB113_182
; %bb.183:                              ;   in Loop: Header=BB113_175 Depth=1
	s_or_b32 exec_lo, exec_lo, s12
	v_add_co_u32 v12, vcc_lo, v12, s6
	v_add_co_ci_u32_e32 v13, vcc_lo, 0, v13, vcc_lo
	s_delay_alu instid0(VALU_DEP_1) | instskip(SKIP_1) | instid1(SALU_CYCLE_1)
	v_cmp_le_i64_e32 vcc_lo, s[18:19], v[12:13]
	s_or_b32 s10, vcc_lo, s10
	s_and_not1_b32 exec_lo, exec_lo, s10
	s_cbranch_execnz .LBB113_175
.LBB113_184:
	s_or_b32 exec_lo, exec_lo, s0
	s_mov_b32 s0, 0
.LBB113_185:
	s_delay_alu instid0(SALU_CYCLE_1)
	s_and_not1_b32 vcc_lo, exec_lo, s0
	s_cbranch_vccnz .LBB113_216
; %bb.186:
	v_cvt_f32_u32_e32 v6, s7
	s_sub_i32 s1, 0, s7
                                        ; implicit-def: $vgpr12_vgpr13
	s_mov_b32 s0, exec_lo
	v_mov_b32_e32 v15, 0
	s_delay_alu instid0(VALU_DEP_2) | instskip(SKIP_2) | instid1(VALU_DEP_1)
	v_rcp_iflag_f32_e32 v2, v6
	s_waitcnt_depctr 0xfff
	v_mul_f32_e32 v2, 0x4f7ffffe, v2
	v_cvt_u32_f32_e32 v2, v2
	s_delay_alu instid0(VALU_DEP_1) | instskip(NEXT) | instid1(VALU_DEP_1)
	v_mul_lo_u32 v3, s1, v2
	v_mul_hi_u32 v3, v2, v3
	s_delay_alu instid0(VALU_DEP_1) | instskip(NEXT) | instid1(VALU_DEP_1)
	v_add_nc_u32_e32 v2, v2, v3
	v_mul_hi_u32 v2, v0, v2
	s_delay_alu instid0(VALU_DEP_1) | instskip(SKIP_1) | instid1(VALU_DEP_2)
	v_mul_lo_u32 v3, v2, s7
	v_add_nc_u32_e32 v4, 1, v2
	v_sub_nc_u32_e32 v3, v0, v3
	s_delay_alu instid0(VALU_DEP_1) | instskip(SKIP_1) | instid1(VALU_DEP_2)
	v_subrev_nc_u32_e32 v5, s7, v3
	v_cmp_le_u32_e32 vcc_lo, s7, v3
	v_dual_cndmask_b32 v2, v2, v4 :: v_dual_cndmask_b32 v3, v3, v5
	s_delay_alu instid0(VALU_DEP_1) | instskip(NEXT) | instid1(VALU_DEP_2)
	v_add_nc_u32_e32 v4, 1, v2
	v_cmp_le_u32_e32 vcc_lo, s7, v3
	s_delay_alu instid0(VALU_DEP_2) | instskip(NEXT) | instid1(VALU_DEP_1)
	v_cndmask_b32_e32 v14, v2, v4, vcc_lo
	v_lshlrev_b64 v[2:3], 3, v[14:15]
	s_delay_alu instid0(VALU_DEP_1) | instskip(NEXT) | instid1(VALU_DEP_2)
	v_add_co_u32 v2, vcc_lo, s26, v2
	v_add_co_ci_u32_e32 v3, vcc_lo, s27, v3, vcc_lo
	global_load_b128 v[2:5], v[2:3], off
	s_waitcnt vmcnt(0)
	v_sub_co_u32 v7, vcc_lo, v2, s4
	v_subrev_co_ci_u32_e32 v8, vcc_lo, s5, v3, vcc_lo
	v_mov_b32_e32 v3, v15
	v_sub_co_u32 v9, vcc_lo, v4, s4
	v_subrev_co_ci_u32_e32 v18, vcc_lo, s5, v5, vcc_lo
	s_delay_alu instid0(VALU_DEP_2) | instskip(NEXT) | instid1(VALU_DEP_2)
	v_sub_co_u32 v5, vcc_lo, v9, v7
	v_sub_co_ci_u32_e32 v4, vcc_lo, v18, v8, vcc_lo
	s_delay_alu instid0(VALU_DEP_1)
	v_cmpx_ne_u64_e32 0, v[3:4]
	s_xor_b32 s5, exec_lo, s0
	s_cbranch_execz .LBB113_188
; %bb.187:
	v_cvt_f32_ubyte0_e32 v3, 0
	s_sub_u32 s0, 0, s7
	s_subb_u32 s6, 0, 0
	s_delay_alu instid0(VALU_DEP_1) | instskip(NEXT) | instid1(VALU_DEP_1)
	v_fmamk_f32 v3, v3, 0x4f800000, v6
	v_rcp_f32_e32 v3, v3
	s_waitcnt_depctr 0xfff
	v_mul_f32_e32 v3, 0x5f7ffffc, v3
	s_delay_alu instid0(VALU_DEP_1) | instskip(NEXT) | instid1(VALU_DEP_1)
	v_mul_f32_e32 v6, 0x2f800000, v3
	v_trunc_f32_e32 v6, v6
	s_delay_alu instid0(VALU_DEP_1) | instskip(SKIP_1) | instid1(VALU_DEP_2)
	v_fmamk_f32 v3, v6, 0xcf800000, v3
	v_cvt_u32_f32_e32 v6, v6
	v_cvt_u32_f32_e32 v3, v3
	s_delay_alu instid0(VALU_DEP_2) | instskip(NEXT) | instid1(VALU_DEP_2)
	v_mul_lo_u32 v12, s0, v6
	v_mul_hi_u32 v13, s0, v3
	v_mul_lo_u32 v16, s6, v3
	s_delay_alu instid0(VALU_DEP_2) | instskip(SKIP_1) | instid1(VALU_DEP_2)
	v_add_nc_u32_e32 v12, v13, v12
	v_mul_lo_u32 v13, s0, v3
	v_add_nc_u32_e32 v12, v12, v16
	s_delay_alu instid0(VALU_DEP_2) | instskip(NEXT) | instid1(VALU_DEP_2)
	v_mul_hi_u32 v16, v3, v13
	v_mul_lo_u32 v17, v3, v12
	v_mul_hi_u32 v19, v3, v12
	v_mul_hi_u32 v20, v6, v13
	v_mul_lo_u32 v13, v6, v13
	v_mul_hi_u32 v21, v6, v12
	v_mul_lo_u32 v12, v6, v12
	v_add_co_u32 v16, vcc_lo, v16, v17
	v_add_co_ci_u32_e32 v17, vcc_lo, 0, v19, vcc_lo
	s_delay_alu instid0(VALU_DEP_2) | instskip(NEXT) | instid1(VALU_DEP_2)
	v_add_co_u32 v13, vcc_lo, v16, v13
	v_add_co_ci_u32_e32 v13, vcc_lo, v17, v20, vcc_lo
	v_add_co_ci_u32_e32 v16, vcc_lo, 0, v21, vcc_lo
	v_ashrrev_i32_e32 v20, 31, v4
	s_delay_alu instid0(VALU_DEP_3) | instskip(NEXT) | instid1(VALU_DEP_3)
	v_add_co_u32 v12, vcc_lo, v13, v12
	v_add_co_ci_u32_e32 v13, vcc_lo, 0, v16, vcc_lo
	s_delay_alu instid0(VALU_DEP_2) | instskip(NEXT) | instid1(VALU_DEP_2)
	v_add_co_u32 v3, vcc_lo, v3, v12
	v_add_co_ci_u32_e32 v6, vcc_lo, v6, v13, vcc_lo
	s_delay_alu instid0(VALU_DEP_2) | instskip(SKIP_1) | instid1(VALU_DEP_3)
	v_mul_hi_u32 v12, s0, v3
	v_mul_lo_u32 v16, s6, v3
	v_mul_lo_u32 v13, s0, v6
	s_delay_alu instid0(VALU_DEP_1) | instskip(SKIP_1) | instid1(VALU_DEP_2)
	v_add_nc_u32_e32 v12, v12, v13
	v_mul_lo_u32 v13, s0, v3
	v_add_nc_u32_e32 v12, v12, v16
	s_delay_alu instid0(VALU_DEP_2) | instskip(NEXT) | instid1(VALU_DEP_2)
	v_mul_hi_u32 v16, v3, v13
	v_mul_lo_u32 v17, v3, v12
	v_mul_hi_u32 v19, v3, v12
	v_mul_hi_u32 v21, v6, v13
	v_mul_lo_u32 v13, v6, v13
	v_mul_hi_u32 v22, v6, v12
	v_mul_lo_u32 v12, v6, v12
	v_add_co_u32 v16, vcc_lo, v16, v17
	v_add_co_ci_u32_e32 v17, vcc_lo, 0, v19, vcc_lo
	s_delay_alu instid0(VALU_DEP_2) | instskip(NEXT) | instid1(VALU_DEP_2)
	v_add_co_u32 v13, vcc_lo, v16, v13
	v_add_co_ci_u32_e32 v13, vcc_lo, v17, v21, vcc_lo
	v_add_co_ci_u32_e32 v16, vcc_lo, 0, v22, vcc_lo
	v_add_co_u32 v5, vcc_lo, v5, v20
	v_add_co_ci_u32_e32 v4, vcc_lo, v4, v20, vcc_lo
	s_delay_alu instid0(VALU_DEP_4) | instskip(NEXT) | instid1(VALU_DEP_4)
	v_add_co_u32 v12, vcc_lo, v13, v12
	v_add_co_ci_u32_e32 v13, vcc_lo, 0, v16, vcc_lo
	s_delay_alu instid0(VALU_DEP_4) | instskip(NEXT) | instid1(VALU_DEP_3)
	v_xor_b32_e32 v16, v5, v20
	v_add_co_u32 v12, vcc_lo, v3, v12
	s_delay_alu instid0(VALU_DEP_3) | instskip(SKIP_1) | instid1(VALU_DEP_3)
	v_add_co_ci_u32_e32 v17, vcc_lo, v6, v13, vcc_lo
	v_xor_b32_e32 v19, v4, v20
	v_mul_hi_u32 v21, v16, v12
	s_delay_alu instid0(VALU_DEP_3) | instskip(NEXT) | instid1(VALU_DEP_3)
	v_mad_u64_u32 v[3:4], null, v16, v17, 0
	v_mad_u64_u32 v[5:6], null, v19, v12, 0
	;; [unrolled: 1-line block ×3, first 2 shown]
	s_delay_alu instid0(VALU_DEP_3) | instskip(NEXT) | instid1(VALU_DEP_4)
	v_add_co_u32 v3, vcc_lo, v21, v3
	v_add_co_ci_u32_e32 v4, vcc_lo, 0, v4, vcc_lo
	s_delay_alu instid0(VALU_DEP_2) | instskip(NEXT) | instid1(VALU_DEP_2)
	v_add_co_u32 v3, vcc_lo, v3, v5
	v_add_co_ci_u32_e32 v3, vcc_lo, v4, v6, vcc_lo
	v_add_co_ci_u32_e32 v4, vcc_lo, 0, v13, vcc_lo
	s_delay_alu instid0(VALU_DEP_2) | instskip(NEXT) | instid1(VALU_DEP_2)
	v_add_co_u32 v12, vcc_lo, v3, v12
	v_add_co_ci_u32_e32 v13, vcc_lo, 0, v4, vcc_lo
	s_delay_alu instid0(VALU_DEP_2) | instskip(NEXT) | instid1(VALU_DEP_1)
	v_mad_u64_u32 v[3:4], null, s7, v12, 0
	v_mad_u64_u32 v[5:6], null, s7, v13, v[4:5]
	s_delay_alu instid0(VALU_DEP_2) | instskip(NEXT) | instid1(VALU_DEP_2)
	v_sub_co_u32 v3, vcc_lo, v16, v3
	v_sub_co_ci_u32_e32 v4, vcc_lo, v19, v5, vcc_lo
	s_delay_alu instid0(VALU_DEP_2) | instskip(NEXT) | instid1(VALU_DEP_2)
	v_sub_co_u32 v5, vcc_lo, v3, s7
	v_subrev_co_ci_u32_e32 v6, vcc_lo, 0, v4, vcc_lo
	s_delay_alu instid0(VALU_DEP_2)
	v_cmp_le_u32_e32 vcc_lo, s7, v5
	v_cmp_eq_u32_e64 s0, 0, v4
	v_cndmask_b32_e64 v5, 0, -1, vcc_lo
	v_add_co_u32 v16, vcc_lo, v12, 2
	v_add_co_ci_u32_e32 v17, vcc_lo, 0, v13, vcc_lo
	v_cmp_le_u32_e32 vcc_lo, s7, v3
	v_cndmask_b32_e64 v3, 0, -1, vcc_lo
	v_cmp_eq_u32_e32 vcc_lo, 0, v6
	s_delay_alu instid0(VALU_DEP_2) | instskip(SKIP_3) | instid1(VALU_DEP_3)
	v_cndmask_b32_e64 v3, -1, v3, s0
	v_cndmask_b32_e32 v5, -1, v5, vcc_lo
	v_add_co_u32 v6, vcc_lo, v12, 1
	v_add_co_ci_u32_e32 v19, vcc_lo, 0, v13, vcc_lo
	v_cmp_ne_u32_e32 vcc_lo, 0, v5
	s_delay_alu instid0(VALU_DEP_2) | instskip(SKIP_1) | instid1(VALU_DEP_2)
	v_dual_cndmask_b32 v4, v19, v17 :: v_dual_cndmask_b32 v5, v6, v16
	v_cmp_ne_u32_e32 vcc_lo, 0, v3
	v_dual_cndmask_b32 v3, v13, v4 :: v_dual_cndmask_b32 v4, v12, v5
                                        ; implicit-def: $vgpr5
	s_delay_alu instid0(VALU_DEP_1) | instskip(NEXT) | instid1(VALU_DEP_2)
	v_xor_b32_e32 v3, v3, v20
	v_xor_b32_e32 v4, v4, v20
	s_delay_alu instid0(VALU_DEP_1) | instskip(NEXT) | instid1(VALU_DEP_3)
	v_sub_co_u32 v12, vcc_lo, v4, v20
	v_sub_co_ci_u32_e32 v13, vcc_lo, v3, v20, vcc_lo
.LBB113_188:
	s_and_not1_saveexec_b32 s0, s5
	s_cbranch_execz .LBB113_190
; %bb.189:
	v_cvt_f32_u32_e32 v3, s7
	v_mov_b32_e32 v13, 0
	s_delay_alu instid0(VALU_DEP_2) | instskip(SKIP_2) | instid1(VALU_DEP_1)
	v_rcp_iflag_f32_e32 v3, v3
	s_waitcnt_depctr 0xfff
	v_mul_f32_e32 v3, 0x4f7ffffe, v3
	v_cvt_u32_f32_e32 v3, v3
	s_delay_alu instid0(VALU_DEP_1) | instskip(NEXT) | instid1(VALU_DEP_1)
	v_mul_lo_u32 v4, s1, v3
	v_mul_hi_u32 v4, v3, v4
	s_delay_alu instid0(VALU_DEP_1) | instskip(NEXT) | instid1(VALU_DEP_1)
	v_add_nc_u32_e32 v3, v3, v4
	v_mul_hi_u32 v3, v5, v3
	s_delay_alu instid0(VALU_DEP_1) | instskip(NEXT) | instid1(VALU_DEP_1)
	v_mul_lo_u32 v4, v3, s7
	v_sub_nc_u32_e32 v4, v5, v4
	v_add_nc_u32_e32 v5, 1, v3
	s_delay_alu instid0(VALU_DEP_2) | instskip(SKIP_1) | instid1(VALU_DEP_2)
	v_subrev_nc_u32_e32 v6, s7, v4
	v_cmp_le_u32_e32 vcc_lo, s7, v4
	v_dual_cndmask_b32 v4, v4, v6 :: v_dual_cndmask_b32 v3, v3, v5
	s_delay_alu instid0(VALU_DEP_1) | instskip(NEXT) | instid1(VALU_DEP_2)
	v_cmp_le_u32_e32 vcc_lo, s7, v4
	v_add_nc_u32_e32 v5, 1, v3
	s_delay_alu instid0(VALU_DEP_1)
	v_cndmask_b32_e32 v12, v3, v5, vcc_lo
.LBB113_190:
	s_or_b32 exec_lo, exec_lo, s0
	v_mov_b32_e32 v5, 0
	v_mov_b32_e32 v6, 0
	s_delay_alu instid0(VALU_DEP_2) | instskip(SKIP_1) | instid1(VALU_DEP_2)
	v_mov_b32_e32 v3, v5
	s_mov_b32 s5, exec_lo
	v_mov_b32_e32 v4, v6
	v_cmpx_gt_i64_e64 s[22:23], v[14:15]
	s_cbranch_execz .LBB113_204
; %bb.191:
	s_add_i32 s0, s7, -1
	s_delay_alu instid0(SALU_CYCLE_1) | instskip(SKIP_1) | instid1(VALU_DEP_2)
	v_dual_mov_b32 v5, 0 :: v_dual_and_b32 v14, s0, v0
	v_mov_b32_e32 v6, 0
	v_mov_b32_e32 v3, v5
	s_mov_b32 s6, exec_lo
	s_delay_alu instid0(VALU_DEP_2)
	v_mov_b32_e32 v4, v6
	v_cmpx_lt_i64_e32 0, v[12:13]
	s_cbranch_execz .LBB113_201
; %bb.192:
	v_mov_b32_e32 v3, 0
	v_dual_mov_b32 v4, 0 :: v_dual_mov_b32 v15, 0
	s_mov_b32 s8, exec_lo
	v_mov_b32_e32 v16, 0
	s_delay_alu instid0(VALU_DEP_2)
	v_dual_mov_b32 v6, v4 :: v_dual_mov_b32 v5, v3
	v_cmpx_lt_u64_e32 3, v[12:13]
	s_cbranch_execz .LBB113_196
; %bb.193:
	v_add_nc_u32_e32 v3, v14, v2
	v_dual_mov_b32 v5, 0 :: v_dual_and_b32 v16, 0x7fffffff, v13
	v_dual_mov_b32 v6, 0 :: v_dual_and_b32 v15, -4, v12
	s_delay_alu instid0(VALU_DEP_3)
	v_subrev_nc_u32_e32 v3, s4, v3
	s_lshl_b32 s9, s7, 6
	s_lshl_b32 s10, s7, 4
	s_mov_b64 s[0:1], 0
	s_mov_b32 s11, 0
	v_lshlrev_b32_e32 v17, 4, v3
	v_dual_mov_b32 v3, v5 :: v_dual_mov_b32 v4, v6
	s_set_inst_prefetch_distance 0x1
	.p2align	6
.LBB113_194:                            ; =>This Inner Loop Header: Depth=1
	ds_load_b128 v[19:22], v17
	v_add_nc_u32_e32 v25, s10, v17
	s_add_u32 s0, s0, 4
	s_addc_u32 s1, s1, 0
	s_delay_alu instid0(SALU_CYCLE_1) | instskip(NEXT) | instid1(VALU_DEP_2)
	v_cmp_eq_u64_e32 vcc_lo, s[0:1], v[15:16]
	v_add_nc_u32_e32 v33, s10, v25
	s_or_b32 s11, vcc_lo, s11
	s_delay_alu instid0(VALU_DEP_1)
	v_add_nc_u32_e32 v23, s10, v33
	ds_load_b128 v[27:30], v23
	v_add_nc_u32_e32 v17, s9, v17
	s_waitcnt lgkmcnt(1)
	v_add_f64 v[23:24], v[3:4], v[19:20]
	v_add_f64 v[31:32], v[5:6], v[21:22]
	ds_load_b128 v[3:6], v25
	ds_load_b128 v[19:22], v33
	s_waitcnt lgkmcnt(1)
	v_add_f64 v[3:4], v[23:24], v[3:4]
	v_add_f64 v[5:6], v[31:32], v[5:6]
	s_waitcnt lgkmcnt(0)
	s_delay_alu instid0(VALU_DEP_2) | instskip(NEXT) | instid1(VALU_DEP_2)
	v_add_f64 v[3:4], v[3:4], v[19:20]
	v_add_f64 v[5:6], v[5:6], v[21:22]
	s_delay_alu instid0(VALU_DEP_2) | instskip(NEXT) | instid1(VALU_DEP_2)
	v_add_f64 v[3:4], v[3:4], v[27:28]
	v_add_f64 v[5:6], v[5:6], v[29:30]
	s_and_not1_b32 exec_lo, exec_lo, s11
	s_cbranch_execnz .LBB113_194
; %bb.195:
	s_set_inst_prefetch_distance 0x2
	s_or_b32 exec_lo, exec_lo, s11
.LBB113_196:
	s_delay_alu instid0(SALU_CYCLE_1) | instskip(SKIP_2) | instid1(VALU_DEP_1)
	s_or_b32 exec_lo, exec_lo, s8
	v_dual_mov_b32 v17, 0 :: v_dual_and_b32 v16, 3, v12
	s_mov_b32 s0, exec_lo
	v_cmpx_ne_u64_e32 0, v[16:17]
	s_cbranch_execz .LBB113_200
; %bb.197:
	v_mul_lo_u32 v15, s7, v15
	s_mov_b32 s1, 0
	s_delay_alu instid0(VALU_DEP_1) | instskip(NEXT) | instid1(VALU_DEP_1)
	v_add3_u32 v2, v14, v15, v2
	v_subrev_nc_u32_e32 v2, s4, v2
	s_lshl_b32 s4, s7, 4
	s_delay_alu instid0(VALU_DEP_1)
	v_lshlrev_b32_e32 v2, 4, v2
.LBB113_198:                            ; =>This Inner Loop Header: Depth=1
	ds_load_b128 v[19:22], v2
	v_add_co_u32 v16, vcc_lo, v16, -1
	v_add_co_ci_u32_e32 v17, vcc_lo, -1, v17, vcc_lo
	v_add_nc_u32_e32 v2, s4, v2
	s_delay_alu instid0(VALU_DEP_2)
	v_cmp_eq_u64_e32 vcc_lo, 0, v[16:17]
	s_or_b32 s1, vcc_lo, s1
	s_waitcnt lgkmcnt(0)
	v_add_f64 v[3:4], v[3:4], v[19:20]
	v_add_f64 v[5:6], v[5:6], v[21:22]
	s_and_not1_b32 exec_lo, exec_lo, s1
	s_cbranch_execnz .LBB113_198
; %bb.199:
	s_or_b32 exec_lo, exec_lo, s1
.LBB113_200:
	s_delay_alu instid0(SALU_CYCLE_1)
	s_or_b32 exec_lo, exec_lo, s0
.LBB113_201:
	s_delay_alu instid0(SALU_CYCLE_1) | instskip(SKIP_2) | instid1(VALU_DEP_1)
	s_or_b32 exec_lo, exec_lo, s6
	v_mad_u64_u32 v[16:17], null, v12, s7, v[7:8]
	s_mov_b32 s0, exec_lo
	v_dual_mov_b32 v15, 0 :: v_dual_mov_b32 v2, v17
	s_delay_alu instid0(VALU_DEP_1) | instskip(NEXT) | instid1(VALU_DEP_1)
	v_mad_u64_u32 v[7:8], null, v13, s7, v[2:3]
	v_mov_b32_e32 v2, v7
	s_delay_alu instid0(VALU_DEP_4) | instskip(NEXT) | instid1(VALU_DEP_2)
	v_sub_co_u32 v7, vcc_lo, v9, v16
	v_sub_co_ci_u32_e32 v8, vcc_lo, v18, v2, vcc_lo
	s_delay_alu instid0(VALU_DEP_1)
	v_cmpx_gt_i64_e64 v[7:8], v[14:15]
	s_cbranch_execz .LBB113_203
; %bb.202:
	v_add_lshl_u32 v2, v14, v16, 4
	ds_load_b128 v[12:15], v2
	s_waitcnt lgkmcnt(0)
	v_add_f64 v[3:4], v[3:4], v[12:13]
	v_add_f64 v[5:6], v[5:6], v[14:15]
.LBB113_203:
	s_or_b32 exec_lo, exec_lo, s0
.LBB113_204:
	s_delay_alu instid0(SALU_CYCLE_1)
	s_or_b32 exec_lo, exec_lo, s5
	v_cmp_gt_i64_e32 vcc_lo, s[22:23], v[0:1]
	s_barrier
	buffer_gl0_inv
	ds_store_b128 v26, v[3:6]
	s_waitcnt lgkmcnt(0)
	s_barrier
	buffer_gl0_inv
	s_and_b32 exec_lo, exec_lo, vcc_lo
	s_cbranch_execz .LBB113_216
; %bb.205:
	v_mul_lo_u32 v1, s7, v0
	v_mov_b32_e32 v4, 0
	v_mov_b32_e32 v5, 0
	s_cmp_lt_u32 s7, 8
	s_cbranch_scc1 .LBB113_208
; %bb.206:
	v_mov_b32_e32 v8, 0
	s_delay_alu instid0(VALU_DEP_4) | instskip(NEXT) | instid1(VALU_DEP_2)
	v_dual_mov_b32 v9, 0 :: v_dual_lshlrev_b32 v2, 4, v1
	v_mov_b32_e32 v4, v8
	s_and_b32 s0, s7, 0x7ffffff8
	s_mov_b32 s1, 0
	s_delay_alu instid0(VALU_DEP_2)
	v_mov_b32_e32 v5, v9
.LBB113_207:                            ; =>This Inner Loop Header: Depth=1
	ds_load_b128 v[12:15], v2
	ds_load_b128 v[16:19], v2 offset:16
	s_add_i32 s1, s1, 8
	s_delay_alu instid0(SALU_CYCLE_1) | instskip(SKIP_4) | instid1(VALU_DEP_2)
	s_cmp_eq_u32 s0, s1
	s_waitcnt lgkmcnt(1)
	v_add_f64 v[3:4], v[4:5], v[12:13]
	v_add_f64 v[5:6], v[8:9], v[14:15]
	s_waitcnt lgkmcnt(0)
	v_add_f64 v[7:8], v[3:4], v[16:17]
	s_delay_alu instid0(VALU_DEP_2)
	v_add_f64 v[16:17], v[5:6], v[18:19]
	ds_load_b128 v[3:6], v2 offset:32
	ds_load_b128 v[12:15], v2 offset:48
	s_waitcnt lgkmcnt(1)
	v_add_f64 v[3:4], v[7:8], v[3:4]
	v_add_f64 v[5:6], v[16:17], v[5:6]
	s_waitcnt lgkmcnt(0)
	s_delay_alu instid0(VALU_DEP_2) | instskip(NEXT) | instid1(VALU_DEP_2)
	v_add_f64 v[7:8], v[3:4], v[12:13]
	v_add_f64 v[16:17], v[5:6], v[14:15]
	ds_load_b128 v[3:6], v2 offset:64
	ds_load_b128 v[12:15], v2 offset:80
	s_waitcnt lgkmcnt(1)
	v_add_f64 v[3:4], v[7:8], v[3:4]
	v_add_f64 v[5:6], v[16:17], v[5:6]
	s_waitcnt lgkmcnt(0)
	s_delay_alu instid0(VALU_DEP_2) | instskip(NEXT) | instid1(VALU_DEP_2)
	v_add_f64 v[7:8], v[3:4], v[12:13]
	v_add_f64 v[16:17], v[5:6], v[14:15]
	ds_load_b128 v[3:6], v2 offset:96
	ds_load_b128 v[12:15], v2 offset:112
	v_add_nc_u32_e32 v2, 0x80, v2
	s_waitcnt lgkmcnt(1)
	v_add_f64 v[3:4], v[7:8], v[3:4]
	v_add_f64 v[6:7], v[16:17], v[5:6]
	s_waitcnt lgkmcnt(0)
	s_delay_alu instid0(VALU_DEP_2) | instskip(NEXT) | instid1(VALU_DEP_2)
	v_add_f64 v[4:5], v[3:4], v[12:13]
	v_add_f64 v[8:9], v[6:7], v[14:15]
	s_cbranch_scc0 .LBB113_207
	s_branch .LBB113_209
.LBB113_208:
	s_delay_alu instid0(VALU_DEP_1)
	v_dual_mov_b32 v9, v5 :: v_dual_mov_b32 v8, v4
	s_mov_b32 s0, 0
.LBB113_209:
	s_bfe_u32 s1, s3, 0x30001
	s_delay_alu instid0(SALU_CYCLE_1)
	s_cmp_eq_u32 s1, 0
	s_cbranch_scc1 .LBB113_212
; %bb.210:
	v_add_lshl_u32 v1, s0, v1, 4
.LBB113_211:                            ; =>This Inner Loop Header: Depth=1
	ds_load_b128 v[12:15], v1
	v_add_nc_u32_e32 v1, 16, v1
	s_add_i32 s1, s1, -1
	s_delay_alu instid0(SALU_CYCLE_1)
	s_cmp_lg_u32 s1, 0
	s_waitcnt lgkmcnt(0)
	v_add_f64 v[4:5], v[4:5], v[12:13]
	v_add_f64 v[8:9], v[8:9], v[14:15]
	s_cbranch_scc1 .LBB113_211
.LBB113_212:
	v_lshlrev_b64 v[1:2], 4, v[10:11]
	v_lshlrev_b32_e32 v0, 4, v0
	s_lshl_b32 s0, s2, 4
	s_delay_alu instid0(VALU_DEP_1) | instid1(SALU_CYCLE_1)
	v_add3_u32 v0, 0x4000, s0, v0
	s_delay_alu instid0(VALU_DEP_3) | instskip(NEXT) | instid1(VALU_DEP_4)
	v_add_co_u32 v10, vcc_lo, s20, v1
	v_add_co_ci_u32_e32 v11, vcc_lo, s21, v2, vcc_lo
	ds_load_2addr_b64 v[0:3], v0 offset1:1
	s_mov_b32 s0, 0
	global_load_b64 v[6:7], v[10:11], off
	s_waitcnt lgkmcnt(0)
	v_add_f64 v[0:1], v[4:5], v[0:1]
.LBB113_213:                            ; =>This Inner Loop Header: Depth=1
	s_waitcnt vmcnt(0)
	s_delay_alu instid0(VALU_DEP_1)
	v_add_f64 v[4:5], v[6:7], v[0:1]
	global_atomic_cmpswap_b64 v[4:5], v[10:11], v[4:7], off glc
	s_waitcnt vmcnt(0)
	v_cmp_eq_u64_e32 vcc_lo, v[4:5], v[6:7]
	v_dual_mov_b32 v7, v5 :: v_dual_mov_b32 v6, v4
	s_or_b32 s0, vcc_lo, s0
	s_delay_alu instid0(SALU_CYCLE_1)
	s_and_not1_b32 exec_lo, exec_lo, s0
	s_cbranch_execnz .LBB113_213
; %bb.214:
	s_or_b32 exec_lo, exec_lo, s0
	global_load_b64 v[4:5], v[10:11], off offset:8
	v_add_f64 v[0:1], v[8:9], v[2:3]
	s_mov_b32 s0, 0
.LBB113_215:                            ; =>This Inner Loop Header: Depth=1
	s_waitcnt vmcnt(0)
	s_delay_alu instid0(VALU_DEP_1)
	v_add_f64 v[2:3], v[4:5], v[0:1]
	global_atomic_cmpswap_b64 v[2:3], v[10:11], v[2:5], off offset:8 glc
	s_waitcnt vmcnt(0)
	v_cmp_eq_u64_e32 vcc_lo, v[2:3], v[4:5]
	v_dual_mov_b32 v5, v3 :: v_dual_mov_b32 v4, v2
	s_or_b32 s0, vcc_lo, s0
	s_delay_alu instid0(SALU_CYCLE_1)
	s_and_not1_b32 exec_lo, exec_lo, s0
	s_cbranch_execnz .LBB113_215
.LBB113_216:
	s_endpgm
	.section	.rodata,"a",@progbits
	.p2align	6, 0x0
	.amdhsa_kernel _ZN9rocsparseL27csrmvn_symm_adaptive_kernelIli21rocsparse_complex_numIfES1_IdES3_S3_EEvbT_S4_PKS4_NS_24const_host_device_scalarIT4_EES6_PKT0_PKT1_PKT2_S9_PT3_21rocsparse_index_base_b
		.amdhsa_group_segment_fixed_size 16384
		.amdhsa_private_segment_fixed_size 24
		.amdhsa_kernarg_size 368
		.amdhsa_user_sgpr_count 15
		.amdhsa_user_sgpr_dispatch_ptr 0
		.amdhsa_user_sgpr_queue_ptr 0
		.amdhsa_user_sgpr_kernarg_segment_ptr 1
		.amdhsa_user_sgpr_dispatch_id 0
		.amdhsa_user_sgpr_private_segment_size 0
		.amdhsa_wavefront_size32 1
		.amdhsa_uses_dynamic_stack 0
		.amdhsa_enable_private_segment 1
		.amdhsa_system_sgpr_workgroup_id_x 1
		.amdhsa_system_sgpr_workgroup_id_y 0
		.amdhsa_system_sgpr_workgroup_id_z 0
		.amdhsa_system_sgpr_workgroup_info 0
		.amdhsa_system_vgpr_workitem_id 0
		.amdhsa_next_free_vgpr 45
		.amdhsa_next_free_sgpr 43
		.amdhsa_reserve_vcc 1
		.amdhsa_float_round_mode_32 0
		.amdhsa_float_round_mode_16_64 0
		.amdhsa_float_denorm_mode_32 3
		.amdhsa_float_denorm_mode_16_64 3
		.amdhsa_dx10_clamp 1
		.amdhsa_ieee_mode 1
		.amdhsa_fp16_overflow 0
		.amdhsa_workgroup_processor_mode 1
		.amdhsa_memory_ordered 1
		.amdhsa_forward_progress 0
		.amdhsa_shared_vgpr_count 0
		.amdhsa_exception_fp_ieee_invalid_op 0
		.amdhsa_exception_fp_denorm_src 0
		.amdhsa_exception_fp_ieee_div_zero 0
		.amdhsa_exception_fp_ieee_overflow 0
		.amdhsa_exception_fp_ieee_underflow 0
		.amdhsa_exception_fp_ieee_inexact 0
		.amdhsa_exception_int_div_zero 0
	.end_amdhsa_kernel
	.section	.text._ZN9rocsparseL27csrmvn_symm_adaptive_kernelIli21rocsparse_complex_numIfES1_IdES3_S3_EEvbT_S4_PKS4_NS_24const_host_device_scalarIT4_EES6_PKT0_PKT1_PKT2_S9_PT3_21rocsparse_index_base_b,"axG",@progbits,_ZN9rocsparseL27csrmvn_symm_adaptive_kernelIli21rocsparse_complex_numIfES1_IdES3_S3_EEvbT_S4_PKS4_NS_24const_host_device_scalarIT4_EES6_PKT0_PKT1_PKT2_S9_PT3_21rocsparse_index_base_b,comdat
.Lfunc_end113:
	.size	_ZN9rocsparseL27csrmvn_symm_adaptive_kernelIli21rocsparse_complex_numIfES1_IdES3_S3_EEvbT_S4_PKS4_NS_24const_host_device_scalarIT4_EES6_PKT0_PKT1_PKT2_S9_PT3_21rocsparse_index_base_b, .Lfunc_end113-_ZN9rocsparseL27csrmvn_symm_adaptive_kernelIli21rocsparse_complex_numIfES1_IdES3_S3_EEvbT_S4_PKS4_NS_24const_host_device_scalarIT4_EES6_PKT0_PKT1_PKT2_S9_PT3_21rocsparse_index_base_b
                                        ; -- End function
	.section	.AMDGPU.csdata,"",@progbits
; Kernel info:
; codeLenInByte = 12864
; NumSgprs: 45
; NumVgprs: 45
; ScratchSize: 24
; MemoryBound: 0
; FloatMode: 240
; IeeeMode: 1
; LDSByteSize: 16384 bytes/workgroup (compile time only)
; SGPRBlocks: 5
; VGPRBlocks: 5
; NumSGPRsForWavesPerEU: 45
; NumVGPRsForWavesPerEU: 45
; Occupancy: 16
; WaveLimiterHint : 1
; COMPUTE_PGM_RSRC2:SCRATCH_EN: 1
; COMPUTE_PGM_RSRC2:USER_SGPR: 15
; COMPUTE_PGM_RSRC2:TRAP_HANDLER: 0
; COMPUTE_PGM_RSRC2:TGID_X_EN: 1
; COMPUTE_PGM_RSRC2:TGID_Y_EN: 0
; COMPUTE_PGM_RSRC2:TGID_Z_EN: 0
; COMPUTE_PGM_RSRC2:TIDIG_COMP_CNT: 0
	.section	.text._ZL33csrmvn_symm_large_adaptive_kernelIli21rocsparse_complex_numIfES0_IdES2_S2_EvbT_PKS3_N9rocsparse24const_host_device_scalarIT4_EES5_PKT0_PKT1_PKT2_S9_PT3_21rocsparse_index_base_b,"axG",@progbits,_ZL33csrmvn_symm_large_adaptive_kernelIli21rocsparse_complex_numIfES0_IdES2_S2_EvbT_PKS3_N9rocsparse24const_host_device_scalarIT4_EES5_PKT0_PKT1_PKT2_S9_PT3_21rocsparse_index_base_b,comdat
	.globl	_ZL33csrmvn_symm_large_adaptive_kernelIli21rocsparse_complex_numIfES0_IdES2_S2_EvbT_PKS3_N9rocsparse24const_host_device_scalarIT4_EES5_PKT0_PKT1_PKT2_S9_PT3_21rocsparse_index_base_b ; -- Begin function _ZL33csrmvn_symm_large_adaptive_kernelIli21rocsparse_complex_numIfES0_IdES2_S2_EvbT_PKS3_N9rocsparse24const_host_device_scalarIT4_EES5_PKT0_PKT1_PKT2_S9_PT3_21rocsparse_index_base_b
	.p2align	8
	.type	_ZL33csrmvn_symm_large_adaptive_kernelIli21rocsparse_complex_numIfES0_IdES2_S2_EvbT_PKS3_N9rocsparse24const_host_device_scalarIT4_EES5_PKT0_PKT1_PKT2_S9_PT3_21rocsparse_index_base_b,@function
_ZL33csrmvn_symm_large_adaptive_kernelIli21rocsparse_complex_numIfES0_IdES2_S2_EvbT_PKS3_N9rocsparse24const_host_device_scalarIT4_EES5_PKT0_PKT1_PKT2_S9_PT3_21rocsparse_index_base_b: ; @_ZL33csrmvn_symm_large_adaptive_kernelIli21rocsparse_complex_numIfES0_IdES2_S2_EvbT_PKS3_N9rocsparse24const_host_device_scalarIT4_EES5_PKT0_PKT1_PKT2_S9_PT3_21rocsparse_index_base_b
; %bb.0:
	s_clause 0x2
	s_load_b64 s[20:21], s[0:1], 0x60
	s_load_b128 s[8:11], s[0:1], 0x18
	s_load_b128 s[4:7], s[0:1], 0x48
	s_mov_b64 s[2:3], src_private_base
	v_mov_b32_e32 v1, 0
	s_mov_b32 s12, s15
	s_waitcnt lgkmcnt(0)
	s_bitcmp1_b32 s21, 0
	v_dual_mov_b32 v3, s8 :: v_dual_mov_b32 v6, s5
	s_cselect_b32 s2, -1, 0
	v_mov_b32_e32 v4, s9
	s_and_b32 vcc_lo, s2, exec_lo
	s_cselect_b32 s13, s3, s9
	v_cndmask_b32_e64 v1, s8, v1, s2
	v_dual_mov_b32 v5, s4 :: v_dual_mov_b32 v2, s13
	s_clause 0x1
	scratch_store_b64 off, v[3:4], off
	scratch_store_b64 off, v[5:6], off offset:8
	v_dual_mov_b32 v10, s10 :: v_dual_mov_b32 v11, s11
	flat_load_b64 v[8:9], v[1:2]
	s_xor_b32 s10, s2, -1
	s_cbranch_vccnz .LBB114_2
; %bb.1:
	v_dual_mov_b32 v1, s8 :: v_dual_mov_b32 v2, s9
	flat_load_b64 v[10:11], v[1:2] offset:8
.LBB114_2:
	s_and_b32 s8, s2, exec_lo
	s_cselect_b32 s3, s3, s5
	s_delay_alu instid0(SALU_CYCLE_1) | instskip(SKIP_2) | instid1(VALU_DEP_2)
	v_dual_mov_b32 v1, 8 :: v_dual_mov_b32 v2, s3
	v_dual_mov_b32 v3, s6 :: v_dual_mov_b32 v4, s7
	s_and_not1_b32 vcc_lo, exec_lo, s10
	v_cndmask_b32_e64 v1, s4, v1, s2
	flat_load_b64 v[1:2], v[1:2]
	s_cbranch_vccnz .LBB114_4
; %bb.3:
	v_dual_mov_b32 v3, s4 :: v_dual_mov_b32 v4, s5
	flat_load_b64 v[3:4], v[3:4] offset:8
.LBB114_4:
	s_waitcnt vmcnt(1) lgkmcnt(1)
	v_cmp_eq_f64_e32 vcc_lo, 0, v[8:9]
	v_cmp_eq_f64_e64 s2, 0, v[10:11]
	s_delay_alu instid0(VALU_DEP_1)
	s_and_b32 s4, vcc_lo, s2
	s_mov_b32 s2, -1
	s_and_saveexec_b32 s3, s4
	s_cbranch_execz .LBB114_6
; %bb.5:
	s_waitcnt vmcnt(0) lgkmcnt(0)
	v_cmp_neq_f64_e32 vcc_lo, 1.0, v[1:2]
	v_cmp_neq_f64_e64 s2, 0, v[3:4]
	s_delay_alu instid0(VALU_DEP_1) | instskip(NEXT) | instid1(SALU_CYCLE_1)
	s_or_b32 s2, vcc_lo, s2
	s_or_not1_b32 s2, s2, exec_lo
.LBB114_6:
	s_or_b32 exec_lo, exec_lo, s3
	s_and_saveexec_b32 s3, s2
	s_cbranch_execz .LBB114_51
; %bb.7:
	s_clause 0x1
	s_load_b32 s8, s[0:1], 0x0
	s_load_b64 s[2:3], s[0:1], 0x10
	s_mov_b32 s4, 0
	s_delay_alu instid0(SALU_CYCLE_1)
	s_mov_b32 s5, s4
	s_mov_b32 s6, s4
	;; [unrolled: 1-line block ×3, first 2 shown]
	s_waitcnt vmcnt(0) lgkmcnt(0)
	v_dual_mov_b32 v1, s4 :: v_dual_lshlrev_b32 v14, 4, v0
	v_dual_mov_b32 v2, s5 :: v_dual_mov_b32 v3, s6
	v_mov_b32_e32 v4, s7
	ds_store_b128 v14, v[1:4]
	ds_store_b128 v14, v[1:4] offset:4096
	ds_store_b128 v14, v[1:4] offset:8192
	;; [unrolled: 1-line block ×3, first 2 shown]
	s_waitcnt lgkmcnt(0)
	s_waitcnt_vscnt null, 0x0
	s_barrier
	s_bitcmp1_b32 s8, 0
	buffer_gl0_inv
	s_cselect_b32 s21, -1, 0
	s_ashr_i32 s13, s12, 31
	s_delay_alu instid0(SALU_CYCLE_1) | instskip(NEXT) | instid1(SALU_CYCLE_1)
	s_lshl_b64 s[6:7], s[12:13], 3
	s_add_u32 s2, s2, s6
	s_addc_u32 s3, s3, s7
	s_load_b128 s[16:19], s[2:3], 0x0
	s_clause 0x1
	s_load_b64 s[6:7], s[0:1], 0x58
	s_load_b256 s[8:15], s[0:1], 0x28
	v_sub_co_u32 v15, s1, v0, s20
	s_delay_alu instid0(VALU_DEP_1) | instskip(SKIP_2) | instid1(VALU_DEP_1)
	v_sub_co_ci_u32_e64 v16, null, 0, 0, s1
	s_waitcnt lgkmcnt(0)
	v_cmp_lt_i64_e64 s0, s[16:17], s[18:19]
	s_and_b32 vcc_lo, exec_lo, s0
	s_cbranch_vccnz .LBB114_9
; %bb.8:
	s_lshl_b64 s[0:1], s[16:17], 3
	s_delay_alu instid0(SALU_CYCLE_1)
	s_add_u32 s0, s8, s0
	s_addc_u32 s1, s9, s1
	s_load_b64 s[22:23], s[0:1], 0x0
	s_and_not1_b32 vcc_lo, exec_lo, s4
	s_cbranch_vccz .LBB114_10
	s_branch .LBB114_39
.LBB114_9:
                                        ; implicit-def: $sgpr22_sgpr23
.LBB114_10:
	s_lshl_b64 s[0:1], s[16:17], 3
	v_cmp_gt_u32_e64 s2, 16, v0
	s_add_u32 s0, s8, s0
	s_addc_u32 s1, s9, s1
	v_cmp_gt_u32_e64 s3, 4, v0
	s_waitcnt lgkmcnt(0)
	s_load_b64 s[22:23], s[0:1], 0x0
	v_cmp_gt_u32_e64 s0, 0x100, v0
	v_cmp_gt_u32_e64 s1, 64, v0
	v_cmp_eq_u32_e64 s4, 0, v0
	v_mov_b32_e32 v17, 0
	s_add_u32 s30, s8, 8
	s_addc_u32 s31, s9, 0
	s_add_u32 s33, s12, 4
	s_addc_u32 s34, s13, 0
	s_mov_b64 s[24:25], s[16:17]
	s_waitcnt lgkmcnt(0)
	s_mov_b64 s[26:27], s[22:23]
	s_branch .LBB114_12
.LBB114_11:                             ;   in Loop: Header=BB114_12 Depth=1
	s_or_b32 exec_lo, exec_lo, s5
	s_add_u32 s24, s24, 1
	s_addc_u32 s25, s25, 0
	s_delay_alu instid0(SALU_CYCLE_1) | instskip(NEXT) | instid1(VALU_DEP_1)
	v_cmp_ge_i64_e64 s5, s[24:25], s[18:19]
	s_and_b32 vcc_lo, exec_lo, s5
	s_cbranch_vccnz .LBB114_39
.LBB114_12:                             ; =>This Loop Header: Depth=1
                                        ;     Child Loop BB114_14 Depth 2
                                        ;     Child Loop BB114_28 Depth 2
	;; [unrolled: 1-line block ×5, first 2 shown]
	s_lshl_b64 s[28:29], s[24:25], 3
	s_mov_b64 s[36:37], s[26:27]
	s_add_u32 s28, s30, s28
	s_addc_u32 s29, s31, s29
	v_mov_b32_e32 v2, 0
	s_load_b64 s[26:27], s[28:29], 0x0
	v_mov_b32_e32 v3, 0
	v_add_co_u32 v4, vcc_lo, s36, v15
	v_add_co_ci_u32_e32 v5, vcc_lo, s37, v16, vcc_lo
	s_delay_alu instid0(VALU_DEP_3) | instskip(SKIP_4) | instid1(SALU_CYCLE_1)
	v_dual_mov_b32 v0, v2 :: v_dual_mov_b32 v1, v3
	s_mov_b32 s35, exec_lo
	s_waitcnt lgkmcnt(0)
	s_sub_u32 s28, s26, s20
	s_subb_u32 s29, s27, 0
	v_cmpx_gt_i64_e64 s[28:29], v[4:5]
	s_cbranch_execz .LBB114_16
; %bb.13:                               ;   in Loop: Header=BB114_12 Depth=1
	v_lshlrev_b64 v[0:1], 2, v[4:5]
	v_lshlrev_b64 v[12:13], 3, v[4:5]
	v_mov_b32_e32 v2, 0
	v_mov_b32_e32 v3, 0
	s_mov_b32 s36, 0
	s_delay_alu instid0(VALU_DEP_4)
	v_add_co_u32 v6, vcc_lo, s10, v0
	v_add_co_ci_u32_e32 v7, vcc_lo, s11, v1, vcc_lo
	v_add_co_u32 v12, vcc_lo, s33, v12
	v_add_co_ci_u32_e32 v13, vcc_lo, s34, v13, vcc_lo
	v_dual_mov_b32 v0, v2 :: v_dual_mov_b32 v1, v3
	s_set_inst_prefetch_distance 0x1
	.p2align	6
.LBB114_14:                             ;   Parent Loop BB114_12 Depth=1
                                        ; =>  This Inner Loop Header: Depth=2
	global_load_b32 v18, v[6:7], off
	global_load_b64 v[22:23], v[12:13], off offset:-4
	v_add_co_u32 v12, s5, 0x800, v12
	s_delay_alu instid0(VALU_DEP_1)
	v_add_co_ci_u32_e64 v13, s5, 0, v13, s5
	s_waitcnt vmcnt(1)
	v_subrev_nc_u32_e32 v18, s20, v18
	s_waitcnt vmcnt(0)
	v_cndmask_b32_e64 v24, v23, -v23, s21
	v_cvt_f64_f32_e32 v[22:23], v22
	s_delay_alu instid0(VALU_DEP_3) | instskip(NEXT) | instid1(VALU_DEP_3)
	v_ashrrev_i32_e32 v19, 31, v18
	v_cvt_f64_f32_e32 v[24:25], v24
	s_delay_alu instid0(VALU_DEP_2) | instskip(NEXT) | instid1(VALU_DEP_1)
	v_lshlrev_b64 v[18:19], 4, v[18:19]
	v_add_co_u32 v18, vcc_lo, s14, v18
	s_delay_alu instid0(VALU_DEP_2)
	v_add_co_ci_u32_e32 v19, vcc_lo, s15, v19, vcc_lo
	v_add_co_u32 v4, vcc_lo, 0x100, v4
	v_add_co_ci_u32_e32 v5, vcc_lo, 0, v5, vcc_lo
	global_load_b128 v[18:21], v[18:19], off
	v_add_co_u32 v6, vcc_lo, 0x400, v6
	v_add_co_ci_u32_e32 v7, vcc_lo, 0, v7, vcc_lo
	v_cmp_le_i64_e32 vcc_lo, s[28:29], v[4:5]
	s_or_b32 s36, vcc_lo, s36
	s_waitcnt vmcnt(0)
	v_fma_f64 v[0:1], v[22:23], v[18:19], v[0:1]
	v_fma_f64 v[2:3], v[24:25], v[18:19], v[2:3]
	s_delay_alu instid0(VALU_DEP_2) | instskip(NEXT) | instid1(VALU_DEP_2)
	v_fma_f64 v[0:1], -v[24:25], v[20:21], v[0:1]
	v_fma_f64 v[2:3], v[22:23], v[20:21], v[2:3]
	s_and_not1_b32 exec_lo, exec_lo, s36
	s_cbranch_execnz .LBB114_14
; %bb.15:                               ;   in Loop: Header=BB114_12 Depth=1
	s_set_inst_prefetch_distance 0x2
	s_or_b32 exec_lo, exec_lo, s36
.LBB114_16:                             ;   in Loop: Header=BB114_12 Depth=1
	s_delay_alu instid0(SALU_CYCLE_1)
	s_or_b32 exec_lo, exec_lo, s35
	ds_store_b128 v14, v[0:3]
	s_waitcnt lgkmcnt(0)
	s_barrier
	buffer_gl0_inv
	s_and_saveexec_b32 s5, s0
	s_cbranch_execz .LBB114_18
; %bb.17:                               ;   in Loop: Header=BB114_12 Depth=1
	ds_load_b128 v[0:3], v14 offset:4096
	ds_load_b128 v[4:7], v14 offset:8192
	ds_load_b128 v[18:21], v14 offset:12288
	ds_load_b128 v[22:25], v14
	s_waitcnt lgkmcnt(2)
	v_add_f64 v[0:1], v[4:5], v[0:1]
	v_add_f64 v[2:3], v[6:7], v[2:3]
	s_waitcnt lgkmcnt(1)
	s_delay_alu instid0(VALU_DEP_2) | instskip(NEXT) | instid1(VALU_DEP_2)
	v_add_f64 v[0:1], v[0:1], v[18:19]
	v_add_f64 v[2:3], v[2:3], v[20:21]
	s_waitcnt lgkmcnt(0)
	s_delay_alu instid0(VALU_DEP_2) | instskip(NEXT) | instid1(VALU_DEP_2)
	v_add_f64 v[0:1], v[0:1], v[22:23]
	v_add_f64 v[2:3], v[2:3], v[24:25]
	ds_store_b128 v14, v[0:3]
.LBB114_18:                             ;   in Loop: Header=BB114_12 Depth=1
	s_or_b32 exec_lo, exec_lo, s5
	s_waitcnt lgkmcnt(0)
	s_barrier
	buffer_gl0_inv
	s_and_saveexec_b32 s5, s1
	s_cbranch_execz .LBB114_20
; %bb.19:                               ;   in Loop: Header=BB114_12 Depth=1
	ds_load_b128 v[0:3], v14 offset:1024
	ds_load_b128 v[4:7], v14 offset:2048
	ds_load_b128 v[18:21], v14 offset:3072
	ds_load_b128 v[22:25], v14
	s_waitcnt lgkmcnt(2)
	v_add_f64 v[0:1], v[4:5], v[0:1]
	v_add_f64 v[2:3], v[6:7], v[2:3]
	s_waitcnt lgkmcnt(1)
	s_delay_alu instid0(VALU_DEP_2) | instskip(NEXT) | instid1(VALU_DEP_2)
	v_add_f64 v[0:1], v[0:1], v[18:19]
	v_add_f64 v[2:3], v[2:3], v[20:21]
	s_waitcnt lgkmcnt(0)
	s_delay_alu instid0(VALU_DEP_2) | instskip(NEXT) | instid1(VALU_DEP_2)
	v_add_f64 v[0:1], v[0:1], v[22:23]
	v_add_f64 v[2:3], v[2:3], v[24:25]
	ds_store_b128 v14, v[0:3]
.LBB114_20:                             ;   in Loop: Header=BB114_12 Depth=1
	s_or_b32 exec_lo, exec_lo, s5
	;; [unrolled: 24-line block ×5, first 2 shown]
	s_waitcnt lgkmcnt(0)
	s_barrier
	buffer_gl0_inv
	s_and_saveexec_b32 s5, s4
	s_cbranch_execz .LBB114_11
; %bb.27:                               ;   in Loop: Header=BB114_12 Depth=1
	ds_load_b128 v[0:3], v17
	v_mov_b32_e32 v12, 0
	v_bfrev_b32_e32 v13, 1
	s_mov_b32 s28, exec_lo
	s_waitcnt lgkmcnt(0)
	v_mul_f64 v[4:5], v[2:3], -v[10:11]
	s_delay_alu instid0(VALU_DEP_1)
	v_fma_f64 v[4:5], v[8:9], v[0:1], v[4:5]
.LBB114_28:                             ;   Parent Loop BB114_12 Depth=1
                                        ; =>  This Inner Loop Header: Depth=2
	s_ctz_i32_b32 s29, s28
	s_delay_alu instid0(VALU_DEP_1) | instid1(SALU_CYCLE_1)
	v_readlane_b32 s37, v5, s29
	s_delay_alu instid0(VALU_DEP_2) | instskip(SKIP_1) | instid1(SALU_CYCLE_1)
	v_readlane_b32 s36, v4, s29
	s_lshl_b32 s29, 1, s29
	s_and_not1_b32 s28, s28, s29
	s_delay_alu instid0(VALU_DEP_1)
	v_add_f64 v[12:13], v[12:13], s[36:37]
	s_cmp_lg_u32 s28, 0
	s_cbranch_scc1 .LBB114_28
; %bb.29:                               ;   in Loop: Header=BB114_12 Depth=1
	v_mbcnt_lo_u32_b32 v4, exec_lo, 0
	s_lshl_b64 s[28:29], s[24:25], 4
	s_mov_b32 s35, exec_lo
	s_add_u32 s28, s6, s28
	s_addc_u32 s29, s7, s29
	v_cmpx_eq_u32_e32 0, v4
	s_xor_b32 s35, exec_lo, s35
	s_cbranch_execz .LBB114_33
; %bb.30:                               ;   in Loop: Header=BB114_12 Depth=1
	global_load_b64 v[6:7], v17, s[28:29]
	s_mov_b32 s36, 0
.LBB114_31:                             ;   Parent Loop BB114_12 Depth=1
                                        ; =>  This Inner Loop Header: Depth=2
	s_waitcnt vmcnt(0)
	v_add_f64 v[4:5], v[6:7], v[12:13]
	global_atomic_cmpswap_b64 v[4:5], v17, v[4:7], s[28:29] glc
	s_waitcnt vmcnt(0)
	v_cmp_eq_u64_e32 vcc_lo, v[4:5], v[6:7]
	v_dual_mov_b32 v7, v5 :: v_dual_mov_b32 v6, v4
	s_or_b32 s36, vcc_lo, s36
	s_delay_alu instid0(SALU_CYCLE_1)
	s_and_not1_b32 exec_lo, exec_lo, s36
	s_cbranch_execnz .LBB114_31
; %bb.32:                               ;   in Loop: Header=BB114_12 Depth=1
	s_or_b32 exec_lo, exec_lo, s36
.LBB114_33:                             ;   in Loop: Header=BB114_12 Depth=1
	s_delay_alu instid0(SALU_CYCLE_1) | instskip(SKIP_4) | instid1(VALU_DEP_3)
	s_or_b32 exec_lo, exec_lo, s35
	v_mul_f64 v[2:3], v[8:9], v[2:3]
	v_mov_b32_e32 v4, 0
	v_bfrev_b32_e32 v5, 1
	s_mov_b32 s35, exec_lo
	v_fma_f64 v[0:1], v[10:11], v[0:1], v[2:3]
.LBB114_34:                             ;   Parent Loop BB114_12 Depth=1
                                        ; =>  This Inner Loop Header: Depth=2
	s_ctz_i32_b32 s38, s35
	s_delay_alu instid0(VALU_DEP_1) | instid1(SALU_CYCLE_1)
	v_readlane_b32 s37, v1, s38
	s_delay_alu instid0(VALU_DEP_2) | instskip(NEXT) | instid1(VALU_DEP_1)
	v_readlane_b32 s36, v0, s38
	v_add_f64 v[4:5], v[4:5], s[36:37]
	s_lshl_b32 s36, 1, s38
	s_delay_alu instid0(SALU_CYCLE_1) | instskip(NEXT) | instid1(SALU_CYCLE_1)
	s_and_not1_b32 s35, s35, s36
	s_cmp_lg_u32 s35, 0
	s_cbranch_scc1 .LBB114_34
; %bb.35:                               ;   in Loop: Header=BB114_12 Depth=1
	v_mbcnt_lo_u32_b32 v0, exec_lo, 0
	s_mov_b32 s35, exec_lo
	s_delay_alu instid0(VALU_DEP_1)
	v_cmpx_eq_u32_e32 0, v0
	s_xor_b32 s35, exec_lo, s35
	s_cbranch_execz .LBB114_11
; %bb.36:                               ;   in Loop: Header=BB114_12 Depth=1
	global_load_b64 v[2:3], v17, s[28:29] offset:8
	s_mov_b32 s35, 0
.LBB114_37:                             ;   Parent Loop BB114_12 Depth=1
                                        ; =>  This Inner Loop Header: Depth=2
	s_waitcnt vmcnt(0)
	v_add_f64 v[0:1], v[2:3], v[4:5]
	global_atomic_cmpswap_b64 v[0:1], v17, v[0:3], s[28:29] offset:8 glc
	s_waitcnt vmcnt(0)
	v_cmp_eq_u64_e32 vcc_lo, v[0:1], v[2:3]
	v_dual_mov_b32 v3, v1 :: v_dual_mov_b32 v2, v0
	s_or_b32 s35, vcc_lo, s35
	s_delay_alu instid0(SALU_CYCLE_1)
	s_and_not1_b32 exec_lo, exec_lo, s35
	s_cbranch_execnz .LBB114_37
; %bb.38:                               ;   in Loop: Header=BB114_12 Depth=1
	s_or_b32 exec_lo, exec_lo, s35
	s_branch .LBB114_11
.LBB114_39:
	s_lshl_b64 s[0:1], s[18:19], 3
	s_waitcnt lgkmcnt(0)
	v_add_co_u32 v12, vcc_lo, s22, v15
	s_add_u32 s0, s8, s0
	s_addc_u32 s1, s9, s1
	v_add_co_ci_u32_e32 v13, vcc_lo, s23, v16, vcc_lo
	s_load_b64 s[0:1], s[0:1], 0x0
	s_waitcnt lgkmcnt(0)
	s_sub_u32 s2, s0, s20
	s_subb_u32 s3, s1, 0
	s_delay_alu instid0(SALU_CYCLE_1)
	v_cmp_gt_i64_e32 vcc_lo, s[2:3], v[12:13]
	s_and_b32 exec_lo, exec_lo, vcc_lo
	s_cbranch_execz .LBB114_51
; %bb.40:
	s_add_u32 s4, s18, -1
	s_addc_u32 s5, s19, -1
	s_add_u32 s0, s18, -2
	v_cmp_gt_i64_e64 s18, s[4:5], s[16:17]
	s_addc_u32 s1, s19, -1
	s_delay_alu instid0(SALU_CYCLE_1)
	s_cmp_lg_u64 s[0:1], s[16:17]
	s_cselect_b32 s0, -1, 0
	s_delay_alu instid0(VALU_DEP_1) | instid1(SALU_CYCLE_1)
	s_and_b32 s1, s18, s0
	s_mov_b32 s18, 0
	s_branch .LBB114_42
.LBB114_41:                             ;   in Loop: Header=BB114_42 Depth=1
	s_or_b32 exec_lo, exec_lo, s0
	v_add_co_u32 v12, vcc_lo, 0x100, v12
	v_add_co_ci_u32_e32 v13, vcc_lo, 0, v13, vcc_lo
	s_delay_alu instid0(VALU_DEP_1) | instskip(SKIP_1) | instid1(SALU_CYCLE_1)
	v_cmp_le_i64_e32 vcc_lo, s[2:3], v[12:13]
	s_or_b32 s18, vcc_lo, s18
	s_and_not1_b32 exec_lo, exec_lo, s18
	s_cbranch_execz .LBB114_51
.LBB114_42:                             ; =>This Loop Header: Depth=1
                                        ;     Child Loop BB114_44 Depth 2
                                        ;     Child Loop BB114_48 Depth 2
	;; [unrolled: 1-line block ×3, first 2 shown]
	v_dual_mov_b32 v0, s16 :: v_dual_mov_b32 v1, s17
	v_dual_mov_b32 v2, s4 :: v_dual_mov_b32 v3, s5
	s_and_not1_b32 vcc_lo, exec_lo, s1
	s_cbranch_vccnz .LBB114_46
; %bb.43:                               ;   in Loop: Header=BB114_42 Depth=1
	v_dual_mov_b32 v0, s16 :: v_dual_mov_b32 v1, s17
	v_dual_mov_b32 v2, s4 :: v_dual_mov_b32 v3, s5
	s_mov_b32 s19, 0
	s_set_inst_prefetch_distance 0x1
	.p2align	6
.LBB114_44:                             ;   Parent Loop BB114_42 Depth=1
                                        ; =>  This Inner Loop Header: Depth=2
	s_delay_alu instid0(VALU_DEP_1) | instskip(NEXT) | instid1(VALU_DEP_2)
	v_add_co_u32 v4, vcc_lo, v2, v0
	v_add_co_ci_u32_e32 v5, vcc_lo, v3, v1, vcc_lo
	s_delay_alu instid0(VALU_DEP_1) | instskip(NEXT) | instid1(VALU_DEP_1)
	v_lshrrev_b32_e32 v6, 31, v5
	v_add_co_u32 v4, vcc_lo, v4, v6
	v_add_co_ci_u32_e32 v5, vcc_lo, 0, v5, vcc_lo
	s_delay_alu instid0(VALU_DEP_1) | instskip(NEXT) | instid1(VALU_DEP_1)
	v_ashrrev_i64 v[4:5], 1, v[4:5]
	v_lshlrev_b64 v[6:7], 3, v[4:5]
	s_delay_alu instid0(VALU_DEP_1) | instskip(NEXT) | instid1(VALU_DEP_2)
	v_add_co_u32 v6, vcc_lo, s8, v6
	v_add_co_ci_u32_e32 v7, vcc_lo, s9, v7, vcc_lo
	global_load_b64 v[6:7], v[6:7], off
	s_waitcnt vmcnt(0)
	v_sub_co_u32 v6, vcc_lo, v6, s20
	v_subrev_co_ci_u32_e32 v7, vcc_lo, 0, v7, vcc_lo
	s_delay_alu instid0(VALU_DEP_1) | instskip(SKIP_2) | instid1(VALU_DEP_2)
	v_cmp_gt_i64_e32 vcc_lo, v[6:7], v[12:13]
	v_dual_cndmask_b32 v3, v3, v5 :: v_dual_cndmask_b32 v2, v2, v4
	v_dual_cndmask_b32 v1, v5, v1 :: v_dual_cndmask_b32 v0, v4, v0
	v_add_co_u32 v4, vcc_lo, v2, -1
	s_delay_alu instid0(VALU_DEP_3) | instskip(NEXT) | instid1(VALU_DEP_3)
	v_add_co_ci_u32_e32 v5, vcc_lo, -1, v3, vcc_lo
	v_cmp_ge_i64_e32 vcc_lo, v[0:1], v[2:3]
	s_delay_alu instid0(VALU_DEP_2) | instskip(NEXT) | instid1(VALU_DEP_1)
	v_cmp_eq_u64_e64 s0, v[0:1], v[4:5]
	s_or_b32 s0, vcc_lo, s0
	s_delay_alu instid0(SALU_CYCLE_1) | instskip(NEXT) | instid1(SALU_CYCLE_1)
	s_and_b32 s0, exec_lo, s0
	s_or_b32 s19, s0, s19
	s_delay_alu instid0(SALU_CYCLE_1)
	s_and_not1_b32 exec_lo, exec_lo, s19
	s_cbranch_execnz .LBB114_44
; %bb.45:                               ;   in Loop: Header=BB114_42 Depth=1
	s_set_inst_prefetch_distance 0x2
	s_or_b32 exec_lo, exec_lo, s19
.LBB114_46:                             ;   in Loop: Header=BB114_42 Depth=1
	s_delay_alu instid0(VALU_DEP_1) | instskip(SKIP_2) | instid1(VALU_DEP_2)
	v_lshlrev_b64 v[4:5], 3, v[2:3]
	v_lshlrev_b64 v[6:7], 2, v[12:13]
	s_mov_b32 s0, exec_lo
	v_add_co_u32 v4, vcc_lo, s8, v4
	s_delay_alu instid0(VALU_DEP_3) | instskip(NEXT) | instid1(VALU_DEP_3)
	v_add_co_ci_u32_e32 v5, vcc_lo, s9, v5, vcc_lo
	v_add_co_u32 v6, vcc_lo, s10, v6
	s_delay_alu instid0(VALU_DEP_4)
	v_add_co_ci_u32_e32 v7, vcc_lo, s11, v7, vcc_lo
	global_load_b64 v[4:5], v[4:5], off
	global_load_b32 v6, v[6:7], off
	s_waitcnt vmcnt(1)
	v_sub_co_u32 v4, vcc_lo, v4, s20
	v_subrev_co_ci_u32_e32 v5, vcc_lo, 0, v5, vcc_lo
	s_delay_alu instid0(VALU_DEP_1) | instskip(SKIP_2) | instid1(VALU_DEP_1)
	v_cmp_gt_i64_e32 vcc_lo, v[4:5], v[12:13]
	s_waitcnt vmcnt(0)
	v_subrev_nc_u32_e32 v4, s20, v6
	v_ashrrev_i32_e32 v5, 31, v4
	v_dual_cndmask_b32 v1, v3, v1 :: v_dual_cndmask_b32 v0, v2, v0
	s_delay_alu instid0(VALU_DEP_1)
	v_cmpx_ne_u64_e64 v[0:1], v[4:5]
	s_cbranch_execz .LBB114_41
; %bb.47:                               ;   in Loop: Header=BB114_42 Depth=1
	v_lshlrev_b64 v[2:3], 3, v[12:13]
	v_lshlrev_b64 v[0:1], 4, v[0:1]
	;; [unrolled: 1-line block ×3, first 2 shown]
	s_mov_b32 s19, 0
	s_delay_alu instid0(VALU_DEP_3) | instskip(NEXT) | instid1(VALU_DEP_4)
	v_add_co_u32 v2, vcc_lo, s12, v2
	v_add_co_ci_u32_e32 v3, vcc_lo, s13, v3, vcc_lo
	s_delay_alu instid0(VALU_DEP_4)
	v_add_co_u32 v0, vcc_lo, s14, v0
	v_add_co_ci_u32_e32 v1, vcc_lo, s15, v1, vcc_lo
	global_load_b64 v[16:17], v[2:3], off
	v_add_co_u32 v14, vcc_lo, s6, v4
	global_load_b128 v[0:3], v[0:1], off
	v_add_co_ci_u32_e32 v15, vcc_lo, s7, v5, vcc_lo
	global_load_b64 v[6:7], v[14:15], off
	s_waitcnt vmcnt(2)
	v_cndmask_b32_e64 v4, v17, -v17, s21
	v_cvt_f64_f32_e32 v[18:19], v16
	s_delay_alu instid0(VALU_DEP_2) | instskip(NEXT) | instid1(VALU_DEP_1)
	v_cvt_f64_f32_e32 v[4:5], v4
	v_mul_f64 v[16:17], v[8:9], v[4:5]
	v_mul_f64 v[4:5], -v[10:11], v[4:5]
	s_delay_alu instid0(VALU_DEP_2) | instskip(NEXT) | instid1(VALU_DEP_2)
	v_fma_f64 v[16:17], v[10:11], v[18:19], v[16:17]
	v_fma_f64 v[18:19], v[8:9], v[18:19], v[4:5]
	s_waitcnt vmcnt(1)
	s_delay_alu instid0(VALU_DEP_2) | instskip(NEXT) | instid1(VALU_DEP_1)
	v_mul_f64 v[4:5], v[2:3], -v[16:17]
	v_fma_f64 v[20:21], v[18:19], v[0:1], v[4:5]
.LBB114_48:                             ;   Parent Loop BB114_42 Depth=1
                                        ; =>  This Inner Loop Header: Depth=2
	s_waitcnt vmcnt(0)
	s_delay_alu instid0(VALU_DEP_1)
	v_add_f64 v[4:5], v[6:7], v[20:21]
	global_atomic_cmpswap_b64 v[4:5], v[14:15], v[4:7], off glc
	s_waitcnt vmcnt(0)
	v_cmp_eq_u64_e32 vcc_lo, v[4:5], v[6:7]
	v_dual_mov_b32 v7, v5 :: v_dual_mov_b32 v6, v4
	s_or_b32 s19, vcc_lo, s19
	s_delay_alu instid0(SALU_CYCLE_1)
	s_and_not1_b32 exec_lo, exec_lo, s19
	s_cbranch_execnz .LBB114_48
; %bb.49:                               ;   in Loop: Header=BB114_42 Depth=1
	s_or_b32 exec_lo, exec_lo, s19
	global_load_b64 v[4:5], v[14:15], off offset:8
	v_mul_f64 v[2:3], v[2:3], v[18:19]
	s_mov_b32 s19, 0
	s_delay_alu instid0(VALU_DEP_1)
	v_fma_f64 v[0:1], v[16:17], v[0:1], v[2:3]
.LBB114_50:                             ;   Parent Loop BB114_42 Depth=1
                                        ; =>  This Inner Loop Header: Depth=2
	s_waitcnt vmcnt(0)
	s_delay_alu instid0(VALU_DEP_1)
	v_add_f64 v[2:3], v[4:5], v[0:1]
	global_atomic_cmpswap_b64 v[2:3], v[14:15], v[2:5], off offset:8 glc
	s_waitcnt vmcnt(0)
	v_cmp_eq_u64_e32 vcc_lo, v[2:3], v[4:5]
	v_dual_mov_b32 v5, v3 :: v_dual_mov_b32 v4, v2
	s_or_b32 s19, vcc_lo, s19
	s_delay_alu instid0(SALU_CYCLE_1)
	s_and_not1_b32 exec_lo, exec_lo, s19
	s_cbranch_execnz .LBB114_50
	s_branch .LBB114_41
.LBB114_51:
	s_endpgm
	.section	.rodata,"a",@progbits
	.p2align	6, 0x0
	.amdhsa_kernel _ZL33csrmvn_symm_large_adaptive_kernelIli21rocsparse_complex_numIfES0_IdES2_S2_EvbT_PKS3_N9rocsparse24const_host_device_scalarIT4_EES5_PKT0_PKT1_PKT2_S9_PT3_21rocsparse_index_base_b
		.amdhsa_group_segment_fixed_size 16384
		.amdhsa_private_segment_fixed_size 24
		.amdhsa_kernarg_size 104
		.amdhsa_user_sgpr_count 15
		.amdhsa_user_sgpr_dispatch_ptr 0
		.amdhsa_user_sgpr_queue_ptr 0
		.amdhsa_user_sgpr_kernarg_segment_ptr 1
		.amdhsa_user_sgpr_dispatch_id 0
		.amdhsa_user_sgpr_private_segment_size 0
		.amdhsa_wavefront_size32 1
		.amdhsa_uses_dynamic_stack 0
		.amdhsa_enable_private_segment 1
		.amdhsa_system_sgpr_workgroup_id_x 1
		.amdhsa_system_sgpr_workgroup_id_y 0
		.amdhsa_system_sgpr_workgroup_id_z 0
		.amdhsa_system_sgpr_workgroup_info 0
		.amdhsa_system_vgpr_workitem_id 0
		.amdhsa_next_free_vgpr 26
		.amdhsa_next_free_sgpr 39
		.amdhsa_reserve_vcc 1
		.amdhsa_float_round_mode_32 0
		.amdhsa_float_round_mode_16_64 0
		.amdhsa_float_denorm_mode_32 3
		.amdhsa_float_denorm_mode_16_64 3
		.amdhsa_dx10_clamp 1
		.amdhsa_ieee_mode 1
		.amdhsa_fp16_overflow 0
		.amdhsa_workgroup_processor_mode 1
		.amdhsa_memory_ordered 1
		.amdhsa_forward_progress 0
		.amdhsa_shared_vgpr_count 0
		.amdhsa_exception_fp_ieee_invalid_op 0
		.amdhsa_exception_fp_denorm_src 0
		.amdhsa_exception_fp_ieee_div_zero 0
		.amdhsa_exception_fp_ieee_overflow 0
		.amdhsa_exception_fp_ieee_underflow 0
		.amdhsa_exception_fp_ieee_inexact 0
		.amdhsa_exception_int_div_zero 0
	.end_amdhsa_kernel
	.section	.text._ZL33csrmvn_symm_large_adaptive_kernelIli21rocsparse_complex_numIfES0_IdES2_S2_EvbT_PKS3_N9rocsparse24const_host_device_scalarIT4_EES5_PKT0_PKT1_PKT2_S9_PT3_21rocsparse_index_base_b,"axG",@progbits,_ZL33csrmvn_symm_large_adaptive_kernelIli21rocsparse_complex_numIfES0_IdES2_S2_EvbT_PKS3_N9rocsparse24const_host_device_scalarIT4_EES5_PKT0_PKT1_PKT2_S9_PT3_21rocsparse_index_base_b,comdat
.Lfunc_end114:
	.size	_ZL33csrmvn_symm_large_adaptive_kernelIli21rocsparse_complex_numIfES0_IdES2_S2_EvbT_PKS3_N9rocsparse24const_host_device_scalarIT4_EES5_PKT0_PKT1_PKT2_S9_PT3_21rocsparse_index_base_b, .Lfunc_end114-_ZL33csrmvn_symm_large_adaptive_kernelIli21rocsparse_complex_numIfES0_IdES2_S2_EvbT_PKS3_N9rocsparse24const_host_device_scalarIT4_EES5_PKT0_PKT1_PKT2_S9_PT3_21rocsparse_index_base_b
                                        ; -- End function
	.section	.AMDGPU.csdata,"",@progbits
; Kernel info:
; codeLenInByte = 3012
; NumSgprs: 41
; NumVgprs: 26
; ScratchSize: 24
; MemoryBound: 0
; FloatMode: 240
; IeeeMode: 1
; LDSByteSize: 16384 bytes/workgroup (compile time only)
; SGPRBlocks: 5
; VGPRBlocks: 3
; NumSGPRsForWavesPerEU: 41
; NumVGPRsForWavesPerEU: 26
; Occupancy: 16
; WaveLimiterHint : 1
; COMPUTE_PGM_RSRC2:SCRATCH_EN: 1
; COMPUTE_PGM_RSRC2:USER_SGPR: 15
; COMPUTE_PGM_RSRC2:TRAP_HANDLER: 0
; COMPUTE_PGM_RSRC2:TGID_X_EN: 1
; COMPUTE_PGM_RSRC2:TGID_Y_EN: 0
; COMPUTE_PGM_RSRC2:TGID_Z_EN: 0
; COMPUTE_PGM_RSRC2:TIDIG_COMP_CNT: 0
	.section	.text._ZN9rocsparseL22csrmvn_adaptive_kernelIll21rocsparse_complex_numIfES1_IdES3_S3_EEvbT_PKS4_PjPKT0_NS_24const_host_device_scalarIT4_EES6_SA_PKT1_PKT2_SD_PT3_21rocsparse_index_base_b,"axG",@progbits,_ZN9rocsparseL22csrmvn_adaptive_kernelIll21rocsparse_complex_numIfES1_IdES3_S3_EEvbT_PKS4_PjPKT0_NS_24const_host_device_scalarIT4_EES6_SA_PKT1_PKT2_SD_PT3_21rocsparse_index_base_b,comdat
	.globl	_ZN9rocsparseL22csrmvn_adaptive_kernelIll21rocsparse_complex_numIfES1_IdES3_S3_EEvbT_PKS4_PjPKT0_NS_24const_host_device_scalarIT4_EES6_SA_PKT1_PKT2_SD_PT3_21rocsparse_index_base_b ; -- Begin function _ZN9rocsparseL22csrmvn_adaptive_kernelIll21rocsparse_complex_numIfES1_IdES3_S3_EEvbT_PKS4_PjPKT0_NS_24const_host_device_scalarIT4_EES6_SA_PKT1_PKT2_SD_PT3_21rocsparse_index_base_b
	.p2align	8
	.type	_ZN9rocsparseL22csrmvn_adaptive_kernelIll21rocsparse_complex_numIfES1_IdES3_S3_EEvbT_PKS4_PjPKT0_NS_24const_host_device_scalarIT4_EES6_SA_PKT1_PKT2_SD_PT3_21rocsparse_index_base_b,@function
_ZN9rocsparseL22csrmvn_adaptive_kernelIll21rocsparse_complex_numIfES1_IdES3_S3_EEvbT_PKS4_PjPKT0_NS_24const_host_device_scalarIT4_EES6_SA_PKT1_PKT2_SD_PT3_21rocsparse_index_base_b: ; @_ZN9rocsparseL22csrmvn_adaptive_kernelIll21rocsparse_complex_numIfES1_IdES3_S3_EEvbT_PKS4_PjPKT0_NS_24const_host_device_scalarIT4_EES6_SA_PKT1_PKT2_SD_PT3_21rocsparse_index_base_b
; %bb.0:
	s_clause 0x2
	s_load_b64 s[34:35], s[0:1], 0x70
	s_load_b128 s[8:11], s[0:1], 0x28
	s_load_b128 s[4:7], s[0:1], 0x58
	s_mov_b64 s[2:3], src_private_base
	v_mov_b32_e32 v1, 0
	s_mov_b32 s36, s15
	s_waitcnt lgkmcnt(0)
	s_bitcmp1_b32 s35, 0
	v_dual_mov_b32 v3, s8 :: v_dual_mov_b32 v6, s5
	s_cselect_b32 s2, -1, 0
	v_mov_b32_e32 v4, s9
	s_and_b32 vcc_lo, s2, exec_lo
	s_cselect_b32 s12, s3, s9
	v_cndmask_b32_e64 v1, s8, v1, s2
	v_dual_mov_b32 v5, s4 :: v_dual_mov_b32 v2, s12
	s_clause 0x1
	scratch_store_b64 off, v[3:4], off
	scratch_store_b64 off, v[5:6], off offset:8
	v_dual_mov_b32 v16, s11 :: v_dual_mov_b32 v15, s10
	flat_load_b64 v[13:14], v[1:2]
	s_xor_b32 s10, s2, -1
	s_cbranch_vccnz .LBB115_2
; %bb.1:
	v_dual_mov_b32 v1, s8 :: v_dual_mov_b32 v2, s9
	flat_load_b64 v[15:16], v[1:2] offset:8
.LBB115_2:
	s_and_b32 s8, s2, exec_lo
	s_cselect_b32 s3, s3, s5
	s_delay_alu instid0(SALU_CYCLE_1) | instskip(SKIP_2) | instid1(VALU_DEP_2)
	v_dual_mov_b32 v1, 8 :: v_dual_mov_b32 v2, s3
	v_dual_mov_b32 v12, s7 :: v_dual_mov_b32 v11, s6
	s_and_not1_b32 vcc_lo, exec_lo, s10
	v_cndmask_b32_e64 v1, s4, v1, s2
	flat_load_b64 v[9:10], v[1:2]
	s_cbranch_vccnz .LBB115_4
; %bb.3:
	v_dual_mov_b32 v1, s4 :: v_dual_mov_b32 v2, s5
	flat_load_b64 v[11:12], v[1:2] offset:8
.LBB115_4:
	s_waitcnt vmcnt(1) lgkmcnt(1)
	v_cmp_eq_f64_e32 vcc_lo, 0, v[13:14]
	v_cmp_eq_f64_e64 s2, 0, v[15:16]
	s_delay_alu instid0(VALU_DEP_1)
	s_and_b32 s4, vcc_lo, s2
	s_mov_b32 s2, -1
	s_and_saveexec_b32 s3, s4
	s_cbranch_execz .LBB115_6
; %bb.5:
	s_waitcnt vmcnt(0) lgkmcnt(0)
	v_cmp_neq_f64_e32 vcc_lo, 1.0, v[9:10]
	v_cmp_neq_f64_e64 s2, 0, v[11:12]
	s_delay_alu instid0(VALU_DEP_1) | instskip(NEXT) | instid1(SALU_CYCLE_1)
	s_or_b32 s2, vcc_lo, s2
	s_or_not1_b32 s2, s2, exec_lo
.LBB115_6:
	s_or_b32 exec_lo, exec_lo, s3
	s_and_saveexec_b32 s3, s2
	s_cbranch_execz .LBB115_121
; %bb.7:
	s_clause 0x3
	s_load_b64 s[4:5], s[0:1], 0x20
	s_load_b32 s6, s[0:1], 0x0
	s_load_b64 s[2:3], s[0:1], 0x10
	s_load_b64 s[24:25], s[0:1], 0x68
	s_waitcnt lgkmcnt(0)
	s_bitcmp1_b32 s6, 0
	s_cselect_b32 s33, -1, 0
	s_ashr_i32 s37, s36, 31
	s_delay_alu instid0(SALU_CYCLE_1) | instskip(NEXT) | instid1(SALU_CYCLE_1)
	s_lshl_b64 s[6:7], s[36:37], 3
	s_add_u32 s2, s2, s6
	s_addc_u32 s3, s3, s7
	s_load_b128 s[20:23], s[2:3], 0x0
	s_load_b256 s[12:19], s[0:1], 0x38
	s_waitcnt lgkmcnt(0)
	s_sub_u32 s2, s22, s20
	s_subb_u32 s3, s23, s21
	s_add_u32 s4, s4, s6
	s_addc_u32 s5, s5, s7
	s_lshl_b64 s[6:7], s[20:21], 3
	s_delay_alu instid0(SALU_CYCLE_1) | instskip(SKIP_4) | instid1(VALU_DEP_1)
	s_add_u32 s30, s12, s6
	s_addc_u32 s31, s13, s7
	s_load_b64 s[26:27], s[4:5], 0x0
	s_load_b64 s[28:29], s[30:31], 0x0
	v_cmp_lt_i64_e64 s4, s[2:3], 2
	s_and_b32 vcc_lo, exec_lo, s4
	s_mov_b32 s4, -1
	s_cbranch_vccz .LBB115_77
; %bb.8:
	s_cmp_lg_u64 s[2:3], 1
	s_cselect_b32 s2, -1, 0
	s_waitcnt lgkmcnt(0)
	s_cmp_lg_u64 s[26:27], 0
	s_cselect_b32 s3, -1, 0
	s_delay_alu instid0(SALU_CYCLE_1) | instskip(NEXT) | instid1(SALU_CYCLE_1)
	s_or_b32 s2, s2, s3
	s_and_b32 vcc_lo, exec_lo, s2
	s_mov_b32 s2, -1
	s_cbranch_vccnz .LBB115_37
; %bb.9:
	v_cmp_le_i64_e64 s2, s[22:23], s[20:21]
	s_delay_alu instid0(VALU_DEP_1)
	s_and_b32 vcc_lo, exec_lo, s2
	s_cbranch_vccnz .LBB115_36
; %bb.10:
	s_waitcnt vmcnt(0)
	v_cmp_neq_f64_e32 vcc_lo, 0, v[9:10]
	v_cmp_neq_f64_e64 s10, 0, v[11:12]
	v_sub_co_u32 v19, s2, v0, s34
	s_delay_alu instid0(VALU_DEP_1)
	v_sub_co_ci_u32_e64 v20, null, 0, 0, s2
	v_dual_mov_b32 v22, 0 :: v_dual_lshlrev_b32 v21, 4, v0
	v_cmp_gt_u32_e64 s2, 0x80, v0
	v_cmp_gt_u32_e64 s3, 64, v0
	v_cmp_gt_u32_e64 s4, 32, v0
	v_cmp_gt_u32_e64 s5, 16, v0
	v_cmp_gt_u32_e64 s6, 8, v0
	v_cmp_gt_u32_e64 s7, 4, v0
	v_cmp_gt_u32_e64 s8, 2, v0
	v_cmp_eq_u32_e64 s9, 0, v0
	s_mov_b64 s[38:39], s[28:29]
	s_mov_b64 s[40:41], s[20:21]
	s_or_b32 s11, vcc_lo, s10
	s_add_u32 s35, s12, 8
	s_addc_u32 s44, s13, 0
	s_add_u32 s45, s16, 4
	s_addc_u32 s46, s17, 0
	s_branch .LBB115_13
.LBB115_11:                             ;   in Loop: Header=BB115_13 Depth=1
	s_or_b32 exec_lo, exec_lo, s42
	s_lshl_b64 s[42:43], s[40:41], 4
	s_delay_alu instid0(SALU_CYCLE_1)
	s_add_u32 s42, s24, s42
	s_addc_u32 s43, s25, s43
	s_waitcnt lgkmcnt(0)
	global_store_b128 v22, v[1:4], s[42:43]
.LBB115_12:                             ;   in Loop: Header=BB115_13 Depth=1
	s_or_b32 exec_lo, exec_lo, s10
	s_add_u32 s40, s40, 1
	s_addc_u32 s41, s41, 0
	s_delay_alu instid0(SALU_CYCLE_1) | instskip(NEXT) | instid1(VALU_DEP_1)
	v_cmp_ge_i64_e64 s10, s[40:41], s[22:23]
	s_and_b32 vcc_lo, exec_lo, s10
	s_cbranch_vccnz .LBB115_36
.LBB115_13:                             ; =>This Loop Header: Depth=1
                                        ;     Child Loop BB115_15 Depth 2
	s_lshl_b64 s[42:43], s[40:41], 3
	s_mov_b64 s[48:49], s[38:39]
	s_add_u32 s42, s35, s42
	s_addc_u32 s43, s44, s43
	v_mov_b32_e32 v3, 0
	s_load_b64 s[38:39], s[42:43], 0x0
	v_mov_b32_e32 v4, 0
	v_add_co_u32 v5, vcc_lo, s48, v19
	v_add_co_ci_u32_e32 v6, vcc_lo, s49, v20, vcc_lo
	s_delay_alu instid0(VALU_DEP_3) | instskip(SKIP_4) | instid1(SALU_CYCLE_1)
	v_dual_mov_b32 v1, v3 :: v_dual_mov_b32 v2, v4
	s_mov_b32 s47, exec_lo
	s_waitcnt lgkmcnt(0)
	s_sub_u32 s42, s38, s34
	s_subb_u32 s43, s39, 0
	v_cmpx_gt_i64_e64 s[42:43], v[5:6]
	s_cbranch_execz .LBB115_17
; %bb.14:                               ;   in Loop: Header=BB115_13 Depth=1
	v_lshlrev_b64 v[1:2], 3, v[5:6]
	v_mov_b32_e32 v3, 0
	v_mov_b32_e32 v4, 0
	s_mov_b32 s48, 0
	s_delay_alu instid0(VALU_DEP_3) | instskip(NEXT) | instid1(VALU_DEP_4)
	v_add_co_u32 v7, vcc_lo, s45, v1
	v_add_co_ci_u32_e32 v8, vcc_lo, s46, v2, vcc_lo
	v_add_co_u32 v17, vcc_lo, s14, v1
	v_add_co_ci_u32_e32 v18, vcc_lo, s15, v2, vcc_lo
	v_dual_mov_b32 v1, v3 :: v_dual_mov_b32 v2, v4
.LBB115_15:                             ;   Parent Loop BB115_13 Depth=1
                                        ; =>  This Inner Loop Header: Depth=2
	global_load_b64 v[23:24], v[17:18], off
	global_load_b64 v[27:28], v[7:8], off offset:-4
	v_add_co_u32 v17, s10, 0x800, v17
	s_delay_alu instid0(VALU_DEP_1)
	v_add_co_ci_u32_e64 v18, s10, 0, v18, s10
	s_waitcnt vmcnt(1)
	v_sub_co_u32 v23, vcc_lo, v23, s34
	v_subrev_co_ci_u32_e32 v24, vcc_lo, 0, v24, vcc_lo
	s_waitcnt vmcnt(0)
	v_cndmask_b32_e64 v28, v28, -v28, s33
	v_cvt_f64_f32_e32 v[30:31], v27
	s_delay_alu instid0(VALU_DEP_3) | instskip(NEXT) | instid1(VALU_DEP_3)
	v_lshlrev_b64 v[23:24], 4, v[23:24]
	v_cvt_f64_f32_e32 v[28:29], v28
	s_delay_alu instid0(VALU_DEP_2) | instskip(NEXT) | instid1(VALU_DEP_3)
	v_add_co_u32 v23, vcc_lo, s18, v23
	v_add_co_ci_u32_e32 v24, vcc_lo, s19, v24, vcc_lo
	v_add_co_u32 v5, vcc_lo, 0x100, v5
	v_add_co_ci_u32_e32 v6, vcc_lo, 0, v6, vcc_lo
	global_load_b128 v[23:26], v[23:24], off
	v_add_co_u32 v7, vcc_lo, 0x800, v7
	v_add_co_ci_u32_e32 v8, vcc_lo, 0, v8, vcc_lo
	v_cmp_le_i64_e32 vcc_lo, s[42:43], v[5:6]
	s_or_b32 s48, vcc_lo, s48
	v_mul_f64 v[32:33], -v[15:16], v[28:29]
	v_mul_f64 v[27:28], v[13:14], v[28:29]
	s_delay_alu instid0(VALU_DEP_2) | instskip(NEXT) | instid1(VALU_DEP_2)
	v_fma_f64 v[32:33], v[13:14], v[30:31], v[32:33]
	v_fma_f64 v[27:28], v[15:16], v[30:31], v[27:28]
	s_waitcnt vmcnt(0)
	s_delay_alu instid0(VALU_DEP_2) | instskip(NEXT) | instid1(VALU_DEP_2)
	v_fma_f64 v[1:2], v[32:33], v[23:24], v[1:2]
	v_fma_f64 v[3:4], v[27:28], v[23:24], v[3:4]
	s_delay_alu instid0(VALU_DEP_2) | instskip(NEXT) | instid1(VALU_DEP_2)
	v_fma_f64 v[1:2], -v[27:28], v[25:26], v[1:2]
	v_fma_f64 v[3:4], v[32:33], v[25:26], v[3:4]
	s_and_not1_b32 exec_lo, exec_lo, s48
	s_cbranch_execnz .LBB115_15
; %bb.16:                               ;   in Loop: Header=BB115_13 Depth=1
	s_or_b32 exec_lo, exec_lo, s48
.LBB115_17:                             ;   in Loop: Header=BB115_13 Depth=1
	s_delay_alu instid0(SALU_CYCLE_1)
	s_or_b32 exec_lo, exec_lo, s47
	ds_store_b128 v21, v[1:4]
	s_waitcnt lgkmcnt(0)
	s_waitcnt_vscnt null, 0x0
	s_barrier
	buffer_gl0_inv
	s_and_saveexec_b32 s10, s2
	s_cbranch_execz .LBB115_19
; %bb.18:                               ;   in Loop: Header=BB115_13 Depth=1
	ds_load_b128 v[1:4], v21 offset:2048
	ds_load_b128 v[5:8], v21
	s_waitcnt lgkmcnt(0)
	v_add_f64 v[1:2], v[1:2], v[5:6]
	v_add_f64 v[3:4], v[3:4], v[7:8]
	ds_store_b128 v21, v[1:4]
.LBB115_19:                             ;   in Loop: Header=BB115_13 Depth=1
	s_or_b32 exec_lo, exec_lo, s10
	s_waitcnt lgkmcnt(0)
	s_barrier
	buffer_gl0_inv
	s_and_saveexec_b32 s10, s3
	s_cbranch_execz .LBB115_21
; %bb.20:                               ;   in Loop: Header=BB115_13 Depth=1
	ds_load_b128 v[1:4], v21 offset:1024
	ds_load_b128 v[5:8], v21
	s_waitcnt lgkmcnt(0)
	v_add_f64 v[1:2], v[1:2], v[5:6]
	v_add_f64 v[3:4], v[3:4], v[7:8]
	ds_store_b128 v21, v[1:4]
.LBB115_21:                             ;   in Loop: Header=BB115_13 Depth=1
	s_or_b32 exec_lo, exec_lo, s10
	s_waitcnt lgkmcnt(0)
	;; [unrolled: 14-line block ×6, first 2 shown]
	s_barrier
	buffer_gl0_inv
	s_and_saveexec_b32 s10, s8
	s_cbranch_execz .LBB115_31
; %bb.30:                               ;   in Loop: Header=BB115_13 Depth=1
	ds_load_b128 v[1:4], v21
	ds_load_b128 v[5:8], v21 offset:32
	s_waitcnt lgkmcnt(0)
	v_add_f64 v[1:2], v[5:6], v[1:2]
	v_add_f64 v[3:4], v[7:8], v[3:4]
	ds_store_b128 v21, v[1:4]
.LBB115_31:                             ;   in Loop: Header=BB115_13 Depth=1
	s_or_b32 exec_lo, exec_lo, s10
	s_waitcnt lgkmcnt(0)
	s_barrier
	buffer_gl0_inv
	s_and_saveexec_b32 s10, s9
	s_cbranch_execz .LBB115_33
; %bb.32:                               ;   in Loop: Header=BB115_13 Depth=1
	ds_load_b128 v[1:4], v22
	ds_load_b128 v[5:8], v22 offset:16
	s_waitcnt lgkmcnt(0)
	v_add_f64 v[1:2], v[5:6], v[1:2]
	v_add_f64 v[3:4], v[7:8], v[3:4]
	ds_store_b128 v22, v[1:4]
.LBB115_33:                             ;   in Loop: Header=BB115_13 Depth=1
	s_or_b32 exec_lo, exec_lo, s10
	s_waitcnt lgkmcnt(0)
	s_barrier
	buffer_gl0_inv
	s_and_saveexec_b32 s10, s9
	s_cbranch_execz .LBB115_12
; %bb.34:                               ;   in Loop: Header=BB115_13 Depth=1
	ds_load_b128 v[1:4], v22
	s_and_saveexec_b32 s42, s11
	s_cbranch_execz .LBB115_11
; %bb.35:                               ;   in Loop: Header=BB115_13 Depth=1
	s_lshl_b64 s[48:49], s[40:41], 4
	s_delay_alu instid0(SALU_CYCLE_1)
	s_add_u32 s48, s24, s48
	s_addc_u32 s49, s25, s49
	global_load_b128 v[5:8], v22, s[48:49]
	s_waitcnt vmcnt(0) lgkmcnt(0)
	v_fma_f64 v[1:2], v[9:10], v[5:6], v[1:2]
	v_fma_f64 v[3:4], v[11:12], v[5:6], v[3:4]
	s_delay_alu instid0(VALU_DEP_2) | instskip(NEXT) | instid1(VALU_DEP_2)
	v_fma_f64 v[1:2], -v[11:12], v[7:8], v[1:2]
	v_fma_f64 v[3:4], v[9:10], v[7:8], v[3:4]
	s_branch .LBB115_11
.LBB115_36:
	s_mov_b32 s2, 0
.LBB115_37:
	s_delay_alu instid0(SALU_CYCLE_1)
	s_and_not1_b32 vcc_lo, exec_lo, s2
	s_cbranch_vccnz .LBB115_76
; %bb.38:
	s_load_b64 s[6:7], s[0:1], 0x18
	s_sub_u32 s8, s36, s26
	s_subb_u32 s9, s37, s27
	s_lshl_b64 s[2:3], s[36:37], 2
	v_mov_b32_e32 v1, 0
	v_mov_b32_e32 v2, 0
	v_cmp_eq_u32_e32 vcc_lo, 0, v0
	s_delay_alu instid0(VALU_DEP_2)
	v_dual_mov_b32 v4, v2 :: v_dual_mov_b32 v3, v1
	s_waitcnt lgkmcnt(0)
	s_add_u32 s4, s6, s2
	s_addc_u32 s5, s7, s3
	s_cmp_eq_u64 s[26:27], 0
	s_load_b32 s35, s[4:5], 0x0
	s_cselect_b32 s2, -1, 0
	s_cmp_lg_u64 s[26:27], 0
	s_cselect_b32 s36, -1, 0
	s_and_b32 s2, vcc_lo, s2
	s_delay_alu instid0(SALU_CYCLE_1)
	s_and_saveexec_b32 s3, s2
	s_cbranch_execz .LBB115_42
; %bb.39:
	s_lshl_b64 s[38:39], s[20:21], 4
	v_mov_b32_e32 v17, 0
	s_add_u32 s38, s24, s38
	s_addc_u32 s39, s25, s39
	s_waitcnt vmcnt(0)
	v_add_f64 v[1:2], v[9:10], -1.0
	s_mov_b32 s10, exec_lo
	global_load_b128 v[3:6], v17, s[38:39]
	v_mbcnt_lo_u32_b32 v18, s10, 0
	s_mov_b32 s11, exec_lo
	s_waitcnt vmcnt(0) expcnt(0) lgkmcnt(0)
	s_waitcnt_vscnt null, 0x0
	v_mul_f64 v[7:8], v[5:6], -v[11:12]
	v_mul_f64 v[5:6], v[1:2], v[5:6]
	v_cmpx_eq_u32_e32 0, v18
	s_cbranch_execz .LBB115_41
; %bb.40:
	s_lshl_b64 s[38:39], s[8:9], 2
	s_delay_alu instid0(SALU_CYCLE_1) | instskip(SKIP_2) | instid1(SALU_CYCLE_1)
	s_add_u32 s38, s6, s38
	s_addc_u32 s39, s7, s39
	s_bcnt1_i32_b32 s2, s10
	s_and_b32 s2, s2, 1
	s_delay_alu instid0(SALU_CYCLE_1)
	v_mov_b32_e32 v18, s2
	global_atomic_xor_b32 v17, v18, s[38:39]
.LBB115_41:
	s_or_b32 exec_lo, exec_lo, s11
	s_delay_alu instid0(VALU_DEP_3) | instskip(NEXT) | instid1(VALU_DEP_3)
	v_fma_f64 v[1:2], v[1:2], v[3:4], v[7:8]
	v_fma_f64 v[3:4], v[11:12], v[3:4], v[5:6]
.LBB115_42:
	s_or_b32 exec_lo, exec_lo, s3
	s_load_b64 s[10:11], s[30:31], 0x8
	s_mul_i32 s2, s27, 0xc00
	s_mul_hi_u32 s3, s26, 0xc00
	s_delay_alu instid0(SALU_CYCLE_1)
	s_add_i32 s3, s3, s2
	s_mul_i32 s2, s26, 0xc00
	s_sub_u32 s37, s28, s34
	s_subb_u32 s39, s29, 0
	s_add_u32 s38, s37, s2
	s_addc_u32 s3, s39, s3
	v_add_co_u32 v5, s2, s38, v0
	s_delay_alu instid0(VALU_DEP_1) | instskip(SKIP_4) | instid1(SALU_CYCLE_1)
	v_add_co_ci_u32_e64 v6, null, s3, 0, s2
	s_mov_b32 s37, exec_lo
	s_waitcnt lgkmcnt(0)
	s_sub_u32 s10, s10, s34
	s_subb_u32 s11, s11, 0
	v_cmpx_gt_i64_e64 s[10:11], v[5:6]
	s_cbranch_execz .LBB115_46
; %bb.43:
	v_lshlrev_b64 v[17:18], 3, v[5:6]
	s_add_u32 s38, s38, 0xc00
	s_addc_u32 s39, s3, 0
	s_delay_alu instid0(SALU_CYCLE_1) | instskip(NEXT) | instid1(VALU_DEP_2)
	v_cmp_lt_i64_e64 s3, s[38:39], s[10:11]
	v_add_co_u32 v7, s2, v17, s16
	s_delay_alu instid0(VALU_DEP_1) | instskip(NEXT) | instid1(VALU_DEP_3)
	v_add_co_ci_u32_e64 v8, s2, s17, v18, s2
	s_and_b32 s2, s3, exec_lo
	s_delay_alu instid0(VALU_DEP_2) | instskip(NEXT) | instid1(VALU_DEP_1)
	v_add_co_u32 v7, s2, v7, 4
	v_add_co_ci_u32_e64 v8, s2, 0, v8, s2
	v_add_co_u32 v17, s2, s14, v17
	s_delay_alu instid0(VALU_DEP_1)
	v_add_co_ci_u32_e64 v18, s2, s15, v18, s2
	s_cselect_b32 s11, s39, s11
	s_cselect_b32 s10, s38, s10
	s_mov_b32 s38, 0
.LBB115_44:                             ; =>This Inner Loop Header: Depth=1
	global_load_b64 v[19:20], v[17:18], off
	global_load_b64 v[23:24], v[7:8], off offset:-4
	v_add_co_u32 v17, s3, 0x800, v17
	s_delay_alu instid0(VALU_DEP_1) | instskip(SKIP_2) | instid1(VALU_DEP_1)
	v_add_co_ci_u32_e64 v18, s3, 0, v18, s3
	s_waitcnt vmcnt(1)
	v_sub_co_u32 v19, s2, v19, s34
	v_subrev_co_ci_u32_e64 v20, s2, 0, v20, s2
	s_waitcnt vmcnt(0)
	v_cndmask_b32_e64 v24, v24, -v24, s33
	v_cvt_f64_f32_e32 v[26:27], v23
	s_delay_alu instid0(VALU_DEP_3) | instskip(NEXT) | instid1(VALU_DEP_3)
	v_lshlrev_b64 v[19:20], 4, v[19:20]
	v_cvt_f64_f32_e32 v[24:25], v24
	s_delay_alu instid0(VALU_DEP_2) | instskip(NEXT) | instid1(VALU_DEP_1)
	v_add_co_u32 v19, s2, s18, v19
	v_add_co_ci_u32_e64 v20, s2, s19, v20, s2
	v_add_co_u32 v5, s2, 0x100, v5
	s_delay_alu instid0(VALU_DEP_1) | instskip(SKIP_2) | instid1(VALU_DEP_1)
	v_add_co_ci_u32_e64 v6, s2, 0, v6, s2
	global_load_b128 v[19:22], v[19:20], off
	v_add_co_u32 v7, s2, 0x800, v7
	v_add_co_ci_u32_e64 v8, s2, 0, v8, s2
	v_cmp_le_i64_e64 s2, s[10:11], v[5:6]
	s_delay_alu instid0(VALU_DEP_1) | instskip(SKIP_2) | instid1(VALU_DEP_2)
	s_or_b32 s38, s2, s38
	v_mul_f64 v[28:29], -v[15:16], v[24:25]
	v_mul_f64 v[23:24], v[13:14], v[24:25]
	v_fma_f64 v[28:29], v[13:14], v[26:27], v[28:29]
	s_delay_alu instid0(VALU_DEP_2) | instskip(SKIP_1) | instid1(VALU_DEP_2)
	v_fma_f64 v[23:24], v[15:16], v[26:27], v[23:24]
	s_waitcnt vmcnt(0)
	v_fma_f64 v[1:2], v[28:29], v[19:20], v[1:2]
	s_delay_alu instid0(VALU_DEP_2) | instskip(NEXT) | instid1(VALU_DEP_2)
	v_fma_f64 v[3:4], v[23:24], v[19:20], v[3:4]
	v_fma_f64 v[1:2], -v[23:24], v[21:22], v[1:2]
	s_delay_alu instid0(VALU_DEP_2)
	v_fma_f64 v[3:4], v[28:29], v[21:22], v[3:4]
	s_and_not1_b32 exec_lo, exec_lo, s38
	s_cbranch_execnz .LBB115_44
; %bb.45:
	s_or_b32 exec_lo, exec_lo, s38
.LBB115_46:
	s_delay_alu instid0(SALU_CYCLE_1)
	s_or_b32 exec_lo, exec_lo, s37
	v_lshlrev_b32_e32 v5, 4, v0
	s_mov_b32 s3, exec_lo
	ds_store_b128 v5, v[1:4]
	s_waitcnt vmcnt(0) lgkmcnt(0)
	s_waitcnt_vscnt null, 0x0
	s_barrier
	buffer_gl0_inv
	v_cmpx_gt_u32_e32 0x80, v0
	s_cbranch_execz .LBB115_48
; %bb.47:
	ds_load_b128 v[1:4], v5 offset:2048
	ds_load_b128 v[17:20], v5
	s_waitcnt lgkmcnt(0)
	v_add_f64 v[1:2], v[1:2], v[17:18]
	v_add_f64 v[3:4], v[3:4], v[19:20]
	ds_store_b128 v5, v[1:4]
.LBB115_48:
	s_or_b32 exec_lo, exec_lo, s3
	s_delay_alu instid0(SALU_CYCLE_1)
	s_mov_b32 s3, exec_lo
	s_waitcnt lgkmcnt(0)
	s_barrier
	buffer_gl0_inv
	v_cmpx_gt_u32_e32 64, v0
	s_cbranch_execz .LBB115_50
; %bb.49:
	ds_load_b128 v[1:4], v5 offset:1024
	ds_load_b128 v[17:20], v5
	s_waitcnt lgkmcnt(0)
	v_add_f64 v[1:2], v[1:2], v[17:18]
	v_add_f64 v[3:4], v[3:4], v[19:20]
	ds_store_b128 v5, v[1:4]
.LBB115_50:
	s_or_b32 exec_lo, exec_lo, s3
	s_delay_alu instid0(SALU_CYCLE_1)
	s_mov_b32 s3, exec_lo
	s_waitcnt lgkmcnt(0)
	;; [unrolled: 16-line block ×6, first 2 shown]
	s_barrier
	buffer_gl0_inv
	v_cmpx_gt_u32_e32 2, v0
	s_cbranch_execz .LBB115_60
; %bb.59:
	ds_load_b128 v[1:4], v5
	ds_load_b128 v[17:20], v5 offset:32
	s_waitcnt lgkmcnt(0)
	v_add_f64 v[1:2], v[17:18], v[1:2]
	v_add_f64 v[3:4], v[19:20], v[3:4]
	ds_store_b128 v5, v[1:4]
.LBB115_60:
	s_or_b32 exec_lo, exec_lo, s3
	s_waitcnt lgkmcnt(0)
	s_barrier
	buffer_gl0_inv
	s_and_saveexec_b32 s2, vcc_lo
	s_cbranch_execz .LBB115_62
; %bb.61:
	v_mov_b32_e32 v17, 0
	ds_load_b128 v[1:4], v17
	ds_load_b128 v[5:8], v17 offset:16
	s_waitcnt lgkmcnt(0)
	v_add_f64 v[1:2], v[5:6], v[1:2]
	v_add_f64 v[3:4], v[7:8], v[3:4]
	ds_store_b128 v17, v[1:4]
.LBB115_62:
	s_or_b32 exec_lo, exec_lo, s2
	s_waitcnt lgkmcnt(0)
	s_barrier
	buffer_gl0_inv
	s_and_saveexec_b32 s10, vcc_lo
	s_cbranch_execz .LBB115_75
; %bb.63:
	s_and_not1_b32 vcc_lo, exec_lo, s36
	s_cbranch_vccnz .LBB115_69
; %bb.64:
	s_lshl_b64 s[2:3], s[8:9], 2
	v_mov_b32_e32 v1, 0
	s_add_u32 s2, s6, s2
	s_addc_u32 s3, s7, s3
	s_branch .LBB115_66
.LBB115_65:                             ;   in Loop: Header=BB115_66 Depth=1
	s_or_b32 exec_lo, exec_lo, s6
	s_waitcnt vmcnt(0)
	v_readfirstlane_b32 s6, v2
	s_delay_alu instid0(VALU_DEP_1)
	s_cmp_eq_u32 s6, s35
	s_cbranch_scc0 .LBB115_68
.LBB115_66:                             ; =>This Inner Loop Header: Depth=1
	v_mbcnt_lo_u32_b32 v2, exec_lo, 0
	s_delay_alu instid0(VALU_DEP_1)
	v_cmp_eq_u32_e32 vcc_lo, 0, v2
                                        ; implicit-def: $vgpr2
	s_and_saveexec_b32 s6, vcc_lo
	s_cbranch_execz .LBB115_65
; %bb.67:                               ;   in Loop: Header=BB115_66 Depth=1
	global_load_b32 v2, v1, s[2:3] glc
	s_branch .LBB115_65
.LBB115_68:
	v_mov_b32_e32 v1, 0
	global_load_b32 v2, v1, s[4:5]
	s_waitcnt vmcnt(0)
	v_xor_b32_e32 v2, 1, v2
	global_store_b32 v1, v2, s[4:5]
.LBB115_69:
	v_mov_b32_e32 v17, 0
	s_mov_b32 s6, exec_lo
	s_lshl_b64 s[2:3], s[20:21], 4
	v_mbcnt_lo_u32_b32 v5, s6, 0
	s_add_u32 s2, s24, s2
	ds_load_b128 v[1:4], v17
	s_addc_u32 s3, s25, s3
	s_mov_b32 s5, 0
	s_mov_b32 s4, exec_lo
	v_cmpx_eq_u32_e32 0, v5
	s_cbranch_execz .LBB115_72
; %bb.70:
	global_load_b64 v[7:8], v17, s[2:3]
	s_bcnt1_i32_b32 s6, s6
	s_delay_alu instid0(SALU_CYCLE_1) | instskip(SKIP_1) | instid1(VALU_DEP_1)
	v_cvt_f64_u32_e32 v[5:6], s6
	s_waitcnt lgkmcnt(0)
	v_mul_f64 v[1:2], v[1:2], v[5:6]
.LBB115_71:                             ; =>This Inner Loop Header: Depth=1
	s_waitcnt vmcnt(0)
	s_delay_alu instid0(VALU_DEP_1)
	v_add_f64 v[5:6], v[7:8], v[1:2]
	global_atomic_cmpswap_b64 v[5:6], v17, v[5:8], s[2:3] glc
	s_waitcnt vmcnt(0)
	v_cmp_eq_u64_e32 vcc_lo, v[5:6], v[7:8]
	v_dual_mov_b32 v8, v6 :: v_dual_mov_b32 v7, v5
	s_or_b32 s5, vcc_lo, s5
	s_delay_alu instid0(SALU_CYCLE_1)
	s_and_not1_b32 exec_lo, exec_lo, s5
	s_cbranch_execnz .LBB115_71
.LBB115_72:
	s_or_b32 exec_lo, exec_lo, s4
	s_delay_alu instid0(SALU_CYCLE_1) | instskip(SKIP_3) | instid1(VALU_DEP_1)
	s_mov_b32 s5, exec_lo
	s_mov_b32 s4, 0
	s_waitcnt lgkmcnt(0)
	v_mbcnt_lo_u32_b32 v1, s5, 0
	v_cmp_eq_u32_e32 vcc_lo, 0, v1
	s_and_b32 s6, exec_lo, vcc_lo
	s_delay_alu instid0(SALU_CYCLE_1)
	s_mov_b32 exec_lo, s6
	s_cbranch_execz .LBB115_75
; %bb.73:
	v_mov_b32_e32 v7, 0
	s_bcnt1_i32_b32 s5, s5
	s_delay_alu instid0(SALU_CYCLE_1)
	v_cvt_f64_u32_e32 v[1:2], s5
	global_load_b64 v[5:6], v7, s[2:3] offset:8
	v_mul_f64 v[1:2], v[3:4], v[1:2]
.LBB115_74:                             ; =>This Inner Loop Header: Depth=1
	s_waitcnt vmcnt(0)
	s_delay_alu instid0(VALU_DEP_1)
	v_add_f64 v[3:4], v[5:6], v[1:2]
	global_atomic_cmpswap_b64 v[3:4], v7, v[3:6], s[2:3] offset:8 glc
	s_waitcnt vmcnt(0)
	v_cmp_eq_u64_e32 vcc_lo, v[3:4], v[5:6]
	v_dual_mov_b32 v6, v4 :: v_dual_mov_b32 v5, v3
	s_or_b32 s4, vcc_lo, s4
	s_delay_alu instid0(SALU_CYCLE_1)
	s_and_not1_b32 exec_lo, exec_lo, s4
	s_cbranch_execnz .LBB115_74
.LBB115_75:
	s_or_b32 exec_lo, exec_lo, s10
.LBB115_76:
	s_mov_b32 s4, 0
.LBB115_77:
	s_delay_alu instid0(SALU_CYCLE_1)
	s_and_not1_b32 vcc_lo, exec_lo, s4
	s_cbranch_vccnz .LBB115_121
; %bb.78:
	s_load_b64 s[0:1], s[0:1], 0x8
	v_sub_co_u32 v1, s2, v0, s34
	s_delay_alu instid0(VALU_DEP_1) | instskip(SKIP_1) | instid1(VALU_DEP_2)
	v_sub_co_ci_u32_e64 v2, null, 0, 0, s2
	s_waitcnt lgkmcnt(0)
	v_add_co_u32 v1, vcc_lo, s28, v1
	s_delay_alu instid0(VALU_DEP_2) | instskip(NEXT) | instid1(VALU_DEP_2)
	v_add_co_ci_u32_e32 v2, vcc_lo, s29, v2, vcc_lo
	v_add_co_u32 v3, vcc_lo, 0x300, v1
	s_delay_alu instid0(VALU_DEP_2) | instskip(NEXT) | instid1(VALU_DEP_1)
	v_add_co_ci_u32_e32 v4, vcc_lo, 0, v2, vcc_lo
	v_cmp_le_i64_e32 vcc_lo, s[0:1], v[3:4]
	s_and_saveexec_b32 s0, vcc_lo
	s_delay_alu instid0(SALU_CYCLE_1)
	s_xor_b32 s1, exec_lo, s0
	s_cbranch_execz .LBB115_83
; %bb.79:
	s_lshl_b64 s[2:3], s[22:23], 3
	s_mov_b32 s4, exec_lo
	s_add_u32 s2, s12, s2
	s_addc_u32 s3, s13, s3
	s_load_b64 s[2:3], s[2:3], 0x0
	s_waitcnt lgkmcnt(0)
	s_sub_u32 s2, s2, s34
	s_subb_u32 s3, s3, 0
	s_delay_alu instid0(SALU_CYCLE_1)
	v_cmpx_gt_i64_e64 s[2:3], v[1:2]
	s_cbranch_execz .LBB115_82
; %bb.80:
	v_lshlrev_b64 v[3:4], 3, v[1:2]
	v_lshlrev_b32_e32 v7, 4, v0
	s_mov_b32 s5, 0
	s_delay_alu instid0(VALU_DEP_2) | instskip(NEXT) | instid1(VALU_DEP_3)
	v_add_co_u32 v5, vcc_lo, v3, s16
	v_add_co_ci_u32_e32 v6, vcc_lo, s17, v4, vcc_lo
	v_add_co_u32 v3, vcc_lo, s14, v3
	v_add_co_ci_u32_e32 v4, vcc_lo, s15, v4, vcc_lo
	s_delay_alu instid0(VALU_DEP_4) | instskip(NEXT) | instid1(VALU_DEP_4)
	v_add_co_u32 v5, vcc_lo, v5, 4
	v_add_co_ci_u32_e32 v6, vcc_lo, 0, v6, vcc_lo
.LBB115_81:                             ; =>This Inner Loop Header: Depth=1
	global_load_b64 v[17:18], v[3:4], off
	global_load_b64 v[21:22], v[5:6], off offset:-4
	s_waitcnt vmcnt(1)
	v_sub_co_u32 v17, vcc_lo, v17, s34
	v_subrev_co_ci_u32_e32 v18, vcc_lo, 0, v18, vcc_lo
	s_waitcnt vmcnt(0)
	v_cndmask_b32_e64 v8, v22, -v22, s33
	v_cvt_f64_f32_e32 v[24:25], v21
	s_delay_alu instid0(VALU_DEP_3) | instskip(NEXT) | instid1(VALU_DEP_3)
	v_lshlrev_b64 v[17:18], 4, v[17:18]
	v_cvt_f64_f32_e32 v[22:23], v8
	s_delay_alu instid0(VALU_DEP_2) | instskip(NEXT) | instid1(VALU_DEP_3)
	v_add_co_u32 v17, vcc_lo, s18, v17
	v_add_co_ci_u32_e32 v18, vcc_lo, s19, v18, vcc_lo
	v_add_co_u32 v1, vcc_lo, 0x100, v1
	v_add_co_ci_u32_e32 v2, vcc_lo, 0, v2, vcc_lo
	global_load_b128 v[17:20], v[17:18], off
	v_add_co_u32 v3, vcc_lo, 0x800, v3
	v_add_co_ci_u32_e32 v4, vcc_lo, 0, v4, vcc_lo
	v_cmp_le_i64_e64 s0, s[2:3], v[1:2]
	v_add_co_u32 v5, vcc_lo, 0x800, v5
	v_add_co_ci_u32_e32 v6, vcc_lo, 0, v6, vcc_lo
	s_delay_alu instid0(VALU_DEP_3) | instskip(SKIP_2) | instid1(VALU_DEP_2)
	s_or_b32 s5, s0, s5
	v_mul_f64 v[26:27], v[13:14], v[22:23]
	v_mul_f64 v[21:22], -v[15:16], v[22:23]
	v_fma_f64 v[26:27], v[15:16], v[24:25], v[26:27]
	s_delay_alu instid0(VALU_DEP_2) | instskip(SKIP_1) | instid1(VALU_DEP_2)
	v_fma_f64 v[21:22], v[13:14], v[24:25], v[21:22]
	s_waitcnt vmcnt(0)
	v_mul_f64 v[23:24], v[19:20], -v[26:27]
	s_delay_alu instid0(VALU_DEP_2) | instskip(NEXT) | instid1(VALU_DEP_2)
	v_mul_f64 v[28:29], v[19:20], v[21:22]
	v_fma_f64 v[19:20], v[21:22], v[17:18], v[23:24]
	s_delay_alu instid0(VALU_DEP_2)
	v_fma_f64 v[21:22], v[26:27], v[17:18], v[28:29]
	ds_store_b128 v7, v[19:22]
	v_add_nc_u32_e32 v7, 0x1000, v7
	s_and_not1_b32 exec_lo, exec_lo, s5
	s_cbranch_execnz .LBB115_81
.LBB115_82:
	s_or_b32 exec_lo, exec_lo, s4
                                        ; implicit-def: $vgpr1_vgpr2
                                        ; implicit-def: $vgpr15_vgpr16
                                        ; implicit-def: $vgpr13_vgpr14
.LBB115_83:
	s_or_saveexec_b32 s0, s1
	v_lshlrev_b32_e32 v17, 4, v0
	s_xor_b32 exec_lo, exec_lo, s0
	s_cbranch_execz .LBB115_85
; %bb.84:
	v_lshlrev_b64 v[1:2], 3, v[1:2]
	s_delay_alu instid0(VALU_DEP_1) | instskip(NEXT) | instid1(VALU_DEP_2)
	v_add_co_u32 v3, vcc_lo, s14, v1
	v_add_co_ci_u32_e32 v4, vcc_lo, s15, v2, vcc_lo
	s_delay_alu instid0(VALU_DEP_2)
	v_add_co_u32 v7, vcc_lo, 0x1000, v3
	global_load_b64 v[5:6], v[3:4], off
	v_add_co_ci_u32_e32 v8, vcc_lo, 0, v4, vcc_lo
	v_add_co_u32 v1, vcc_lo, s16, v1
	s_clause 0x2
	global_load_b64 v[3:4], v[3:4], off offset:2048
	global_load_b64 v[18:19], v[7:8], off
	global_load_b64 v[7:8], v[7:8], off offset:2048
	v_add_co_ci_u32_e32 v2, vcc_lo, s17, v2, vcc_lo
	v_add_co_u32 v20, vcc_lo, 0x1000, v1
	s_delay_alu instid0(VALU_DEP_2)
	v_add_co_ci_u32_e32 v21, vcc_lo, 0, v2, vcc_lo
	s_clause 0x3
	global_load_b64 v[26:27], v[1:2], off
	global_load_b64 v[28:29], v[1:2], off offset:2048
	global_load_b64 v[30:31], v[20:21], off
	global_load_b64 v[32:33], v[20:21], off offset:2048
	s_waitcnt vmcnt(7)
	v_sub_co_u32 v1, vcc_lo, v5, s34
	v_subrev_co_ci_u32_e32 v2, vcc_lo, 0, v6, vcc_lo
	s_waitcnt vmcnt(6)
	v_sub_co_u32 v3, vcc_lo, v3, s34
	v_subrev_co_ci_u32_e32 v4, vcc_lo, 0, v4, vcc_lo
	s_waitcnt vmcnt(5)
	v_sub_co_u32 v5, vcc_lo, v18, s34
	v_lshlrev_b64 v[1:2], 4, v[1:2]
	v_subrev_co_ci_u32_e32 v6, vcc_lo, 0, v19, vcc_lo
	s_waitcnt vmcnt(4)
	v_sub_co_u32 v7, vcc_lo, v7, s34
	v_lshlrev_b64 v[3:4], 4, v[3:4]
	v_subrev_co_ci_u32_e32 v8, vcc_lo, 0, v8, vcc_lo
	v_lshlrev_b64 v[5:6], 4, v[5:6]
	v_add_co_u32 v1, vcc_lo, s18, v1
	v_add_co_ci_u32_e32 v2, vcc_lo, s19, v2, vcc_lo
	s_delay_alu instid0(VALU_DEP_4)
	v_lshlrev_b64 v[7:8], 4, v[7:8]
	v_add_co_u32 v18, vcc_lo, s18, v3
	v_add_co_ci_u32_e32 v19, vcc_lo, s19, v4, vcc_lo
	v_add_co_u32 v20, vcc_lo, s18, v5
	v_add_co_ci_u32_e32 v21, vcc_lo, s19, v6, vcc_lo
	v_add_co_u32 v22, vcc_lo, s18, v7
	global_load_b128 v[1:4], v[1:2], off
	v_add_co_ci_u32_e32 v23, vcc_lo, s19, v8, vcc_lo
	s_clause 0x2
	global_load_b128 v[5:8], v[18:19], off
	global_load_b128 v[18:21], v[20:21], off
	;; [unrolled: 1-line block ×3, first 2 shown]
	s_waitcnt vmcnt(7)
	v_cndmask_b32_e64 v27, v27, -v27, s33
	s_waitcnt vmcnt(6)
	v_cndmask_b32_e64 v29, v29, -v29, s33
	;; [unrolled: 2-line block ×3, first 2 shown]
	v_cvt_f64_f32_e32 v[34:35], v27
	s_waitcnt vmcnt(4)
	v_cndmask_b32_e64 v27, v33, -v33, s33
	v_cvt_f64_f32_e32 v[36:37], v29
	v_cvt_f64_f32_e32 v[38:39], v31
	;; [unrolled: 1-line block ×7, first 2 shown]
	v_mul_f64 v[42:43], v[13:14], v[34:35]
	v_mul_f64 v[34:35], -v[15:16], v[34:35]
	v_mul_f64 v[44:45], v[13:14], v[36:37]
	v_mul_f64 v[36:37], -v[15:16], v[36:37]
	;; [unrolled: 2-line block ×4, first 2 shown]
	v_fma_f64 v[42:43], v[15:16], v[26:27], v[42:43]
	v_fma_f64 v[26:27], v[13:14], v[26:27], v[34:35]
	;; [unrolled: 1-line block ×8, first 2 shown]
	s_waitcnt vmcnt(3)
	v_mul_f64 v[13:14], v[3:4], -v[42:43]
	v_mul_f64 v[3:4], v[3:4], v[26:27]
	s_waitcnt vmcnt(2)
	v_mul_f64 v[40:41], v[7:8], -v[34:35]
	v_mul_f64 v[7:8], v[7:8], v[28:29]
	;; [unrolled: 3-line block ×4, first 2 shown]
	v_fma_f64 v[13:14], v[26:27], v[1:2], v[13:14]
	v_fma_f64 v[15:16], v[42:43], v[1:2], v[3:4]
	;; [unrolled: 1-line block ×8, first 2 shown]
	ds_store_b128 v17, v[13:16]
	ds_store_b128 v17, v[1:4] offset:4096
	ds_store_b128 v17, v[5:8] offset:8192
	;; [unrolled: 1-line block ×3, first 2 shown]
.LBB115_85:
	s_or_b32 exec_lo, exec_lo, s0
	v_cmp_lt_i64_e64 s0, s[26:27], 2
	s_waitcnt vmcnt(0) lgkmcnt(0)
	s_waitcnt_vscnt null, 0x0
	s_barrier
	buffer_gl0_inv
	s_and_b32 vcc_lo, exec_lo, s0
	s_mov_b32 s0, -1
	s_cbranch_vccz .LBB115_96
; %bb.86:
	v_add_co_u32 v13, s0, s20, v0
	s_delay_alu instid0(VALU_DEP_1) | instskip(SKIP_1) | instid1(VALU_DEP_1)
	v_add_co_ci_u32_e64 v14, null, s21, 0, s0
	s_mov_b32 s1, exec_lo
	v_cmpx_gt_i64_e64 s[22:23], v[13:14]
	s_cbranch_execz .LBB115_95
; %bb.87:
	v_cmp_neq_f64_e32 vcc_lo, 0, v[9:10]
	v_cmp_neq_f64_e64 s0, 0, v[11:12]
	s_lshl_b32 s4, s28, 4
	s_mov_b32 s2, 0
	s_sub_i32 s4, 0, s4
	s_delay_alu instid0(VALU_DEP_1)
	s_or_b32 s3, vcc_lo, s0
	s_branch .LBB115_89
.LBB115_88:                             ;   in Loop: Header=BB115_89 Depth=1
	s_or_b32 exec_lo, exec_lo, s0
	v_add_co_u32 v13, vcc_lo, 0x100, v13
	v_add_co_ci_u32_e32 v14, vcc_lo, 0, v14, vcc_lo
	v_add_co_u32 v5, s0, s24, v5
	s_delay_alu instid0(VALU_DEP_1) | instskip(NEXT) | instid1(VALU_DEP_3)
	v_add_co_ci_u32_e64 v6, s0, s25, v6, s0
	v_cmp_le_i64_e32 vcc_lo, s[22:23], v[13:14]
	global_store_b128 v[5:6], v[1:4], off
	s_or_b32 s2, vcc_lo, s2
	s_delay_alu instid0(SALU_CYCLE_1)
	s_and_not1_b32 exec_lo, exec_lo, s2
	s_cbranch_execz .LBB115_95
.LBB115_89:                             ; =>This Loop Header: Depth=1
                                        ;     Child Loop BB115_91 Depth 2
	v_lshlrev_b64 v[1:2], 3, v[13:14]
	v_mov_b32_e32 v3, 0
	v_mov_b32_e32 v4, 0
	s_mov_b32 s0, exec_lo
	s_delay_alu instid0(VALU_DEP_3) | instskip(NEXT) | instid1(VALU_DEP_4)
	v_add_co_u32 v1, vcc_lo, s12, v1
	v_add_co_ci_u32_e32 v2, vcc_lo, s13, v2, vcc_lo
	global_load_b128 v[5:8], v[1:2], off
	v_dual_mov_b32 v1, v3 :: v_dual_mov_b32 v2, v4
	s_waitcnt vmcnt(0)
	v_cmpx_lt_i64_e64 v[5:6], v[7:8]
	s_cbranch_execz .LBB115_93
; %bb.90:                               ;   in Loop: Header=BB115_89 Depth=1
	v_mov_b32_e32 v3, 0
	v_sub_co_u32 v7, vcc_lo, v7, s28
	v_mov_b32_e32 v4, 0
	v_subrev_co_ci_u32_e32 v8, vcc_lo, s29, v8, vcc_lo
	v_sub_co_u32 v15, vcc_lo, v5, s28
	v_subrev_co_ci_u32_e32 v16, vcc_lo, s29, v6, vcc_lo
	v_lshl_add_u32 v5, v5, 4, s4
	v_dual_mov_b32 v1, v3 :: v_dual_mov_b32 v2, v4
	s_mov_b32 s5, 0
.LBB115_91:                             ;   Parent Loop BB115_89 Depth=1
                                        ; =>  This Inner Loop Header: Depth=2
	ds_load_b128 v[18:21], v5
	v_add_co_u32 v15, vcc_lo, v15, 1
	v_add_co_ci_u32_e32 v16, vcc_lo, 0, v16, vcc_lo
	v_add_nc_u32_e32 v5, 16, v5
	s_delay_alu instid0(VALU_DEP_2)
	v_cmp_ge_i64_e32 vcc_lo, v[15:16], v[7:8]
	s_or_b32 s5, vcc_lo, s5
	s_waitcnt lgkmcnt(0)
	v_add_f64 v[1:2], v[1:2], v[18:19]
	v_add_f64 v[3:4], v[3:4], v[20:21]
	s_and_not1_b32 exec_lo, exec_lo, s5
	s_cbranch_execnz .LBB115_91
; %bb.92:                               ;   in Loop: Header=BB115_89 Depth=1
	s_or_b32 exec_lo, exec_lo, s5
.LBB115_93:                             ;   in Loop: Header=BB115_89 Depth=1
	s_delay_alu instid0(SALU_CYCLE_1)
	s_or_b32 exec_lo, exec_lo, s0
	v_lshlrev_b64 v[5:6], 4, v[13:14]
	s_and_saveexec_b32 s0, s3
	s_cbranch_execz .LBB115_88
; %bb.94:                               ;   in Loop: Header=BB115_89 Depth=1
	s_delay_alu instid0(VALU_DEP_1) | instskip(NEXT) | instid1(VALU_DEP_2)
	v_add_co_u32 v7, vcc_lo, s24, v5
	v_add_co_ci_u32_e32 v8, vcc_lo, s25, v6, vcc_lo
	global_load_b128 v[18:21], v[7:8], off
	s_waitcnt vmcnt(0)
	v_fma_f64 v[1:2], v[9:10], v[18:19], v[1:2]
	v_fma_f64 v[3:4], v[11:12], v[18:19], v[3:4]
	s_delay_alu instid0(VALU_DEP_2) | instskip(NEXT) | instid1(VALU_DEP_2)
	v_fma_f64 v[1:2], -v[11:12], v[20:21], v[1:2]
	v_fma_f64 v[3:4], v[9:10], v[20:21], v[3:4]
	s_branch .LBB115_88
.LBB115_95:
	s_or_b32 exec_lo, exec_lo, s1
	s_mov_b32 s0, 0
.LBB115_96:
	s_delay_alu instid0(SALU_CYCLE_1)
	s_and_not1_b32 vcc_lo, exec_lo, s0
	s_cbranch_vccnz .LBB115_121
; %bb.97:
	s_clz_i32_u32 s0, s26
	v_mov_b32_e32 v1, 0
	s_min_u32 s0, s0, 32
	s_mov_b32 s1, exec_lo
	s_sub_i32 s0, 31, s0
	s_delay_alu instid0(SALU_CYCLE_1) | instskip(NEXT) | instid1(VALU_DEP_1)
	v_lshrrev_b32_e32 v13, s0, v0
	v_add_co_u32 v5, s0, s20, v13
	s_delay_alu instid0(VALU_DEP_1) | instskip(SKIP_1) | instid1(SALU_CYCLE_1)
	v_add_co_ci_u32_e64 v6, null, s21, 0, s0
	s_add_i32 s0, s26, -1
	v_dual_mov_b32 v2, 0 :: v_dual_and_b32 v7, s0, v0
	v_and_b32_e64 v8, s0, 0
	s_delay_alu instid0(VALU_DEP_3) | instskip(NEXT) | instid1(VALU_DEP_3)
	v_cmp_le_i64_e64 s0, s[22:23], v[5:6]
	v_dual_mov_b32 v4, v2 :: v_dual_mov_b32 v3, v1
	v_cmpx_gt_i64_e64 s[22:23], v[5:6]
	s_cbranch_execz .LBB115_103
; %bb.98:
	v_lshlrev_b32_e32 v0, 3, v13
	v_sub_co_u32 v4, vcc_lo, v7, s28
	v_subrev_co_ci_u32_e32 v16, vcc_lo, s29, v8, vcc_lo
	global_load_b128 v[0:3], v0, s[30:31]
	s_mov_b32 s2, exec_lo
	s_waitcnt vmcnt(0)
	v_sub_co_u32 v13, vcc_lo, v2, s28
	v_subrev_co_ci_u32_e32 v14, vcc_lo, s29, v3, vcc_lo
	v_add_co_u32 v15, vcc_lo, v0, v4
	v_mov_b32_e32 v3, 0
	v_mov_b32_e32 v4, 0
	v_add_co_ci_u32_e32 v16, vcc_lo, v1, v16, vcc_lo
	s_delay_alu instid0(VALU_DEP_2) | instskip(NEXT) | instid1(VALU_DEP_2)
	v_dual_mov_b32 v1, v3 :: v_dual_mov_b32 v2, v4
	v_cmpx_lt_i64_e64 v[15:16], v[13:14]
	s_cbranch_execz .LBB115_102
; %bb.99:
	v_dual_mov_b32 v3, 0 :: v_dual_lshlrev_b32 v0, 4, v15
	v_mov_b32_e32 v4, 0
	s_delay_alu instid0(VALU_DEP_2) | instskip(SKIP_2) | instid1(VALU_DEP_2)
	v_mov_b32_e32 v1, v3
	s_lshl_b32 s4, s26, 4
	s_mov_b32 s3, 0
	v_mov_b32_e32 v2, v4
.LBB115_100:                            ; =>This Inner Loop Header: Depth=1
	ds_load_b128 v[18:21], v0
	v_add_co_u32 v15, vcc_lo, v15, s26
	v_add_co_ci_u32_e32 v16, vcc_lo, s27, v16, vcc_lo
	v_add_nc_u32_e32 v0, s4, v0
	s_delay_alu instid0(VALU_DEP_2)
	v_cmp_ge_i64_e32 vcc_lo, v[15:16], v[13:14]
	s_or_b32 s3, vcc_lo, s3
	s_waitcnt lgkmcnt(0)
	v_add_f64 v[1:2], v[1:2], v[18:19]
	v_add_f64 v[3:4], v[3:4], v[20:21]
	s_and_not1_b32 exec_lo, exec_lo, s3
	s_cbranch_execnz .LBB115_100
; %bb.101:
	s_or_b32 exec_lo, exec_lo, s3
.LBB115_102:
	s_delay_alu instid0(SALU_CYCLE_1)
	s_or_b32 exec_lo, exec_lo, s2
.LBB115_103:
	s_delay_alu instid0(SALU_CYCLE_1)
	s_or_b32 exec_lo, exec_lo, s1
	v_cmp_gt_i64_e64 s1, 0x81, s[26:27]
	s_waitcnt_vscnt null, 0x0
	s_barrier
	buffer_gl0_inv
	ds_store_b128 v17, v[1:4]
	s_waitcnt lgkmcnt(0)
	s_and_b32 vcc_lo, exec_lo, s1
	s_barrier
	buffer_gl0_inv
	s_cbranch_vccnz .LBB115_105
; %bb.104:
	ds_load_b128 v[13:16], v17 offset:2048
	s_waitcnt lgkmcnt(0)
	s_barrier
	buffer_gl0_inv
	v_add_f64 v[1:2], v[1:2], v[13:14]
	v_add_f64 v[3:4], v[3:4], v[15:16]
	ds_store_b128 v17, v[1:4]
.LBB115_105:
	v_cmp_gt_i64_e64 s1, 0x41, s[26:27]
	s_waitcnt lgkmcnt(0)
	s_barrier
	buffer_gl0_inv
	s_and_b32 vcc_lo, exec_lo, s1
	s_cbranch_vccnz .LBB115_107
; %bb.106:
	ds_load_b128 v[13:16], v17 offset:1024
	s_waitcnt lgkmcnt(0)
	s_barrier
	buffer_gl0_inv
	v_add_f64 v[1:2], v[1:2], v[13:14]
	v_add_f64 v[3:4], v[3:4], v[15:16]
	ds_store_b128 v17, v[1:4]
.LBB115_107:
	v_cmp_lt_i64_e64 s1, s[26:27], 33
	s_waitcnt lgkmcnt(0)
	s_barrier
	buffer_gl0_inv
	s_and_b32 vcc_lo, exec_lo, s1
	s_cbranch_vccnz .LBB115_109
; %bb.108:
	ds_load_b128 v[13:16], v17 offset:512
	s_waitcnt lgkmcnt(0)
	s_barrier
	buffer_gl0_inv
	v_add_f64 v[1:2], v[1:2], v[13:14]
	v_add_f64 v[3:4], v[3:4], v[15:16]
	ds_store_b128 v17, v[1:4]
.LBB115_109:
	v_cmp_lt_i64_e64 s1, s[26:27], 17
	;; [unrolled: 15-line block ×4, first 2 shown]
	s_waitcnt lgkmcnt(0)
	s_barrier
	buffer_gl0_inv
	s_and_b32 vcc_lo, exec_lo, s1
	s_cbranch_vccnz .LBB115_115
; %bb.114:
	ds_load_b128 v[13:16], v17 offset:64
	s_waitcnt lgkmcnt(0)
	s_barrier
	buffer_gl0_inv
	v_add_f64 v[1:2], v[1:2], v[13:14]
	v_add_f64 v[3:4], v[3:4], v[15:16]
	ds_store_b128 v17, v[1:4]
.LBB115_115:
	s_cmp_eq_u64 s[26:27], 2
	s_waitcnt lgkmcnt(0)
	s_barrier
	buffer_gl0_inv
	s_cbranch_scc1 .LBB115_117
; %bb.116:
	ds_load_b128 v[13:16], v17 offset:32
	s_waitcnt lgkmcnt(0)
	s_barrier
	buffer_gl0_inv
	v_add_f64 v[1:2], v[1:2], v[13:14]
	v_add_f64 v[3:4], v[3:4], v[15:16]
	ds_store_b128 v17, v[1:4]
.LBB115_117:
	s_waitcnt lgkmcnt(0)
	s_barrier
	buffer_gl0_inv
	ds_load_b128 v[13:16], v17 offset:16
	v_cmp_eq_u64_e32 vcc_lo, 0, v[7:8]
	s_xor_b32 s0, s0, -1
	s_waitcnt lgkmcnt(0)
	s_barrier
	buffer_gl0_inv
	s_and_b32 s0, vcc_lo, s0
	v_add_f64 v[0:1], v[1:2], v[13:14]
	v_add_f64 v[2:3], v[3:4], v[15:16]
	ds_store_b128 v17, v[0:3]
	s_and_b32 exec_lo, exec_lo, s0
	s_cbranch_execz .LBB115_121
; %bb.118:
	v_cmp_neq_f64_e32 vcc_lo, 0, v[9:10]
	v_cmp_neq_f64_e64 s0, 0, v[11:12]
	v_lshlrev_b64 v[4:5], 4, v[5:6]
	s_delay_alu instid0(VALU_DEP_2) | instskip(NEXT) | instid1(SALU_CYCLE_1)
	s_or_b32 s1, vcc_lo, s0
	s_and_saveexec_b32 s0, s1
	s_cbranch_execz .LBB115_120
; %bb.119:
	s_delay_alu instid0(VALU_DEP_1) | instskip(NEXT) | instid1(VALU_DEP_2)
	v_add_co_u32 v6, vcc_lo, s24, v4
	v_add_co_ci_u32_e32 v7, vcc_lo, s25, v5, vcc_lo
	global_load_b128 v[13:16], v[6:7], off
	s_waitcnt vmcnt(0)
	v_fma_f64 v[0:1], v[9:10], v[13:14], v[0:1]
	v_fma_f64 v[2:3], v[11:12], v[13:14], v[2:3]
	s_delay_alu instid0(VALU_DEP_2) | instskip(NEXT) | instid1(VALU_DEP_2)
	v_fma_f64 v[0:1], -v[11:12], v[15:16], v[0:1]
	v_fma_f64 v[2:3], v[9:10], v[15:16], v[2:3]
.LBB115_120:
	s_or_b32 exec_lo, exec_lo, s0
	s_delay_alu instid0(VALU_DEP_1)
	v_add_co_u32 v4, vcc_lo, s24, v4
	v_add_co_ci_u32_e32 v5, vcc_lo, s25, v5, vcc_lo
	global_store_b128 v[4:5], v[0:3], off
.LBB115_121:
	s_endpgm
	.section	.rodata,"a",@progbits
	.p2align	6, 0x0
	.amdhsa_kernel _ZN9rocsparseL22csrmvn_adaptive_kernelIll21rocsparse_complex_numIfES1_IdES3_S3_EEvbT_PKS4_PjPKT0_NS_24const_host_device_scalarIT4_EES6_SA_PKT1_PKT2_SD_PT3_21rocsparse_index_base_b
		.amdhsa_group_segment_fixed_size 16384
		.amdhsa_private_segment_fixed_size 24
		.amdhsa_kernarg_size 120
		.amdhsa_user_sgpr_count 15
		.amdhsa_user_sgpr_dispatch_ptr 0
		.amdhsa_user_sgpr_queue_ptr 0
		.amdhsa_user_sgpr_kernarg_segment_ptr 1
		.amdhsa_user_sgpr_dispatch_id 0
		.amdhsa_user_sgpr_private_segment_size 0
		.amdhsa_wavefront_size32 1
		.amdhsa_uses_dynamic_stack 0
		.amdhsa_enable_private_segment 1
		.amdhsa_system_sgpr_workgroup_id_x 1
		.amdhsa_system_sgpr_workgroup_id_y 0
		.amdhsa_system_sgpr_workgroup_id_z 0
		.amdhsa_system_sgpr_workgroup_info 0
		.amdhsa_system_vgpr_workitem_id 0
		.amdhsa_next_free_vgpr 50
		.amdhsa_next_free_sgpr 50
		.amdhsa_reserve_vcc 1
		.amdhsa_float_round_mode_32 0
		.amdhsa_float_round_mode_16_64 0
		.amdhsa_float_denorm_mode_32 3
		.amdhsa_float_denorm_mode_16_64 3
		.amdhsa_dx10_clamp 1
		.amdhsa_ieee_mode 1
		.amdhsa_fp16_overflow 0
		.amdhsa_workgroup_processor_mode 1
		.amdhsa_memory_ordered 1
		.amdhsa_forward_progress 0
		.amdhsa_shared_vgpr_count 0
		.amdhsa_exception_fp_ieee_invalid_op 0
		.amdhsa_exception_fp_denorm_src 0
		.amdhsa_exception_fp_ieee_div_zero 0
		.amdhsa_exception_fp_ieee_overflow 0
		.amdhsa_exception_fp_ieee_underflow 0
		.amdhsa_exception_fp_ieee_inexact 0
		.amdhsa_exception_int_div_zero 0
	.end_amdhsa_kernel
	.section	.text._ZN9rocsparseL22csrmvn_adaptive_kernelIll21rocsparse_complex_numIfES1_IdES3_S3_EEvbT_PKS4_PjPKT0_NS_24const_host_device_scalarIT4_EES6_SA_PKT1_PKT2_SD_PT3_21rocsparse_index_base_b,"axG",@progbits,_ZN9rocsparseL22csrmvn_adaptive_kernelIll21rocsparse_complex_numIfES1_IdES3_S3_EEvbT_PKS4_PjPKT0_NS_24const_host_device_scalarIT4_EES6_SA_PKT1_PKT2_SD_PT3_21rocsparse_index_base_b,comdat
.Lfunc_end115:
	.size	_ZN9rocsparseL22csrmvn_adaptive_kernelIll21rocsparse_complex_numIfES1_IdES3_S3_EEvbT_PKS4_PjPKT0_NS_24const_host_device_scalarIT4_EES6_SA_PKT1_PKT2_SD_PT3_21rocsparse_index_base_b, .Lfunc_end115-_ZN9rocsparseL22csrmvn_adaptive_kernelIll21rocsparse_complex_numIfES1_IdES3_S3_EEvbT_PKS4_PjPKT0_NS_24const_host_device_scalarIT4_EES6_SA_PKT1_PKT2_SD_PT3_21rocsparse_index_base_b
                                        ; -- End function
	.section	.AMDGPU.csdata,"",@progbits
; Kernel info:
; codeLenInByte = 6428
; NumSgprs: 52
; NumVgprs: 50
; ScratchSize: 24
; MemoryBound: 0
; FloatMode: 240
; IeeeMode: 1
; LDSByteSize: 16384 bytes/workgroup (compile time only)
; SGPRBlocks: 6
; VGPRBlocks: 6
; NumSGPRsForWavesPerEU: 52
; NumVGPRsForWavesPerEU: 50
; Occupancy: 16
; WaveLimiterHint : 1
; COMPUTE_PGM_RSRC2:SCRATCH_EN: 1
; COMPUTE_PGM_RSRC2:USER_SGPR: 15
; COMPUTE_PGM_RSRC2:TRAP_HANDLER: 0
; COMPUTE_PGM_RSRC2:TGID_X_EN: 1
; COMPUTE_PGM_RSRC2:TGID_Y_EN: 0
; COMPUTE_PGM_RSRC2:TGID_Z_EN: 0
; COMPUTE_PGM_RSRC2:TIDIG_COMP_CNT: 0
	.section	.text._ZN9rocsparseL27csrmvn_symm_adaptive_kernelIll21rocsparse_complex_numIfES1_IdES3_S3_EEvbT_S4_PKS4_NS_24const_host_device_scalarIT4_EES6_PKT0_PKT1_PKT2_S9_PT3_21rocsparse_index_base_b,"axG",@progbits,_ZN9rocsparseL27csrmvn_symm_adaptive_kernelIll21rocsparse_complex_numIfES1_IdES3_S3_EEvbT_S4_PKS4_NS_24const_host_device_scalarIT4_EES6_PKT0_PKT1_PKT2_S9_PT3_21rocsparse_index_base_b,comdat
	.globl	_ZN9rocsparseL27csrmvn_symm_adaptive_kernelIll21rocsparse_complex_numIfES1_IdES3_S3_EEvbT_S4_PKS4_NS_24const_host_device_scalarIT4_EES6_PKT0_PKT1_PKT2_S9_PT3_21rocsparse_index_base_b ; -- Begin function _ZN9rocsparseL27csrmvn_symm_adaptive_kernelIll21rocsparse_complex_numIfES1_IdES3_S3_EEvbT_S4_PKS4_NS_24const_host_device_scalarIT4_EES6_PKT0_PKT1_PKT2_S9_PT3_21rocsparse_index_base_b
	.p2align	8
	.type	_ZN9rocsparseL27csrmvn_symm_adaptive_kernelIll21rocsparse_complex_numIfES1_IdES3_S3_EEvbT_S4_PKS4_NS_24const_host_device_scalarIT4_EES6_PKT0_PKT1_PKT2_S9_PT3_21rocsparse_index_base_b,@function
_ZN9rocsparseL27csrmvn_symm_adaptive_kernelIll21rocsparse_complex_numIfES1_IdES3_S3_EEvbT_S4_PKS4_NS_24const_host_device_scalarIT4_EES6_PKT0_PKT1_PKT2_S9_PT3_21rocsparse_index_base_b: ; @_ZN9rocsparseL27csrmvn_symm_adaptive_kernelIll21rocsparse_complex_numIfES1_IdES3_S3_EEvbT_S4_PKS4_NS_24const_host_device_scalarIT4_EES6_PKT0_PKT1_PKT2_S9_PT3_21rocsparse_index_base_b
; %bb.0:
	s_clause 0x2
	s_load_b64 s[24:25], s[0:1], 0x68
	s_load_b128 s[8:11], s[0:1], 0x20
	s_load_b128 s[4:7], s[0:1], 0x50
	s_mov_b64 s[2:3], src_private_base
	v_mov_b32_e32 v1, 0
	s_mov_b32 s12, s15
	s_waitcnt lgkmcnt(0)
	s_bitcmp1_b32 s25, 0
	v_dual_mov_b32 v3, s8 :: v_dual_mov_b32 v6, s5
	s_cselect_b32 s2, -1, 0
	v_mov_b32_e32 v4, s9
	s_and_b32 vcc_lo, s2, exec_lo
	s_cselect_b32 s13, s3, s9
	v_cndmask_b32_e64 v1, s8, v1, s2
	v_dual_mov_b32 v5, s4 :: v_dual_mov_b32 v2, s13
	s_clause 0x1
	scratch_store_b64 off, v[3:4], off
	scratch_store_b64 off, v[5:6], off offset:8
	v_dual_mov_b32 v12, s11 :: v_dual_mov_b32 v11, s10
	flat_load_b64 v[9:10], v[1:2]
	s_xor_b32 s10, s2, -1
	s_cbranch_vccnz .LBB116_2
; %bb.1:
	v_dual_mov_b32 v1, s8 :: v_dual_mov_b32 v2, s9
	flat_load_b64 v[11:12], v[1:2] offset:8
.LBB116_2:
	s_and_b32 s8, s2, exec_lo
	s_cselect_b32 s3, s3, s5
	s_delay_alu instid0(SALU_CYCLE_1) | instskip(SKIP_2) | instid1(VALU_DEP_2)
	v_dual_mov_b32 v1, 8 :: v_dual_mov_b32 v2, s3
	v_dual_mov_b32 v3, s6 :: v_dual_mov_b32 v4, s7
	s_and_not1_b32 vcc_lo, exec_lo, s10
	v_cndmask_b32_e64 v1, s4, v1, s2
	flat_load_b64 v[1:2], v[1:2]
	s_cbranch_vccnz .LBB116_4
; %bb.3:
	v_dual_mov_b32 v3, s4 :: v_dual_mov_b32 v4, s5
	flat_load_b64 v[3:4], v[3:4] offset:8
.LBB116_4:
	s_waitcnt vmcnt(1) lgkmcnt(1)
	v_cmp_eq_f64_e32 vcc_lo, 0, v[9:10]
	v_cmp_eq_f64_e64 s2, 0, v[11:12]
	s_delay_alu instid0(VALU_DEP_1)
	s_and_b32 s4, vcc_lo, s2
	s_mov_b32 s2, -1
	s_and_saveexec_b32 s3, s4
	s_cbranch_execz .LBB116_6
; %bb.5:
	s_waitcnt vmcnt(0) lgkmcnt(0)
	v_cmp_neq_f64_e32 vcc_lo, 1.0, v[1:2]
	v_cmp_neq_f64_e64 s2, 0, v[3:4]
	s_delay_alu instid0(VALU_DEP_1) | instskip(NEXT) | instid1(SALU_CYCLE_1)
	s_or_b32 s2, vcc_lo, s2
	s_or_not1_b32 s2, s2, exec_lo
.LBB116_6:
	s_or_b32 exec_lo, exec_lo, s3
	s_and_saveexec_b32 s3, s2
	s_cbranch_execz .LBB116_216
; %bb.7:
	s_clause 0x1
	s_load_b32 s8, s[0:1], 0x0
	s_load_b64 s[2:3], s[0:1], 0x18
	s_mov_b32 s4, 0
	s_delay_alu instid0(SALU_CYCLE_1)
	s_mov_b32 s5, s4
	s_mov_b32 s6, s4
	;; [unrolled: 1-line block ×3, first 2 shown]
	s_waitcnt vmcnt(0) lgkmcnt(0)
	v_dual_mov_b32 v1, s4 :: v_dual_lshlrev_b32 v26, 4, v0
	v_dual_mov_b32 v2, s5 :: v_dual_mov_b32 v3, s6
	v_mov_b32_e32 v4, s7
	ds_store_b128 v26, v[1:4]
	ds_store_b128 v26, v[1:4] offset:4096
	ds_store_b128 v26, v[1:4] offset:8192
	;; [unrolled: 1-line block ×3, first 2 shown]
	s_waitcnt lgkmcnt(0)
	s_waitcnt_vscnt null, 0x0
	s_barrier
	s_bitcmp1_b32 s8, 0
	buffer_gl0_inv
	s_cselect_b32 s25, -1, 0
	s_ashr_i32 s13, s12, 31
	s_delay_alu instid0(SALU_CYCLE_1) | instskip(NEXT) | instid1(SALU_CYCLE_1)
	s_lshl_b64 s[4:5], s[12:13], 3
	s_add_u32 s2, s2, s4
	s_addc_u32 s3, s3, s5
	s_load_b128 s[16:19], s[2:3], 0x0
	s_clause 0x1
	s_load_b64 s[20:21], s[0:1], 0x60
	s_load_b256 s[8:15], s[0:1], 0x30
	s_waitcnt lgkmcnt(0)
	s_sub_u32 s22, s18, s16
	s_subb_u32 s23, s19, s17
	s_delay_alu instid0(SALU_CYCLE_1) | instskip(NEXT) | instid1(VALU_DEP_1)
	v_cmp_gt_i64_e64 s2, s[22:23], 2
	s_and_b32 vcc_lo, exec_lo, s2
	s_mov_b32 s2, -1
	s_cbranch_vccnz .LBB116_53
; %bb.8:
	v_cmp_gt_i64_e64 s2, s[18:19], s[16:17]
	v_sub_co_u32 v15, s3, v0, s24
	s_delay_alu instid0(VALU_DEP_1) | instskip(NEXT) | instid1(VALU_DEP_3)
	v_sub_co_ci_u32_e64 v16, null, 0, 0, s3
	s_and_b32 vcc_lo, exec_lo, s2
	s_cbranch_vccnz .LBB116_10
; %bb.9:
	s_lshl_b64 s[2:3], s[16:17], 3
	s_delay_alu instid0(SALU_CYCLE_1)
	s_add_u32 s2, s8, s2
	s_addc_u32 s3, s9, s3
	s_load_b64 s[26:27], s[2:3], 0x0
	s_cbranch_execz .LBB116_11
	s_branch .LBB116_40
.LBB116_10:
                                        ; implicit-def: $sgpr26_sgpr27
.LBB116_11:
	s_lshl_b64 s[2:3], s[16:17], 3
	v_cmp_gt_u32_e64 s4, 16, v0
	s_add_u32 s2, s8, s2
	s_addc_u32 s3, s9, s3
	v_cmp_gt_u32_e64 s5, 4, v0
	s_waitcnt lgkmcnt(0)
	s_load_b64 s[26:27], s[2:3], 0x0
	v_cmp_gt_u32_e64 s2, 0x100, v0
	v_cmp_gt_u32_e64 s3, 64, v0
	v_cmp_eq_u32_e64 s6, 0, v0
	v_mov_b32_e32 v17, 0
	s_add_u32 s33, s8, 8
	s_addc_u32 s36, s9, 0
	s_add_u32 s37, s12, 4
	s_addc_u32 s38, s13, 0
	s_mov_b64 s[28:29], s[16:17]
	s_waitcnt lgkmcnt(0)
	s_mov_b64 s[30:31], s[26:27]
	s_branch .LBB116_13
.LBB116_12:                             ;   in Loop: Header=BB116_13 Depth=1
	s_or_b32 exec_lo, exec_lo, s7
	s_add_u32 s28, s28, 1
	s_addc_u32 s29, s29, 0
	s_delay_alu instid0(SALU_CYCLE_1) | instskip(NEXT) | instid1(VALU_DEP_1)
	v_cmp_ge_i64_e64 s7, s[28:29], s[18:19]
	s_and_b32 vcc_lo, exec_lo, s7
	s_cbranch_vccnz .LBB116_40
.LBB116_13:                             ; =>This Loop Header: Depth=1
                                        ;     Child Loop BB116_15 Depth 2
                                        ;     Child Loop BB116_29 Depth 2
	;; [unrolled: 1-line block ×5, first 2 shown]
	s_lshl_b64 s[34:35], s[28:29], 3
	s_mov_b64 s[40:41], s[30:31]
	s_add_u32 s34, s33, s34
	s_addc_u32 s35, s36, s35
	v_mov_b32_e32 v3, 0
	s_load_b64 s[30:31], s[34:35], 0x0
	v_mov_b32_e32 v4, 0
	v_add_co_u32 v5, vcc_lo, s40, v15
	v_add_co_ci_u32_e32 v6, vcc_lo, s41, v16, vcc_lo
	s_delay_alu instid0(VALU_DEP_3) | instskip(SKIP_4) | instid1(SALU_CYCLE_1)
	v_dual_mov_b32 v1, v3 :: v_dual_mov_b32 v2, v4
	s_mov_b32 s39, exec_lo
	s_waitcnt lgkmcnt(0)
	s_sub_u32 s34, s30, s24
	s_subb_u32 s35, s31, 0
	v_cmpx_gt_i64_e64 s[34:35], v[5:6]
	s_cbranch_execz .LBB116_17
; %bb.14:                               ;   in Loop: Header=BB116_13 Depth=1
	v_lshlrev_b64 v[1:2], 3, v[5:6]
	v_mov_b32_e32 v3, 0
	v_mov_b32_e32 v4, 0
	s_mov_b32 s40, 0
	s_delay_alu instid0(VALU_DEP_3) | instskip(NEXT) | instid1(VALU_DEP_4)
	v_add_co_u32 v7, vcc_lo, s10, v1
	v_add_co_ci_u32_e32 v8, vcc_lo, s11, v2, vcc_lo
	v_add_co_u32 v13, vcc_lo, s37, v1
	v_add_co_ci_u32_e32 v14, vcc_lo, s38, v2, vcc_lo
	v_dual_mov_b32 v1, v3 :: v_dual_mov_b32 v2, v4
	s_set_inst_prefetch_distance 0x1
	.p2align	6
.LBB116_15:                             ;   Parent Loop BB116_13 Depth=1
                                        ; =>  This Inner Loop Header: Depth=2
	global_load_b64 v[18:19], v[7:8], off
	global_load_b64 v[22:23], v[13:14], off offset:-4
	v_add_co_u32 v13, s7, 0x800, v13
	s_delay_alu instid0(VALU_DEP_1)
	v_add_co_ci_u32_e64 v14, s7, 0, v14, s7
	s_waitcnt vmcnt(1)
	v_sub_co_u32 v18, vcc_lo, v18, s24
	v_subrev_co_ci_u32_e32 v19, vcc_lo, 0, v19, vcc_lo
	s_waitcnt vmcnt(0)
	v_cndmask_b32_e64 v24, v23, -v23, s25
	v_cvt_f64_f32_e32 v[22:23], v22
	s_delay_alu instid0(VALU_DEP_3) | instskip(NEXT) | instid1(VALU_DEP_3)
	v_lshlrev_b64 v[18:19], 4, v[18:19]
	v_cvt_f64_f32_e32 v[24:25], v24
	s_delay_alu instid0(VALU_DEP_2) | instskip(NEXT) | instid1(VALU_DEP_3)
	v_add_co_u32 v18, vcc_lo, s14, v18
	v_add_co_ci_u32_e32 v19, vcc_lo, s15, v19, vcc_lo
	v_add_co_u32 v5, vcc_lo, 0x100, v5
	v_add_co_ci_u32_e32 v6, vcc_lo, 0, v6, vcc_lo
	global_load_b128 v[18:21], v[18:19], off
	v_add_co_u32 v7, vcc_lo, 0x800, v7
	v_add_co_ci_u32_e32 v8, vcc_lo, 0, v8, vcc_lo
	v_cmp_le_i64_e32 vcc_lo, s[34:35], v[5:6]
	s_or_b32 s40, vcc_lo, s40
	s_waitcnt vmcnt(0)
	v_fma_f64 v[1:2], v[22:23], v[18:19], v[1:2]
	v_fma_f64 v[3:4], v[24:25], v[18:19], v[3:4]
	s_delay_alu instid0(VALU_DEP_2) | instskip(NEXT) | instid1(VALU_DEP_2)
	v_fma_f64 v[1:2], -v[24:25], v[20:21], v[1:2]
	v_fma_f64 v[3:4], v[22:23], v[20:21], v[3:4]
	s_and_not1_b32 exec_lo, exec_lo, s40
	s_cbranch_execnz .LBB116_15
; %bb.16:                               ;   in Loop: Header=BB116_13 Depth=1
	s_set_inst_prefetch_distance 0x2
	s_or_b32 exec_lo, exec_lo, s40
.LBB116_17:                             ;   in Loop: Header=BB116_13 Depth=1
	s_delay_alu instid0(SALU_CYCLE_1)
	s_or_b32 exec_lo, exec_lo, s39
	ds_store_b128 v26, v[1:4]
	s_waitcnt lgkmcnt(0)
	s_barrier
	buffer_gl0_inv
	s_and_saveexec_b32 s7, s2
	s_cbranch_execz .LBB116_19
; %bb.18:                               ;   in Loop: Header=BB116_13 Depth=1
	ds_load_b128 v[1:4], v26 offset:4096
	ds_load_b128 v[5:8], v26 offset:8192
	ds_load_b128 v[18:21], v26 offset:12288
	ds_load_b128 v[22:25], v26
	s_waitcnt lgkmcnt(2)
	v_add_f64 v[1:2], v[5:6], v[1:2]
	v_add_f64 v[3:4], v[7:8], v[3:4]
	s_waitcnt lgkmcnt(1)
	s_delay_alu instid0(VALU_DEP_2) | instskip(NEXT) | instid1(VALU_DEP_2)
	v_add_f64 v[1:2], v[1:2], v[18:19]
	v_add_f64 v[3:4], v[3:4], v[20:21]
	s_waitcnt lgkmcnt(0)
	s_delay_alu instid0(VALU_DEP_2) | instskip(NEXT) | instid1(VALU_DEP_2)
	v_add_f64 v[1:2], v[1:2], v[22:23]
	v_add_f64 v[3:4], v[3:4], v[24:25]
	ds_store_b128 v26, v[1:4]
.LBB116_19:                             ;   in Loop: Header=BB116_13 Depth=1
	s_or_b32 exec_lo, exec_lo, s7
	s_waitcnt lgkmcnt(0)
	s_barrier
	buffer_gl0_inv
	s_and_saveexec_b32 s7, s3
	s_cbranch_execz .LBB116_21
; %bb.20:                               ;   in Loop: Header=BB116_13 Depth=1
	ds_load_b128 v[1:4], v26 offset:1024
	ds_load_b128 v[5:8], v26 offset:2048
	ds_load_b128 v[18:21], v26 offset:3072
	ds_load_b128 v[22:25], v26
	s_waitcnt lgkmcnt(2)
	v_add_f64 v[1:2], v[5:6], v[1:2]
	v_add_f64 v[3:4], v[7:8], v[3:4]
	s_waitcnt lgkmcnt(1)
	s_delay_alu instid0(VALU_DEP_2) | instskip(NEXT) | instid1(VALU_DEP_2)
	v_add_f64 v[1:2], v[1:2], v[18:19]
	v_add_f64 v[3:4], v[3:4], v[20:21]
	s_waitcnt lgkmcnt(0)
	s_delay_alu instid0(VALU_DEP_2) | instskip(NEXT) | instid1(VALU_DEP_2)
	v_add_f64 v[1:2], v[1:2], v[22:23]
	v_add_f64 v[3:4], v[3:4], v[24:25]
	ds_store_b128 v26, v[1:4]
.LBB116_21:                             ;   in Loop: Header=BB116_13 Depth=1
	s_or_b32 exec_lo, exec_lo, s7
	;; [unrolled: 24-line block ×5, first 2 shown]
	s_waitcnt lgkmcnt(0)
	s_barrier
	buffer_gl0_inv
	s_and_saveexec_b32 s7, s6
	s_cbranch_execz .LBB116_12
; %bb.28:                               ;   in Loop: Header=BB116_13 Depth=1
	ds_load_b128 v[1:4], v17
	v_mov_b32_e32 v13, 0
	v_bfrev_b32_e32 v14, 1
	s_mov_b32 s34, exec_lo
	s_waitcnt lgkmcnt(0)
	v_mul_f64 v[5:6], v[3:4], -v[11:12]
	s_delay_alu instid0(VALU_DEP_1)
	v_fma_f64 v[5:6], v[9:10], v[1:2], v[5:6]
.LBB116_29:                             ;   Parent Loop BB116_13 Depth=1
                                        ; =>  This Inner Loop Header: Depth=2
	s_ctz_i32_b32 s35, s34
	s_delay_alu instid0(VALU_DEP_1) | instid1(SALU_CYCLE_1)
	v_readlane_b32 s41, v6, s35
	s_delay_alu instid0(VALU_DEP_2) | instskip(SKIP_1) | instid1(SALU_CYCLE_1)
	v_readlane_b32 s40, v5, s35
	s_lshl_b32 s35, 1, s35
	s_and_not1_b32 s34, s34, s35
	s_delay_alu instid0(VALU_DEP_1)
	v_add_f64 v[13:14], v[13:14], s[40:41]
	s_cmp_lg_u32 s34, 0
	s_cbranch_scc1 .LBB116_29
; %bb.30:                               ;   in Loop: Header=BB116_13 Depth=1
	v_mbcnt_lo_u32_b32 v5, exec_lo, 0
	s_lshl_b64 s[34:35], s[28:29], 4
	s_mov_b32 s39, exec_lo
	s_add_u32 s34, s20, s34
	s_addc_u32 s35, s21, s35
	v_cmpx_eq_u32_e32 0, v5
	s_xor_b32 s39, exec_lo, s39
	s_cbranch_execz .LBB116_34
; %bb.31:                               ;   in Loop: Header=BB116_13 Depth=1
	global_load_b64 v[7:8], v17, s[34:35]
	s_mov_b32 s40, 0
.LBB116_32:                             ;   Parent Loop BB116_13 Depth=1
                                        ; =>  This Inner Loop Header: Depth=2
	s_waitcnt vmcnt(0)
	v_add_f64 v[5:6], v[7:8], v[13:14]
	global_atomic_cmpswap_b64 v[5:6], v17, v[5:8], s[34:35] glc
	s_waitcnt vmcnt(0)
	v_cmp_eq_u64_e32 vcc_lo, v[5:6], v[7:8]
	v_dual_mov_b32 v8, v6 :: v_dual_mov_b32 v7, v5
	s_or_b32 s40, vcc_lo, s40
	s_delay_alu instid0(SALU_CYCLE_1)
	s_and_not1_b32 exec_lo, exec_lo, s40
	s_cbranch_execnz .LBB116_32
; %bb.33:                               ;   in Loop: Header=BB116_13 Depth=1
	s_or_b32 exec_lo, exec_lo, s40
.LBB116_34:                             ;   in Loop: Header=BB116_13 Depth=1
	s_delay_alu instid0(SALU_CYCLE_1) | instskip(SKIP_4) | instid1(VALU_DEP_3)
	s_or_b32 exec_lo, exec_lo, s39
	v_mul_f64 v[3:4], v[9:10], v[3:4]
	v_mov_b32_e32 v5, 0
	v_bfrev_b32_e32 v6, 1
	s_mov_b32 s39, exec_lo
	v_fma_f64 v[1:2], v[11:12], v[1:2], v[3:4]
.LBB116_35:                             ;   Parent Loop BB116_13 Depth=1
                                        ; =>  This Inner Loop Header: Depth=2
	s_ctz_i32_b32 s42, s39
	s_delay_alu instid0(VALU_DEP_1) | instid1(SALU_CYCLE_1)
	v_readlane_b32 s41, v2, s42
	s_delay_alu instid0(VALU_DEP_2) | instskip(NEXT) | instid1(VALU_DEP_1)
	v_readlane_b32 s40, v1, s42
	v_add_f64 v[5:6], v[5:6], s[40:41]
	s_lshl_b32 s40, 1, s42
	s_delay_alu instid0(SALU_CYCLE_1) | instskip(NEXT) | instid1(SALU_CYCLE_1)
	s_and_not1_b32 s39, s39, s40
	s_cmp_lg_u32 s39, 0
	s_cbranch_scc1 .LBB116_35
; %bb.36:                               ;   in Loop: Header=BB116_13 Depth=1
	v_mbcnt_lo_u32_b32 v1, exec_lo, 0
	s_mov_b32 s39, exec_lo
	s_delay_alu instid0(VALU_DEP_1)
	v_cmpx_eq_u32_e32 0, v1
	s_xor_b32 s39, exec_lo, s39
	s_cbranch_execz .LBB116_12
; %bb.37:                               ;   in Loop: Header=BB116_13 Depth=1
	global_load_b64 v[3:4], v17, s[34:35] offset:8
	s_mov_b32 s39, 0
.LBB116_38:                             ;   Parent Loop BB116_13 Depth=1
                                        ; =>  This Inner Loop Header: Depth=2
	s_waitcnt vmcnt(0)
	v_add_f64 v[1:2], v[3:4], v[5:6]
	global_atomic_cmpswap_b64 v[1:2], v17, v[1:4], s[34:35] offset:8 glc
	s_waitcnt vmcnt(0)
	v_cmp_eq_u64_e32 vcc_lo, v[1:2], v[3:4]
	v_dual_mov_b32 v4, v2 :: v_dual_mov_b32 v3, v1
	s_or_b32 s39, vcc_lo, s39
	s_delay_alu instid0(SALU_CYCLE_1)
	s_and_not1_b32 exec_lo, exec_lo, s39
	s_cbranch_execnz .LBB116_38
; %bb.39:                               ;   in Loop: Header=BB116_13 Depth=1
	s_or_b32 exec_lo, exec_lo, s39
	s_branch .LBB116_12
.LBB116_40:
	s_lshl_b64 s[2:3], s[18:19], 3
	s_waitcnt lgkmcnt(0)
	v_add_co_u32 v13, vcc_lo, s26, v15
	s_add_u32 s2, s8, s2
	s_addc_u32 s3, s9, s3
	v_add_co_ci_u32_e32 v14, vcc_lo, s27, v16, vcc_lo
	s_load_b64 s[2:3], s[2:3], 0x0
	s_waitcnt lgkmcnt(0)
	s_sub_u32 s4, s2, s24
	s_subb_u32 s5, s3, 0
	s_mov_b32 s3, exec_lo
	v_cmpx_gt_i64_e64 s[4:5], v[13:14]
	s_cbranch_execz .LBB116_52
; %bb.41:
	s_add_u32 s6, s18, -1
	s_addc_u32 s7, s19, -1
	s_add_u32 s26, s18, -2
	v_cmp_gt_i64_e64 s2, s[6:7], s[16:17]
	s_addc_u32 s27, s19, -1
	s_delay_alu instid0(SALU_CYCLE_1)
	s_cmp_lg_u64 s[26:27], s[16:17]
	s_mov_b32 s27, 0
	s_cselect_b32 s26, -1, 0
	s_delay_alu instid0(VALU_DEP_1) | instid1(SALU_CYCLE_1)
	s_and_b32 s26, s2, s26
	s_branch .LBB116_43
.LBB116_42:                             ;   in Loop: Header=BB116_43 Depth=1
	s_or_b32 exec_lo, exec_lo, s2
	v_add_co_u32 v13, vcc_lo, 0x100, v13
	v_add_co_ci_u32_e32 v14, vcc_lo, 0, v14, vcc_lo
	s_delay_alu instid0(VALU_DEP_1) | instskip(SKIP_1) | instid1(SALU_CYCLE_1)
	v_cmp_le_i64_e32 vcc_lo, s[4:5], v[13:14]
	s_or_b32 s27, vcc_lo, s27
	s_and_not1_b32 exec_lo, exec_lo, s27
	s_cbranch_execz .LBB116_52
.LBB116_43:                             ; =>This Loop Header: Depth=1
                                        ;     Child Loop BB116_45 Depth 2
                                        ;     Child Loop BB116_49 Depth 2
	;; [unrolled: 1-line block ×3, first 2 shown]
	v_dual_mov_b32 v1, s16 :: v_dual_mov_b32 v2, s17
	v_dual_mov_b32 v3, s6 :: v_dual_mov_b32 v4, s7
	s_and_not1_b32 vcc_lo, exec_lo, s26
	s_cbranch_vccnz .LBB116_47
; %bb.44:                               ;   in Loop: Header=BB116_43 Depth=1
	v_dual_mov_b32 v1, s16 :: v_dual_mov_b32 v2, s17
	v_dual_mov_b32 v3, s6 :: v_dual_mov_b32 v4, s7
	s_mov_b32 s28, 0
	s_set_inst_prefetch_distance 0x1
	.p2align	6
.LBB116_45:                             ;   Parent Loop BB116_43 Depth=1
                                        ; =>  This Inner Loop Header: Depth=2
	s_delay_alu instid0(VALU_DEP_1) | instskip(NEXT) | instid1(VALU_DEP_2)
	v_add_co_u32 v5, vcc_lo, v3, v1
	v_add_co_ci_u32_e32 v6, vcc_lo, v4, v2, vcc_lo
	s_delay_alu instid0(VALU_DEP_1) | instskip(NEXT) | instid1(VALU_DEP_1)
	v_lshrrev_b32_e32 v7, 31, v6
	v_add_co_u32 v5, vcc_lo, v5, v7
	v_add_co_ci_u32_e32 v6, vcc_lo, 0, v6, vcc_lo
	s_delay_alu instid0(VALU_DEP_1) | instskip(NEXT) | instid1(VALU_DEP_1)
	v_ashrrev_i64 v[5:6], 1, v[5:6]
	v_lshlrev_b64 v[7:8], 3, v[5:6]
	s_delay_alu instid0(VALU_DEP_1) | instskip(NEXT) | instid1(VALU_DEP_2)
	v_add_co_u32 v7, vcc_lo, s8, v7
	v_add_co_ci_u32_e32 v8, vcc_lo, s9, v8, vcc_lo
	global_load_b64 v[7:8], v[7:8], off
	s_waitcnt vmcnt(0)
	v_sub_co_u32 v7, vcc_lo, v7, s24
	v_subrev_co_ci_u32_e32 v8, vcc_lo, 0, v8, vcc_lo
	s_delay_alu instid0(VALU_DEP_1) | instskip(SKIP_2) | instid1(VALU_DEP_2)
	v_cmp_gt_i64_e32 vcc_lo, v[7:8], v[13:14]
	v_dual_cndmask_b32 v4, v4, v6 :: v_dual_cndmask_b32 v3, v3, v5
	v_dual_cndmask_b32 v2, v6, v2 :: v_dual_cndmask_b32 v1, v5, v1
	v_add_co_u32 v5, vcc_lo, v3, -1
	s_delay_alu instid0(VALU_DEP_3) | instskip(NEXT) | instid1(VALU_DEP_3)
	v_add_co_ci_u32_e32 v6, vcc_lo, -1, v4, vcc_lo
	v_cmp_ge_i64_e32 vcc_lo, v[1:2], v[3:4]
	s_delay_alu instid0(VALU_DEP_2) | instskip(NEXT) | instid1(VALU_DEP_1)
	v_cmp_eq_u64_e64 s2, v[1:2], v[5:6]
	s_or_b32 s2, vcc_lo, s2
	s_delay_alu instid0(SALU_CYCLE_1) | instskip(NEXT) | instid1(SALU_CYCLE_1)
	s_and_b32 s2, exec_lo, s2
	s_or_b32 s28, s2, s28
	s_delay_alu instid0(SALU_CYCLE_1)
	s_and_not1_b32 exec_lo, exec_lo, s28
	s_cbranch_execnz .LBB116_45
; %bb.46:                               ;   in Loop: Header=BB116_43 Depth=1
	s_set_inst_prefetch_distance 0x2
	s_or_b32 exec_lo, exec_lo, s28
.LBB116_47:                             ;   in Loop: Header=BB116_43 Depth=1
	s_delay_alu instid0(VALU_DEP_1) | instskip(SKIP_2) | instid1(VALU_DEP_2)
	v_lshlrev_b64 v[5:6], 3, v[3:4]
	v_lshlrev_b64 v[7:8], 3, v[13:14]
	s_mov_b32 s2, exec_lo
	v_add_co_u32 v5, vcc_lo, s8, v5
	s_delay_alu instid0(VALU_DEP_3) | instskip(NEXT) | instid1(VALU_DEP_3)
	v_add_co_ci_u32_e32 v6, vcc_lo, s9, v6, vcc_lo
	v_add_co_u32 v15, vcc_lo, s10, v7
	s_delay_alu instid0(VALU_DEP_4)
	v_add_co_ci_u32_e32 v16, vcc_lo, s11, v8, vcc_lo
	global_load_b64 v[5:6], v[5:6], off
	global_load_b64 v[15:16], v[15:16], off
	s_waitcnt vmcnt(1)
	v_sub_co_u32 v5, vcc_lo, v5, s24
	v_subrev_co_ci_u32_e32 v6, vcc_lo, 0, v6, vcc_lo
	s_delay_alu instid0(VALU_DEP_1) | instskip(SKIP_4) | instid1(VALU_DEP_1)
	v_cmp_gt_i64_e32 vcc_lo, v[5:6], v[13:14]
	v_dual_cndmask_b32 v2, v4, v2 :: v_dual_cndmask_b32 v1, v3, v1
	s_waitcnt vmcnt(0)
	v_sub_co_u32 v5, vcc_lo, v15, s24
	v_subrev_co_ci_u32_e32 v6, vcc_lo, 0, v16, vcc_lo
	v_cmpx_ne_u64_e64 v[5:6], v[1:2]
	s_cbranch_execz .LBB116_42
; %bb.48:                               ;   in Loop: Header=BB116_43 Depth=1
	v_add_co_u32 v3, vcc_lo, s12, v7
	v_add_co_ci_u32_e32 v4, vcc_lo, s13, v8, vcc_lo
	v_lshlrev_b64 v[1:2], 4, v[1:2]
	v_lshlrev_b64 v[5:6], 4, v[5:6]
	s_mov_b32 s28, 0
	global_load_b64 v[17:18], v[3:4], off
	v_add_co_u32 v1, vcc_lo, s14, v1
	v_add_co_ci_u32_e32 v2, vcc_lo, s15, v2, vcc_lo
	v_add_co_u32 v15, vcc_lo, s20, v5
	v_add_co_ci_u32_e32 v16, vcc_lo, s21, v6, vcc_lo
	global_load_b128 v[1:4], v[1:2], off
	global_load_b64 v[7:8], v[15:16], off
	s_waitcnt vmcnt(2)
	v_cndmask_b32_e64 v5, v18, -v18, s25
	v_cvt_f64_f32_e32 v[19:20], v17
	s_delay_alu instid0(VALU_DEP_2) | instskip(NEXT) | instid1(VALU_DEP_1)
	v_cvt_f64_f32_e32 v[5:6], v5
	v_mul_f64 v[17:18], v[9:10], v[5:6]
	v_mul_f64 v[5:6], -v[11:12], v[5:6]
	s_delay_alu instid0(VALU_DEP_2) | instskip(NEXT) | instid1(VALU_DEP_2)
	v_fma_f64 v[17:18], v[11:12], v[19:20], v[17:18]
	v_fma_f64 v[19:20], v[9:10], v[19:20], v[5:6]
	s_waitcnt vmcnt(1)
	s_delay_alu instid0(VALU_DEP_2) | instskip(NEXT) | instid1(VALU_DEP_1)
	v_mul_f64 v[5:6], v[3:4], -v[17:18]
	v_fma_f64 v[21:22], v[19:20], v[1:2], v[5:6]
.LBB116_49:                             ;   Parent Loop BB116_43 Depth=1
                                        ; =>  This Inner Loop Header: Depth=2
	s_waitcnt vmcnt(0)
	s_delay_alu instid0(VALU_DEP_1)
	v_add_f64 v[5:6], v[7:8], v[21:22]
	global_atomic_cmpswap_b64 v[5:6], v[15:16], v[5:8], off glc
	s_waitcnt vmcnt(0)
	v_cmp_eq_u64_e32 vcc_lo, v[5:6], v[7:8]
	v_dual_mov_b32 v8, v6 :: v_dual_mov_b32 v7, v5
	s_or_b32 s28, vcc_lo, s28
	s_delay_alu instid0(SALU_CYCLE_1)
	s_and_not1_b32 exec_lo, exec_lo, s28
	s_cbranch_execnz .LBB116_49
; %bb.50:                               ;   in Loop: Header=BB116_43 Depth=1
	s_or_b32 exec_lo, exec_lo, s28
	global_load_b64 v[5:6], v[15:16], off offset:8
	v_mul_f64 v[3:4], v[3:4], v[19:20]
	s_mov_b32 s28, 0
	s_delay_alu instid0(VALU_DEP_1)
	v_fma_f64 v[1:2], v[17:18], v[1:2], v[3:4]
.LBB116_51:                             ;   Parent Loop BB116_43 Depth=1
                                        ; =>  This Inner Loop Header: Depth=2
	s_waitcnt vmcnt(0)
	s_delay_alu instid0(VALU_DEP_1)
	v_add_f64 v[3:4], v[5:6], v[1:2]
	global_atomic_cmpswap_b64 v[3:4], v[15:16], v[3:6], off offset:8 glc
	s_waitcnt vmcnt(0)
	v_cmp_eq_u64_e32 vcc_lo, v[3:4], v[5:6]
	v_dual_mov_b32 v6, v4 :: v_dual_mov_b32 v5, v3
	s_or_b32 s28, vcc_lo, s28
	s_delay_alu instid0(SALU_CYCLE_1)
	s_and_not1_b32 exec_lo, exec_lo, s28
	s_cbranch_execnz .LBB116_51
	s_branch .LBB116_42
.LBB116_52:
	s_or_b32 exec_lo, exec_lo, s3
	s_mov_b32 s2, 0
.LBB116_53:
	s_delay_alu instid0(SALU_CYCLE_1)
	s_and_b32 vcc_lo, exec_lo, s2
	s_cbranch_vccz .LBB116_216
; %bb.54:
	s_load_b32 s2, s[0:1], 0x7c
	s_mov_b32 s7, 0
	s_mov_b64 s[28:29], 0
	s_waitcnt lgkmcnt(0)
	s_and_b32 s6, s2, 0xffff
	s_delay_alu instid0(SALU_CYCLE_1) | instskip(NEXT) | instid1(VALU_DEP_1)
	v_cmp_lt_u64_e64 s2, s[6:7], s[22:23]
	s_and_b32 vcc_lo, exec_lo, s2
	s_cbranch_vccnz .LBB116_56
; %bb.55:
	v_cvt_f32_u32_e32 v1, s22
	s_sub_i32 s3, 0, s22
	s_delay_alu instid0(VALU_DEP_1) | instskip(SKIP_2) | instid1(VALU_DEP_1)
	v_rcp_iflag_f32_e32 v1, v1
	s_waitcnt_depctr 0xfff
	v_mul_f32_e32 v1, 0x4f7ffffe, v1
	v_cvt_u32_f32_e32 v1, v1
	s_delay_alu instid0(VALU_DEP_1) | instskip(NEXT) | instid1(VALU_DEP_1)
	v_readfirstlane_b32 s2, v1
	s_mul_i32 s3, s3, s2
	s_delay_alu instid0(SALU_CYCLE_1) | instskip(NEXT) | instid1(SALU_CYCLE_1)
	s_mul_hi_u32 s3, s2, s3
	s_add_i32 s2, s2, s3
	s_delay_alu instid0(SALU_CYCLE_1) | instskip(NEXT) | instid1(SALU_CYCLE_1)
	s_mul_hi_u32 s2, s6, s2
	s_mul_i32 s3, s2, s22
	s_add_i32 s4, s2, 1
	s_sub_i32 s3, s6, s3
	s_delay_alu instid0(SALU_CYCLE_1)
	s_sub_i32 s5, s3, s22
	s_cmp_ge_u32 s3, s22
	s_cselect_b32 s2, s4, s2
	s_cselect_b32 s3, s5, s3
	s_add_i32 s4, s2, 1
	s_cmp_ge_u32 s3, s22
	s_cselect_b32 s28, s4, s2
.LBB116_56:
	s_lshl_b64 s[2:3], s[16:17], 3
	v_sub_co_u32 v1, s7, v0, s24
	s_add_u32 s26, s8, s2
	s_addc_u32 s27, s9, s3
	s_load_b64 s[4:5], s[26:27], 0x0
	s_load_b128 s[0:3], s[0:1], 0x8
	v_sub_co_ci_u32_e64 v2, null, 0, 0, s7
	s_waitcnt lgkmcnt(0)
	v_add_co_u32 v14, vcc_lo, s4, v1
	s_delay_alu instid0(VALU_DEP_2) | instskip(SKIP_1) | instid1(VALU_DEP_3)
	v_add_co_ci_u32_e32 v15, vcc_lo, s5, v2, vcc_lo
	v_mov_b32_e32 v1, 0
	v_add_co_u32 v16, vcc_lo, 0x300, v14
	s_delay_alu instid0(VALU_DEP_3) | instskip(NEXT) | instid1(VALU_DEP_1)
	v_add_co_ci_u32_e32 v17, vcc_lo, 0, v15, vcc_lo
	v_cmp_le_i64_e32 vcc_lo, s[0:1], v[16:17]
	s_and_saveexec_b32 s0, vcc_lo
	s_delay_alu instid0(SALU_CYCLE_1)
	s_xor_b32 s7, exec_lo, s0
	s_cbranch_execnz .LBB116_59
; %bb.57:
	s_or_saveexec_b32 s1, s7
	v_lshlrev_b64 v[2:3], 3, v[14:15]
	s_xor_b32 exec_lo, exec_lo, s1
	s_cbranch_execnz .LBB116_63
.LBB116_58:
	s_or_b32 exec_lo, exec_lo, s1
	s_delay_alu instid0(SALU_CYCLE_1)
	s_mov_b32 s1, exec_lo
	v_cmpx_gt_i64_e64 s[2:3], v[0:1]
	s_cbranch_execnz .LBB116_64
	s_branch .LBB116_66
.LBB116_59:
	s_lshl_b64 s[0:1], s[18:19], 3
	s_mov_b32 s29, exec_lo
	s_add_u32 s0, s8, s0
	s_addc_u32 s1, s9, s1
	s_load_b64 s[0:1], s[0:1], 0x0
	s_waitcnt lgkmcnt(0)
	s_sub_u32 s30, s0, s4
	s_subb_u32 s31, s1, s5
	s_delay_alu instid0(SALU_CYCLE_1)
	v_cmpx_gt_i64_e64 s[30:31], v[0:1]
	s_cbranch_execz .LBB116_62
; %bb.60:
	v_lshlrev_b64 v[2:3], 3, v[14:15]
	v_dual_mov_b32 v6, v26 :: v_dual_mov_b32 v5, v1
	v_mov_b32_e32 v4, v0
	s_mov_b32 s33, 0
	s_delay_alu instid0(VALU_DEP_3) | instskip(NEXT) | instid1(VALU_DEP_1)
	v_add_co_u32 v2, s0, v2, s12
	v_add_co_ci_u32_e64 v3, s0, s13, v3, s0
	s_delay_alu instid0(VALU_DEP_2) | instskip(NEXT) | instid1(VALU_DEP_1)
	v_add_co_u32 v2, s0, v2, 4
	v_add_co_ci_u32_e64 v3, s0, 0, v3, s0
	s_set_inst_prefetch_distance 0x1
	.p2align	6
.LBB116_61:                             ; =>This Inner Loop Header: Depth=1
	global_load_b64 v[7:8], v[2:3], off offset:-4
	v_add_co_u32 v4, s0, 0x100, v4
	s_delay_alu instid0(VALU_DEP_1) | instskip(SKIP_1) | instid1(VALU_DEP_1)
	v_add_co_ci_u32_e64 v5, s0, 0, v5, s0
	v_add_co_u32 v2, s0, 0x800, v2
	v_add_co_ci_u32_e64 v3, s0, 0, v3, s0
	s_delay_alu instid0(VALU_DEP_3) | instskip(NEXT) | instid1(VALU_DEP_1)
	v_cmp_le_i64_e64 s1, s[30:31], v[4:5]
	s_or_b32 s33, s1, s33
	s_waitcnt vmcnt(0)
	v_cndmask_b32_e64 v8, v8, -v8, s25
	s_delay_alu instid0(VALU_DEP_1) | instskip(SKIP_1) | instid1(VALU_DEP_2)
	v_cvt_f64_f32_e32 v[18:19], v8
	v_cvt_f64_f32_e32 v[7:8], v7
	v_mul_f64 v[20:21], -v[11:12], v[18:19]
	v_mul_f64 v[22:23], v[9:10], v[18:19]
	s_delay_alu instid0(VALU_DEP_2) | instskip(NEXT) | instid1(VALU_DEP_2)
	v_fma_f64 v[18:19], v[9:10], v[7:8], v[20:21]
	v_fma_f64 v[20:21], v[11:12], v[7:8], v[22:23]
	ds_store_b128 v6, v[18:21]
	v_add_nc_u32_e32 v6, 0x1000, v6
	s_and_not1_b32 exec_lo, exec_lo, s33
	s_cbranch_execnz .LBB116_61
.LBB116_62:
	s_set_inst_prefetch_distance 0x2
	s_or_b32 exec_lo, exec_lo, s29
                                        ; implicit-def: $vgpr11_vgpr12
                                        ; implicit-def: $vgpr9_vgpr10
	s_or_saveexec_b32 s1, s7
	v_lshlrev_b64 v[2:3], 3, v[14:15]
	s_xor_b32 exec_lo, exec_lo, s1
	s_cbranch_execz .LBB116_58
.LBB116_63:
	s_delay_alu instid0(VALU_DEP_1) | instskip(NEXT) | instid1(VALU_DEP_1)
	v_add_co_u32 v4, s0, s12, v2
	v_add_co_ci_u32_e64 v5, s0, s13, v3, s0
	s_delay_alu instid0(VALU_DEP_2) | instskip(NEXT) | instid1(VALU_DEP_1)
	v_add_co_u32 v6, s0, 0x1000, v4
	v_add_co_ci_u32_e64 v7, s0, 0, v5, s0
	s_clause 0x3
	global_load_b64 v[18:19], v[4:5], off
	global_load_b64 v[4:5], v[4:5], off offset:2048
	global_load_b64 v[20:21], v[6:7], off
	global_load_b64 v[6:7], v[6:7], off offset:2048
	s_waitcnt vmcnt(3)
	v_cndmask_b32_e64 v8, v19, -v19, s25
	s_waitcnt vmcnt(2)
	v_cndmask_b32_e64 v5, v5, -v5, s25
	;; [unrolled: 2-line block ×4, first 2 shown]
	v_cvt_f64_f32_e32 v[29:30], v4
	v_cvt_f64_f32_e32 v[21:22], v8
	;; [unrolled: 1-line block ×8, first 2 shown]
	v_mul_f64 v[4:5], -v[11:12], v[21:22]
	v_mul_f64 v[20:21], v[9:10], v[21:22]
	v_mul_f64 v[35:36], -v[11:12], v[7:8]
	v_mul_f64 v[37:38], v[9:10], v[7:8]
	;; [unrolled: 2-line block ×4, first 2 shown]
	v_fma_f64 v[4:5], v[9:10], v[18:19], v[4:5]
	v_fma_f64 v[6:7], v[11:12], v[18:19], v[20:21]
	;; [unrolled: 1-line block ×8, first 2 shown]
	ds_store_b128 v26, v[4:7]
	ds_store_b128 v26, v[18:21] offset:4096
	ds_store_b128 v26, v[22:25] offset:8192
	;; [unrolled: 1-line block ×3, first 2 shown]
	s_or_b32 exec_lo, exec_lo, s1
	s_delay_alu instid0(SALU_CYCLE_1)
	s_mov_b32 s1, exec_lo
	v_cmpx_gt_i64_e64 s[2:3], v[0:1]
	s_cbranch_execz .LBB116_66
.LBB116_64:
	s_mov_b32 s12, 0
	v_lshl_add_u32 v10, v0, 4, 0x4000
	s_mov_b32 s13, s12
	s_mov_b32 s30, s12
	;; [unrolled: 1-line block ×3, first 2 shown]
	v_dual_mov_b32 v4, s12 :: v_dual_mov_b32 v5, s13
	v_dual_mov_b32 v6, s30 :: v_dual_mov_b32 v7, s31
	;; [unrolled: 1-line block ×3, first 2 shown]
.LBB116_65:                             ; =>This Inner Loop Header: Depth=1
	s_delay_alu instid0(VALU_DEP_1) | instskip(NEXT) | instid1(VALU_DEP_1)
	v_add_co_u32 v8, s0, 0x100, v8
	v_add_co_ci_u32_e64 v9, s0, 0, v9, s0
	ds_store_2addr_b64 v10, v[4:5], v[6:7] offset1:1
	v_add_nc_u32_e32 v10, 0x1000, v10
	v_cmp_le_i64_e64 s0, s[2:3], v[8:9]
	s_delay_alu instid0(VALU_DEP_1) | instskip(NEXT) | instid1(SALU_CYCLE_1)
	s_or_b32 s12, s0, s12
	s_and_not1_b32 exec_lo, exec_lo, s12
	s_cbranch_execnz .LBB116_65
.LBB116_66:
	s_or_b32 exec_lo, exec_lo, s1
	v_cmp_ge_i64_e64 s0, s[18:19], s[2:3]
	s_sub_u32 s1, s18, s2
	s_subb_u32 s7, s19, s3
	s_waitcnt lgkmcnt(0)
	s_barrier
	buffer_gl0_inv
	s_and_b32 s0, s0, exec_lo
	s_cselect_b32 s13, s7, 0
	s_cselect_b32 s12, s1, 0
	s_and_saveexec_b32 s0, vcc_lo
	s_delay_alu instid0(SALU_CYCLE_1)
	s_xor_b32 s7, exec_lo, s0
	s_cbranch_execz .LBB116_91
; %bb.67:
	s_lshl_b64 s[0:1], s[18:19], 3
	s_mov_b32 s25, exec_lo
	s_add_u32 s0, s8, s0
	s_addc_u32 s1, s9, s1
	s_load_b64 s[0:1], s[0:1], 0x0
	s_waitcnt lgkmcnt(0)
	s_sub_u32 s30, s0, s4
	s_subb_u32 s31, s1, s5
	s_delay_alu instid0(SALU_CYCLE_1)
	v_cmpx_gt_i64_e64 s[30:31], v[0:1]
	s_cbranch_execz .LBB116_90
; %bb.68:
	s_add_u32 s34, s18, -1
	s_addc_u32 s35, s19, -1
	s_add_u32 s36, s18, -2
	v_cmp_gt_i64_e64 s29, s[34:35], s[16:17]
	s_addc_u32 s37, s19, -1
	s_mov_b64 s[38:39], 0
	s_cmp_lg_u64 s[36:37], s[16:17]
	s_cselect_b32 s33, -1, 0
	s_delay_alu instid0(VALU_DEP_1) | instid1(SALU_CYCLE_1)
	s_and_b32 s29, s29, s33
	s_sub_u32 s36, s0, s24
	s_subb_u32 s37, s1, 0
	s_mov_b32 s1, 0
	s_branch .LBB116_71
.LBB116_69:                             ;   in Loop: Header=BB116_71 Depth=1
	s_or_b32 exec_lo, exec_lo, s0
.LBB116_70:                             ;   in Loop: Header=BB116_71 Depth=1
	s_delay_alu instid0(SALU_CYCLE_1) | instskip(SKIP_3) | instid1(VALU_DEP_1)
	s_or_b32 exec_lo, exec_lo, s33
	v_lshlrev_b64 v[6:7], 4, v[16:17]
	s_add_u32 s38, s38, 0x100
	s_addc_u32 s39, s39, 0
	v_add_co_u32 v6, vcc_lo, s14, v6
	s_delay_alu instid0(VALU_DEP_2) | instskip(SKIP_4) | instid1(VALU_DEP_2)
	v_add_co_ci_u32_e32 v7, vcc_lo, s15, v7, vcc_lo
	global_load_b128 v[6:9], v[6:7], off
	s_waitcnt vmcnt(0)
	v_mul_f64 v[10:11], v[8:9], v[18:19]
	v_mul_f64 v[8:9], v[8:9], v[2:3]
	v_fma_f64 v[2:3], v[2:3], v[6:7], v[10:11]
	s_delay_alu instid0(VALU_DEP_2) | instskip(SKIP_1) | instid1(VALU_DEP_1)
	v_fma_f64 v[4:5], v[4:5], v[6:7], v[8:9]
	v_add_co_u32 v6, s0, s38, v0
	v_add_co_ci_u32_e64 v7, null, s39, 0, s0
	s_delay_alu instid0(VALU_DEP_1)
	v_cmp_le_i64_e32 vcc_lo, s[30:31], v[6:7]
	v_lshlrev_b32_e32 v6, 4, v24
	s_or_b32 s1, vcc_lo, s1
	ds_store_b128 v6, v[2:5]
	s_and_not1_b32 exec_lo, exec_lo, s1
	s_cbranch_execz .LBB116_90
.LBB116_71:                             ; =>This Loop Header: Depth=1
                                        ;     Child Loop BB116_73 Depth 2
                                        ;     Child Loop BB116_80 Depth 2
	;; [unrolled: 1-line block ×5, first 2 shown]
	v_add_co_u32 v2, vcc_lo, s38, v14
	v_add_co_ci_u32_e32 v3, vcc_lo, s39, v15, vcc_lo
	v_dual_mov_b32 v4, s16 :: v_dual_mov_b32 v5, s17
	v_dual_mov_b32 v6, s34 :: v_dual_mov_b32 v7, s35
	s_and_not1_b32 vcc_lo, exec_lo, s29
	s_cbranch_vccnz .LBB116_75
; %bb.72:                               ;   in Loop: Header=BB116_71 Depth=1
	v_dual_mov_b32 v4, s16 :: v_dual_mov_b32 v5, s17
	v_dual_mov_b32 v6, s34 :: v_dual_mov_b32 v7, s35
	s_mov_b32 s33, 0
	s_set_inst_prefetch_distance 0x1
	.p2align	6
.LBB116_73:                             ;   Parent Loop BB116_71 Depth=1
                                        ; =>  This Inner Loop Header: Depth=2
	s_delay_alu instid0(VALU_DEP_1) | instskip(NEXT) | instid1(VALU_DEP_2)
	v_add_co_u32 v8, vcc_lo, v6, v4
	v_add_co_ci_u32_e32 v9, vcc_lo, v7, v5, vcc_lo
	s_delay_alu instid0(VALU_DEP_1) | instskip(NEXT) | instid1(VALU_DEP_1)
	v_lshrrev_b32_e32 v10, 31, v9
	v_add_co_u32 v8, vcc_lo, v8, v10
	v_add_co_ci_u32_e32 v9, vcc_lo, 0, v9, vcc_lo
	s_delay_alu instid0(VALU_DEP_1) | instskip(NEXT) | instid1(VALU_DEP_1)
	v_ashrrev_i64 v[8:9], 1, v[8:9]
	v_lshlrev_b64 v[10:11], 3, v[8:9]
	s_delay_alu instid0(VALU_DEP_1) | instskip(NEXT) | instid1(VALU_DEP_2)
	v_add_co_u32 v10, vcc_lo, s8, v10
	v_add_co_ci_u32_e32 v11, vcc_lo, s9, v11, vcc_lo
	global_load_b64 v[10:11], v[10:11], off
	s_waitcnt vmcnt(0)
	v_sub_co_u32 v10, vcc_lo, v10, s24
	v_subrev_co_ci_u32_e32 v11, vcc_lo, 0, v11, vcc_lo
	s_delay_alu instid0(VALU_DEP_1) | instskip(SKIP_2) | instid1(VALU_DEP_2)
	v_cmp_gt_i64_e32 vcc_lo, v[10:11], v[2:3]
	v_dual_cndmask_b32 v7, v7, v9 :: v_dual_cndmask_b32 v6, v6, v8
	v_dual_cndmask_b32 v5, v9, v5 :: v_dual_cndmask_b32 v4, v8, v4
	v_add_co_u32 v8, vcc_lo, v6, -1
	s_delay_alu instid0(VALU_DEP_3) | instskip(NEXT) | instid1(VALU_DEP_3)
	v_add_co_ci_u32_e32 v9, vcc_lo, -1, v7, vcc_lo
	v_cmp_ge_i64_e32 vcc_lo, v[4:5], v[6:7]
	s_delay_alu instid0(VALU_DEP_2) | instskip(NEXT) | instid1(VALU_DEP_1)
	v_cmp_eq_u64_e64 s0, v[4:5], v[8:9]
	s_or_b32 s0, vcc_lo, s0
	s_delay_alu instid0(SALU_CYCLE_1) | instskip(NEXT) | instid1(SALU_CYCLE_1)
	s_and_b32 s0, exec_lo, s0
	s_or_b32 s33, s0, s33
	s_delay_alu instid0(SALU_CYCLE_1)
	s_and_not1_b32 exec_lo, exec_lo, s33
	s_cbranch_execnz .LBB116_73
; %bb.74:                               ;   in Loop: Header=BB116_71 Depth=1
	s_set_inst_prefetch_distance 0x2
	s_or_b32 exec_lo, exec_lo, s33
.LBB116_75:                             ;   in Loop: Header=BB116_71 Depth=1
	s_delay_alu instid0(VALU_DEP_1) | instskip(SKIP_2) | instid1(VALU_DEP_3)
	v_lshlrev_b64 v[8:9], 3, v[6:7]
	v_lshlrev_b64 v[10:11], 3, v[2:3]
	v_add_co_u32 v24, null, s38, v0
                                        ; implicit-def: $vgpr18_vgpr19
	v_add_co_u32 v8, vcc_lo, s8, v8
	s_delay_alu instid0(VALU_DEP_4) | instskip(NEXT) | instid1(VALU_DEP_4)
	v_add_co_ci_u32_e32 v9, vcc_lo, s9, v9, vcc_lo
	v_add_co_u32 v10, vcc_lo, s10, v10
	v_add_co_ci_u32_e32 v11, vcc_lo, s11, v11, vcc_lo
	global_load_b64 v[8:9], v[8:9], off
	global_load_b64 v[10:11], v[10:11], off
	s_waitcnt vmcnt(1)
	v_sub_co_u32 v8, vcc_lo, v8, s24
	v_subrev_co_ci_u32_e32 v9, vcc_lo, 0, v9, vcc_lo
	s_waitcnt vmcnt(0)
	v_sub_co_u32 v16, s0, v10, s24
	s_delay_alu instid0(VALU_DEP_1) | instskip(NEXT) | instid1(VALU_DEP_3)
	v_subrev_co_ci_u32_e64 v17, s0, 0, v11, s0
	v_cmp_gt_i64_e32 vcc_lo, v[8:9], v[2:3]
	v_cmp_le_i64_e64 s0, s[36:37], v[2:3]
	v_lshlrev_b32_e32 v10, 4, v24
                                        ; implicit-def: $vgpr2_vgpr3
	v_dual_cndmask_b32 v7, v7, v5 :: v_dual_cndmask_b32 v6, v6, v4
	s_delay_alu instid0(VALU_DEP_1) | instskip(NEXT) | instid1(VALU_DEP_4)
	v_cmp_eq_u64_e32 vcc_lo, v[16:17], v[6:7]
	s_or_b32 s0, vcc_lo, s0
	s_delay_alu instid0(SALU_CYCLE_1) | instskip(NEXT) | instid1(SALU_CYCLE_1)
	s_and_saveexec_b32 s33, s0
	s_xor_b32 s0, exec_lo, s33
	s_cbranch_execz .LBB116_77
; %bb.76:                               ;   in Loop: Header=BB116_71 Depth=1
	ds_load_b128 v[2:5], v10
                                        ; implicit-def: $vgpr6_vgpr7
                                        ; implicit-def: $vgpr10
	s_waitcnt lgkmcnt(0)
	v_xor_b32_e32 v19, 0x80000000, v5
	v_mov_b32_e32 v18, v4
.LBB116_77:                             ;   in Loop: Header=BB116_71 Depth=1
	s_and_not1_saveexec_b32 s33, s0
	s_cbranch_execz .LBB116_70
; %bb.78:                               ;   in Loop: Header=BB116_71 Depth=1
	v_cmp_gt_i64_e32 vcc_lo, s[12:13], v[16:17]
	v_cmp_le_i64_e64 s0, s[18:19], v[16:17]
	v_lshlrev_b64 v[6:7], 4, v[6:7]
                                        ; implicit-def: $vgpr2_vgpr3
                                        ; implicit-def: $vgpr18_vgpr19
	s_delay_alu instid0(VALU_DEP_2) | instskip(NEXT) | instid1(SALU_CYCLE_1)
	s_or_b32 s0, vcc_lo, s0
	s_and_saveexec_b32 s40, s0
	s_delay_alu instid0(SALU_CYCLE_1)
	s_xor_b32 s0, exec_lo, s40
	s_cbranch_execz .LBB116_84
; %bb.79:                               ;   in Loop: Header=BB116_71 Depth=1
	s_delay_alu instid0(VALU_DEP_1) | instskip(SKIP_4) | instid1(VALU_DEP_1)
	v_add_co_u32 v2, vcc_lo, s14, v6
	v_add_co_ci_u32_e32 v3, vcc_lo, s15, v7, vcc_lo
	s_mov_b32 s40, 0
	global_load_b128 v[6:9], v[2:3], off
	v_lshlrev_b64 v[2:3], 4, v[16:17]
	v_add_co_u32 v20, vcc_lo, s20, v2
	s_delay_alu instid0(VALU_DEP_2)
	v_add_co_ci_u32_e32 v21, vcc_lo, s21, v3, vcc_lo
	ds_load_b128 v[2:5], v10
	global_load_b64 v[12:13], v[20:21], off
	s_waitcnt lgkmcnt(0)
	v_xor_b32_e32 v19, 0x80000000, v5
	v_mov_b32_e32 v18, v4
	s_waitcnt vmcnt(1)
	v_mul_f64 v[10:11], v[8:9], -v[4:5]
	s_delay_alu instid0(VALU_DEP_1)
	v_fma_f64 v[22:23], v[2:3], v[6:7], v[10:11]
.LBB116_80:                             ;   Parent Loop BB116_71 Depth=1
                                        ; =>  This Inner Loop Header: Depth=2
	s_waitcnt vmcnt(0)
	s_delay_alu instid0(VALU_DEP_1)
	v_add_f64 v[10:11], v[12:13], v[22:23]
	global_atomic_cmpswap_b64 v[10:11], v[20:21], v[10:13], off glc
	s_waitcnt vmcnt(0)
	v_cmp_eq_u64_e32 vcc_lo, v[10:11], v[12:13]
	v_dual_mov_b32 v13, v11 :: v_dual_mov_b32 v12, v10
	s_or_b32 s40, vcc_lo, s40
	s_delay_alu instid0(SALU_CYCLE_1)
	s_and_not1_b32 exec_lo, exec_lo, s40
	s_cbranch_execnz .LBB116_80
; %bb.81:                               ;   in Loop: Header=BB116_71 Depth=1
	s_or_b32 exec_lo, exec_lo, s40
	global_load_b64 v[10:11], v[20:21], off offset:8
	v_mul_f64 v[8:9], v[8:9], v[2:3]
	s_mov_b32 s40, 0
	s_delay_alu instid0(VALU_DEP_1)
	v_fma_f64 v[6:7], v[4:5], v[6:7], v[8:9]
.LBB116_82:                             ;   Parent Loop BB116_71 Depth=1
                                        ; =>  This Inner Loop Header: Depth=2
	s_waitcnt vmcnt(0)
	s_delay_alu instid0(VALU_DEP_1)
	v_add_f64 v[8:9], v[10:11], v[6:7]
	global_atomic_cmpswap_b64 v[8:9], v[20:21], v[8:11], off offset:8 glc
	s_waitcnt vmcnt(0)
	v_cmp_eq_u64_e32 vcc_lo, v[8:9], v[10:11]
	v_dual_mov_b32 v11, v9 :: v_dual_mov_b32 v10, v8
	s_or_b32 s40, vcc_lo, s40
	s_delay_alu instid0(SALU_CYCLE_1)
	s_and_not1_b32 exec_lo, exec_lo, s40
	s_cbranch_execnz .LBB116_82
; %bb.83:                               ;   in Loop: Header=BB116_71 Depth=1
	s_or_b32 exec_lo, exec_lo, s40
                                        ; implicit-def: $vgpr6_vgpr7
                                        ; implicit-def: $vgpr10
.LBB116_84:                             ;   in Loop: Header=BB116_71 Depth=1
	s_and_not1_saveexec_b32 s0, s0
	s_cbranch_execz .LBB116_69
; %bb.85:                               ;   in Loop: Header=BB116_71 Depth=1
	v_add_co_u32 v2, vcc_lo, s14, v6
	v_add_co_ci_u32_e32 v3, vcc_lo, s15, v7, vcc_lo
	v_subrev_nc_u32_e32 v12, s12, v16
	s_mov_b32 s40, 0
	global_load_b128 v[6:9], v[2:3], off
	ds_load_b128 v[2:5], v10
	v_lshl_add_u32 v20, v12, 4, 0x4000
	ds_load_b64 v[12:13], v20
	s_waitcnt lgkmcnt(1)
	v_xor_b32_e32 v19, 0x80000000, v5
	v_mov_b32_e32 v18, v4
	s_waitcnt vmcnt(0)
	v_mul_f64 v[10:11], v[8:9], -v[4:5]
	s_delay_alu instid0(VALU_DEP_1)
	v_fma_f64 v[10:11], v[2:3], v[6:7], v[10:11]
.LBB116_86:                             ;   Parent Loop BB116_71 Depth=1
                                        ; =>  This Inner Loop Header: Depth=2
	s_waitcnt lgkmcnt(0)
	s_delay_alu instid0(VALU_DEP_1)
	v_add_f64 v[21:22], v[12:13], v[10:11]
	ds_cmpstore_rtn_b64 v[21:22], v20, v[21:22], v[12:13]
	s_waitcnt lgkmcnt(0)
	v_cmp_eq_u64_e32 vcc_lo, v[21:22], v[12:13]
	v_dual_mov_b32 v12, v21 :: v_dual_mov_b32 v13, v22
	s_or_b32 s40, vcc_lo, s40
	s_delay_alu instid0(SALU_CYCLE_1)
	s_and_not1_b32 exec_lo, exec_lo, s40
	s_cbranch_execnz .LBB116_86
; %bb.87:                               ;   in Loop: Header=BB116_71 Depth=1
	s_or_b32 exec_lo, exec_lo, s40
	v_mul_f64 v[8:9], v[8:9], v[2:3]
	s_mov_b32 s40, 0
	s_delay_alu instid0(VALU_DEP_1)
	v_fma_f64 v[6:7], v[4:5], v[6:7], v[8:9]
	ds_load_b64 v[8:9], v20 offset:8
.LBB116_88:                             ;   Parent Loop BB116_71 Depth=1
                                        ; =>  This Inner Loop Header: Depth=2
	s_waitcnt lgkmcnt(0)
	v_add_f64 v[10:11], v[8:9], v[6:7]
	ds_cmpstore_rtn_b64 v[10:11], v20, v[10:11], v[8:9] offset:8
	s_waitcnt lgkmcnt(0)
	v_cmp_eq_u64_e32 vcc_lo, v[10:11], v[8:9]
	v_dual_mov_b32 v8, v10 :: v_dual_mov_b32 v9, v11
	s_or_b32 s40, vcc_lo, s40
	s_delay_alu instid0(SALU_CYCLE_1)
	s_and_not1_b32 exec_lo, exec_lo, s40
	s_cbranch_execnz .LBB116_88
; %bb.89:                               ;   in Loop: Header=BB116_71 Depth=1
	s_or_b32 exec_lo, exec_lo, s40
	s_branch .LBB116_69
.LBB116_90:
	s_or_b32 exec_lo, exec_lo, s25
                                        ; implicit-def: $vgpr16_vgpr17
                                        ; implicit-def: $vgpr14
                                        ; implicit-def: $vgpr2_vgpr3
.LBB116_91:
	s_and_not1_saveexec_b32 s1, s7
	s_cbranch_execz .LBB116_165
; %bb.92:
	s_add_u32 s30, s18, -1
	s_addc_u32 s31, s19, -1
	s_add_u32 s34, s18, -2
	v_cmp_le_i64_e64 s0, s[30:31], s[16:17]
	s_addc_u32 s35, s19, -1
	v_dual_mov_b32 v4, s16 :: v_dual_mov_b32 v5, s17
	s_cmp_eq_u64 s[34:35], s[16:17]
	v_dual_mov_b32 v6, s30 :: v_dual_mov_b32 v7, s31
	s_cselect_b32 s7, -1, 0
	s_delay_alu instid0(SALU_CYCLE_1) | instskip(NEXT) | instid1(SALU_CYCLE_1)
	s_or_b32 s7, s0, s7
	s_and_b32 vcc_lo, exec_lo, s7
	s_cbranch_vccnz .LBB116_96
; %bb.93:
	v_dual_mov_b32 v4, s16 :: v_dual_mov_b32 v5, s17
	v_dual_mov_b32 v6, s30 :: v_dual_mov_b32 v7, s31
	s_mov_b32 s25, 0
	s_set_inst_prefetch_distance 0x1
	.p2align	6
.LBB116_94:                             ; =>This Inner Loop Header: Depth=1
	s_delay_alu instid0(VALU_DEP_1) | instskip(NEXT) | instid1(VALU_DEP_2)
	v_add_co_u32 v8, vcc_lo, v6, v4
	v_add_co_ci_u32_e32 v9, vcc_lo, v7, v5, vcc_lo
	s_delay_alu instid0(VALU_DEP_1) | instskip(NEXT) | instid1(VALU_DEP_1)
	v_lshrrev_b32_e32 v10, 31, v9
	v_add_co_u32 v8, vcc_lo, v8, v10
	v_add_co_ci_u32_e32 v9, vcc_lo, 0, v9, vcc_lo
	s_delay_alu instid0(VALU_DEP_1) | instskip(NEXT) | instid1(VALU_DEP_1)
	v_ashrrev_i64 v[8:9], 1, v[8:9]
	v_lshlrev_b64 v[10:11], 3, v[8:9]
	s_delay_alu instid0(VALU_DEP_1) | instskip(NEXT) | instid1(VALU_DEP_2)
	v_add_co_u32 v10, vcc_lo, s8, v10
	v_add_co_ci_u32_e32 v11, vcc_lo, s9, v11, vcc_lo
	global_load_b64 v[10:11], v[10:11], off
	s_waitcnt vmcnt(0)
	v_sub_co_u32 v10, vcc_lo, v10, s24
	v_subrev_co_ci_u32_e32 v11, vcc_lo, 0, v11, vcc_lo
	s_delay_alu instid0(VALU_DEP_1) | instskip(SKIP_2) | instid1(VALU_DEP_2)
	v_cmp_gt_i64_e32 vcc_lo, v[10:11], v[14:15]
	v_dual_cndmask_b32 v7, v7, v9 :: v_dual_cndmask_b32 v6, v6, v8
	v_dual_cndmask_b32 v5, v9, v5 :: v_dual_cndmask_b32 v4, v8, v4
	v_add_co_u32 v8, vcc_lo, v6, -1
	s_delay_alu instid0(VALU_DEP_3) | instskip(NEXT) | instid1(VALU_DEP_3)
	v_add_co_ci_u32_e32 v9, vcc_lo, -1, v7, vcc_lo
	v_cmp_ge_i64_e32 vcc_lo, v[4:5], v[6:7]
	s_delay_alu instid0(VALU_DEP_2) | instskip(NEXT) | instid1(VALU_DEP_1)
	v_cmp_eq_u64_e64 s0, v[4:5], v[8:9]
	s_or_b32 s0, vcc_lo, s0
	s_delay_alu instid0(SALU_CYCLE_1) | instskip(NEXT) | instid1(SALU_CYCLE_1)
	s_and_b32 s0, exec_lo, s0
	s_or_b32 s25, s0, s25
	s_delay_alu instid0(SALU_CYCLE_1)
	s_and_not1_b32 exec_lo, exec_lo, s25
	s_cbranch_execnz .LBB116_94
; %bb.95:
	s_set_inst_prefetch_distance 0x2
	s_or_b32 exec_lo, exec_lo, s25
.LBB116_96:
	v_lshlrev_b64 v[8:9], 3, v[6:7]
	s_xor_b32 s7, s7, -1
	s_mov_b32 s25, exec_lo
	s_delay_alu instid0(VALU_DEP_1) | instskip(NEXT) | instid1(VALU_DEP_2)
	v_add_co_u32 v8, vcc_lo, s8, v8
	v_add_co_ci_u32_e32 v9, vcc_lo, s9, v9, vcc_lo
	v_add_co_u32 v18, vcc_lo, s10, v2
	v_add_co_ci_u32_e32 v19, vcc_lo, s11, v3, vcc_lo
	global_load_b64 v[8:9], v[8:9], off
	s_lshl_b64 s[10:11], s[18:19], 3
	global_load_b64 v[10:11], v[18:19], off
	s_add_u32 s10, s8, s10
	s_addc_u32 s11, s9, s11
	s_waitcnt vmcnt(1)
	v_sub_co_u32 v2, vcc_lo, v8, s24
	v_subrev_co_ci_u32_e32 v3, vcc_lo, 0, v9, vcc_lo
	s_delay_alu instid0(VALU_DEP_1) | instskip(SKIP_4) | instid1(VALU_DEP_1)
	v_cmp_gt_i64_e32 vcc_lo, v[2:3], v[14:15]
	v_dual_cndmask_b32 v3, v7, v5 :: v_dual_cndmask_b32 v2, v6, v4
	s_waitcnt vmcnt(0)
	v_sub_co_u32 v20, vcc_lo, v10, s24
	v_subrev_co_ci_u32_e32 v21, vcc_lo, 0, v11, vcc_lo
	v_cmpx_ne_u64_e64 v[20:21], v[2:3]
	s_cbranch_execz .LBB116_110
; %bb.97:
	s_load_b64 s[34:35], s[10:11], 0x0
	s_waitcnt lgkmcnt(0)
	s_sub_u32 s34, s34, s24
	s_subb_u32 s35, s35, 0
	s_delay_alu instid0(SALU_CYCLE_1)
	v_cmp_gt_i64_e32 vcc_lo, s[34:35], v[14:15]
	s_and_b32 exec_lo, exec_lo, vcc_lo
	s_cbranch_execz .LBB116_110
; %bb.98:
	v_cmp_gt_i64_e32 vcc_lo, s[12:13], v[20:21]
	v_cmp_le_i64_e64 s0, s[18:19], v[20:21]
	v_lshlrev_b64 v[2:3], 4, v[2:3]
	s_delay_alu instid0(VALU_DEP_2) | instskip(NEXT) | instid1(SALU_CYCLE_1)
	s_or_b32 s0, vcc_lo, s0
	s_and_saveexec_b32 s29, s0
	s_delay_alu instid0(SALU_CYCLE_1)
	s_xor_b32 s0, exec_lo, s29
	s_cbranch_execz .LBB116_104
; %bb.99:
	s_delay_alu instid0(VALU_DEP_1)
	v_add_co_u32 v2, vcc_lo, s14, v2
	v_add_co_ci_u32_e32 v3, vcc_lo, s15, v3, vcc_lo
	v_lshlrev_b64 v[6:7], 4, v[20:21]
	s_mov_b32 s29, 0
	global_load_b128 v[2:5], v[2:3], off
	v_add_co_u32 v22, vcc_lo, s20, v6
	v_add_co_ci_u32_e32 v23, vcc_lo, s21, v7, vcc_lo
	ds_load_b128 v[6:9], v26
	global_load_b64 v[12:13], v[22:23], off
	s_waitcnt vmcnt(1) lgkmcnt(0)
	v_mul_f64 v[10:11], v[4:5], -v[8:9]
	s_delay_alu instid0(VALU_DEP_1)
	v_fma_f64 v[24:25], v[6:7], v[2:3], v[10:11]
.LBB116_100:                            ; =>This Inner Loop Header: Depth=1
	s_waitcnt vmcnt(0)
	s_delay_alu instid0(VALU_DEP_1)
	v_add_f64 v[10:11], v[12:13], v[24:25]
	global_atomic_cmpswap_b64 v[10:11], v[22:23], v[10:13], off glc
	s_waitcnt vmcnt(0)
	v_cmp_eq_u64_e32 vcc_lo, v[10:11], v[12:13]
	v_dual_mov_b32 v13, v11 :: v_dual_mov_b32 v12, v10
	s_or_b32 s29, vcc_lo, s29
	s_delay_alu instid0(SALU_CYCLE_1)
	s_and_not1_b32 exec_lo, exec_lo, s29
	s_cbranch_execnz .LBB116_100
; %bb.101:
	s_or_b32 exec_lo, exec_lo, s29
	global_load_b64 v[10:11], v[22:23], off offset:8
	v_mul_f64 v[4:5], v[4:5], v[6:7]
	s_mov_b32 s29, 0
	s_delay_alu instid0(VALU_DEP_1)
	v_fma_f64 v[2:3], v[8:9], v[2:3], v[4:5]
.LBB116_102:                            ; =>This Inner Loop Header: Depth=1
	s_waitcnt vmcnt(0)
	s_delay_alu instid0(VALU_DEP_1)
	v_add_f64 v[8:9], v[10:11], v[2:3]
	global_atomic_cmpswap_b64 v[4:5], v[22:23], v[8:11], off offset:8 glc
	s_waitcnt vmcnt(0)
	v_cmp_eq_u64_e32 vcc_lo, v[4:5], v[10:11]
	v_dual_mov_b32 v11, v5 :: v_dual_mov_b32 v10, v4
	s_or_b32 s29, vcc_lo, s29
	s_delay_alu instid0(SALU_CYCLE_1)
	s_and_not1_b32 exec_lo, exec_lo, s29
	s_cbranch_execnz .LBB116_102
; %bb.103:
	s_or_b32 exec_lo, exec_lo, s29
                                        ; implicit-def: $vgpr2_vgpr3
.LBB116_104:
	s_and_not1_saveexec_b32 s0, s0
	s_cbranch_execz .LBB116_110
; %bb.105:
	v_add_co_u32 v2, vcc_lo, s14, v2
	v_add_co_ci_u32_e32 v3, vcc_lo, s15, v3, vcc_lo
	ds_load_b128 v[6:9], v26
	v_subrev_nc_u32_e32 v12, s12, v20
	s_mov_b32 s0, 0
	global_load_b128 v[2:5], v[2:3], off
	v_lshl_add_u32 v22, v12, 4, 0x4000
	ds_load_b64 v[12:13], v22
	s_waitcnt vmcnt(0) lgkmcnt(1)
	v_mul_f64 v[10:11], v[4:5], -v[8:9]
	s_delay_alu instid0(VALU_DEP_1)
	v_fma_f64 v[10:11], v[6:7], v[2:3], v[10:11]
.LBB116_106:                            ; =>This Inner Loop Header: Depth=1
	s_waitcnt lgkmcnt(0)
	s_delay_alu instid0(VALU_DEP_1)
	v_add_f64 v[23:24], v[12:13], v[10:11]
	ds_cmpstore_rtn_b64 v[23:24], v22, v[23:24], v[12:13]
	s_waitcnt lgkmcnt(0)
	v_cmp_eq_u64_e32 vcc_lo, v[23:24], v[12:13]
	v_dual_mov_b32 v12, v23 :: v_dual_mov_b32 v13, v24
	s_or_b32 s0, vcc_lo, s0
	s_delay_alu instid0(SALU_CYCLE_1)
	s_and_not1_b32 exec_lo, exec_lo, s0
	s_cbranch_execnz .LBB116_106
; %bb.107:
	s_or_b32 exec_lo, exec_lo, s0
	v_mul_f64 v[4:5], v[4:5], v[6:7]
	s_mov_b32 s0, 0
	s_delay_alu instid0(VALU_DEP_1)
	v_fma_f64 v[2:3], v[8:9], v[2:3], v[4:5]
	ds_load_b64 v[4:5], v22 offset:8
.LBB116_108:                            ; =>This Inner Loop Header: Depth=1
	s_waitcnt lgkmcnt(0)
	v_add_f64 v[6:7], v[4:5], v[2:3]
	ds_cmpstore_rtn_b64 v[6:7], v22, v[6:7], v[4:5] offset:8
	s_waitcnt lgkmcnt(0)
	v_cmp_eq_u64_e32 vcc_lo, v[6:7], v[4:5]
	v_dual_mov_b32 v4, v6 :: v_dual_mov_b32 v5, v7
	s_or_b32 s0, vcc_lo, s0
	s_delay_alu instid0(SALU_CYCLE_1)
	s_and_not1_b32 exec_lo, exec_lo, s0
	s_cbranch_execnz .LBB116_108
; %bb.109:
	s_or_b32 exec_lo, exec_lo, s0
.LBB116_110:
	s_delay_alu instid0(SALU_CYCLE_1)
	s_or_b32 exec_lo, exec_lo, s25
	v_lshlrev_b64 v[2:3], 4, v[20:21]
	ds_load_b128 v[6:9], v26
	v_cndmask_b32_e64 v27, 0, 1, s7
	v_add_co_u32 v2, vcc_lo, s14, v2
	v_add_co_ci_u32_e32 v3, vcc_lo, s15, v3, vcc_lo
	global_load_b128 v[2:5], v[2:3], off
	s_waitcnt vmcnt(0) lgkmcnt(0)
	v_mul_f64 v[10:11], v[4:5], -v[8:9]
	v_mul_f64 v[4:5], v[4:5], v[6:7]
	s_delay_alu instid0(VALU_DEP_2) | instskip(NEXT) | instid1(VALU_DEP_2)
	v_fma_f64 v[10:11], v[6:7], v[2:3], v[10:11]
	v_fma_f64 v[12:13], v[8:9], v[2:3], v[4:5]
	v_add_co_u32 v2, vcc_lo, 0x100, v14
	v_add_co_ci_u32_e32 v3, vcc_lo, 0, v15, vcc_lo
	v_dual_mov_b32 v4, s16 :: v_dual_mov_b32 v5, s17
	v_dual_mov_b32 v6, s30 :: v_dual_mov_b32 v7, s31
	s_and_not1_b32 vcc_lo, exec_lo, s7
	ds_store_b128 v26, v[10:13]
	s_cbranch_vccnz .LBB116_114
; %bb.111:
	v_dual_mov_b32 v4, s16 :: v_dual_mov_b32 v5, s17
	v_dual_mov_b32 v6, s30 :: v_dual_mov_b32 v7, s31
	s_mov_b32 s7, 0
	s_set_inst_prefetch_distance 0x1
	.p2align	6
.LBB116_112:                            ; =>This Inner Loop Header: Depth=1
	s_delay_alu instid0(VALU_DEP_1) | instskip(NEXT) | instid1(VALU_DEP_2)
	v_add_co_u32 v8, vcc_lo, v6, v4
	v_add_co_ci_u32_e32 v9, vcc_lo, v7, v5, vcc_lo
	s_delay_alu instid0(VALU_DEP_1) | instskip(NEXT) | instid1(VALU_DEP_1)
	v_lshrrev_b32_e32 v10, 31, v9
	v_add_co_u32 v8, vcc_lo, v8, v10
	v_add_co_ci_u32_e32 v9, vcc_lo, 0, v9, vcc_lo
	s_delay_alu instid0(VALU_DEP_1) | instskip(NEXT) | instid1(VALU_DEP_1)
	v_ashrrev_i64 v[8:9], 1, v[8:9]
	v_lshlrev_b64 v[10:11], 3, v[8:9]
	s_delay_alu instid0(VALU_DEP_1) | instskip(NEXT) | instid1(VALU_DEP_2)
	v_add_co_u32 v10, vcc_lo, s8, v10
	v_add_co_ci_u32_e32 v11, vcc_lo, s9, v11, vcc_lo
	global_load_b64 v[10:11], v[10:11], off
	s_waitcnt vmcnt(0)
	v_sub_co_u32 v10, vcc_lo, v10, s24
	v_subrev_co_ci_u32_e32 v11, vcc_lo, 0, v11, vcc_lo
	s_delay_alu instid0(VALU_DEP_1) | instskip(SKIP_2) | instid1(VALU_DEP_2)
	v_cmp_gt_i64_e32 vcc_lo, v[10:11], v[2:3]
	v_dual_cndmask_b32 v7, v7, v9 :: v_dual_cndmask_b32 v6, v6, v8
	v_dual_cndmask_b32 v5, v9, v5 :: v_dual_cndmask_b32 v4, v8, v4
	v_add_co_u32 v8, vcc_lo, v6, -1
	s_delay_alu instid0(VALU_DEP_3) | instskip(NEXT) | instid1(VALU_DEP_3)
	v_add_co_ci_u32_e32 v9, vcc_lo, -1, v7, vcc_lo
	v_cmp_ge_i64_e32 vcc_lo, v[4:5], v[6:7]
	s_delay_alu instid0(VALU_DEP_2) | instskip(NEXT) | instid1(VALU_DEP_1)
	v_cmp_eq_u64_e64 s0, v[4:5], v[8:9]
	s_or_b32 s0, vcc_lo, s0
	s_delay_alu instid0(SALU_CYCLE_1) | instskip(NEXT) | instid1(SALU_CYCLE_1)
	s_and_b32 s0, exec_lo, s0
	s_or_b32 s7, s0, s7
	s_delay_alu instid0(SALU_CYCLE_1)
	s_and_not1_b32 exec_lo, exec_lo, s7
	s_cbranch_execnz .LBB116_112
; %bb.113:
	s_set_inst_prefetch_distance 0x2
	s_or_b32 exec_lo, exec_lo, s7
.LBB116_114:
	v_lshlrev_b64 v[8:9], 3, v[6:7]
	s_mov_b32 s7, exec_lo
	s_delay_alu instid0(VALU_DEP_1) | instskip(NEXT) | instid1(VALU_DEP_2)
	v_add_co_u32 v8, vcc_lo, s8, v8
	v_add_co_ci_u32_e32 v9, vcc_lo, s9, v9, vcc_lo
	global_load_b64 v[8:9], v[8:9], off
	global_load_b64 v[10:11], v[18:19], off offset:2048
	s_waitcnt vmcnt(1)
	v_sub_co_u32 v8, vcc_lo, v8, s24
	v_subrev_co_ci_u32_e32 v9, vcc_lo, 0, v9, vcc_lo
	s_delay_alu instid0(VALU_DEP_1) | instskip(SKIP_4) | instid1(VALU_DEP_1)
	v_cmp_gt_i64_e32 vcc_lo, v[8:9], v[2:3]
	v_dual_cndmask_b32 v5, v7, v5 :: v_dual_cndmask_b32 v4, v6, v4
	s_waitcnt vmcnt(0)
	v_sub_co_u32 v20, vcc_lo, v10, s24
	v_subrev_co_ci_u32_e32 v21, vcc_lo, 0, v11, vcc_lo
	v_cmpx_ne_u64_e64 v[20:21], v[4:5]
	s_cbranch_execz .LBB116_128
; %bb.115:
	s_load_b64 s[34:35], s[10:11], 0x0
	s_waitcnt lgkmcnt(0)
	s_sub_u32 s34, s34, s24
	s_subb_u32 s35, s35, 0
	s_delay_alu instid0(SALU_CYCLE_1)
	v_cmp_gt_i64_e32 vcc_lo, s[34:35], v[2:3]
	s_and_b32 exec_lo, exec_lo, vcc_lo
	s_cbranch_execz .LBB116_128
; %bb.116:
	v_cmp_gt_i64_e32 vcc_lo, s[12:13], v[20:21]
	v_cmp_le_i64_e64 s0, s[18:19], v[20:21]
	v_lshlrev_b64 v[2:3], 4, v[4:5]
	s_delay_alu instid0(VALU_DEP_2) | instskip(NEXT) | instid1(SALU_CYCLE_1)
	s_or_b32 s0, vcc_lo, s0
	s_and_saveexec_b32 s25, s0
	s_delay_alu instid0(SALU_CYCLE_1)
	s_xor_b32 s0, exec_lo, s25
	s_cbranch_execz .LBB116_122
; %bb.117:
	s_delay_alu instid0(VALU_DEP_1)
	v_add_co_u32 v2, vcc_lo, s14, v2
	v_add_co_ci_u32_e32 v3, vcc_lo, s15, v3, vcc_lo
	v_lshlrev_b64 v[6:7], 4, v[20:21]
	s_mov_b32 s25, 0
	global_load_b128 v[2:5], v[2:3], off
	v_add_co_u32 v22, vcc_lo, s20, v6
	v_add_co_ci_u32_e32 v23, vcc_lo, s21, v7, vcc_lo
	ds_load_b128 v[6:9], v26 offset:4096
	global_load_b64 v[12:13], v[22:23], off
	s_waitcnt vmcnt(1) lgkmcnt(0)
	v_mul_f64 v[10:11], v[4:5], -v[8:9]
	s_delay_alu instid0(VALU_DEP_1)
	v_fma_f64 v[24:25], v[6:7], v[2:3], v[10:11]
.LBB116_118:                            ; =>This Inner Loop Header: Depth=1
	s_waitcnt vmcnt(0)
	s_delay_alu instid0(VALU_DEP_1)
	v_add_f64 v[10:11], v[12:13], v[24:25]
	global_atomic_cmpswap_b64 v[10:11], v[22:23], v[10:13], off glc
	s_waitcnt vmcnt(0)
	v_cmp_eq_u64_e32 vcc_lo, v[10:11], v[12:13]
	v_dual_mov_b32 v13, v11 :: v_dual_mov_b32 v12, v10
	s_or_b32 s25, vcc_lo, s25
	s_delay_alu instid0(SALU_CYCLE_1)
	s_and_not1_b32 exec_lo, exec_lo, s25
	s_cbranch_execnz .LBB116_118
; %bb.119:
	s_or_b32 exec_lo, exec_lo, s25
	global_load_b64 v[10:11], v[22:23], off offset:8
	v_mul_f64 v[4:5], v[4:5], v[6:7]
	s_mov_b32 s25, 0
	s_delay_alu instid0(VALU_DEP_1)
	v_fma_f64 v[2:3], v[8:9], v[2:3], v[4:5]
.LBB116_120:                            ; =>This Inner Loop Header: Depth=1
	s_waitcnt vmcnt(0)
	s_delay_alu instid0(VALU_DEP_1)
	v_add_f64 v[8:9], v[10:11], v[2:3]
	global_atomic_cmpswap_b64 v[4:5], v[22:23], v[8:11], off offset:8 glc
	s_waitcnt vmcnt(0)
	v_cmp_eq_u64_e32 vcc_lo, v[4:5], v[10:11]
	v_dual_mov_b32 v11, v5 :: v_dual_mov_b32 v10, v4
	s_or_b32 s25, vcc_lo, s25
	s_delay_alu instid0(SALU_CYCLE_1)
	s_and_not1_b32 exec_lo, exec_lo, s25
	s_cbranch_execnz .LBB116_120
; %bb.121:
	s_or_b32 exec_lo, exec_lo, s25
                                        ; implicit-def: $vgpr2_vgpr3
.LBB116_122:
	s_and_not1_saveexec_b32 s0, s0
	s_cbranch_execz .LBB116_128
; %bb.123:
	v_add_co_u32 v2, vcc_lo, s14, v2
	v_add_co_ci_u32_e32 v3, vcc_lo, s15, v3, vcc_lo
	ds_load_b128 v[6:9], v26 offset:4096
	v_subrev_nc_u32_e32 v12, s12, v20
	s_mov_b32 s0, 0
	global_load_b128 v[2:5], v[2:3], off
	v_lshl_add_u32 v22, v12, 4, 0x4000
	ds_load_b64 v[12:13], v22
	s_waitcnt vmcnt(0) lgkmcnt(1)
	v_mul_f64 v[10:11], v[4:5], -v[8:9]
	s_delay_alu instid0(VALU_DEP_1)
	v_fma_f64 v[10:11], v[6:7], v[2:3], v[10:11]
.LBB116_124:                            ; =>This Inner Loop Header: Depth=1
	s_waitcnt lgkmcnt(0)
	s_delay_alu instid0(VALU_DEP_1)
	v_add_f64 v[23:24], v[12:13], v[10:11]
	ds_cmpstore_rtn_b64 v[23:24], v22, v[23:24], v[12:13]
	s_waitcnt lgkmcnt(0)
	v_cmp_eq_u64_e32 vcc_lo, v[23:24], v[12:13]
	v_dual_mov_b32 v12, v23 :: v_dual_mov_b32 v13, v24
	s_or_b32 s0, vcc_lo, s0
	s_delay_alu instid0(SALU_CYCLE_1)
	s_and_not1_b32 exec_lo, exec_lo, s0
	s_cbranch_execnz .LBB116_124
; %bb.125:
	s_or_b32 exec_lo, exec_lo, s0
	v_mul_f64 v[4:5], v[4:5], v[6:7]
	s_mov_b32 s0, 0
	s_delay_alu instid0(VALU_DEP_1)
	v_fma_f64 v[2:3], v[8:9], v[2:3], v[4:5]
	ds_load_b64 v[4:5], v22 offset:8
.LBB116_126:                            ; =>This Inner Loop Header: Depth=1
	s_waitcnt lgkmcnt(0)
	v_add_f64 v[6:7], v[4:5], v[2:3]
	ds_cmpstore_rtn_b64 v[6:7], v22, v[6:7], v[4:5] offset:8
	s_waitcnt lgkmcnt(0)
	v_cmp_eq_u64_e32 vcc_lo, v[6:7], v[4:5]
	v_dual_mov_b32 v4, v6 :: v_dual_mov_b32 v5, v7
	s_or_b32 s0, vcc_lo, s0
	s_delay_alu instid0(SALU_CYCLE_1)
	s_and_not1_b32 exec_lo, exec_lo, s0
	s_cbranch_execnz .LBB116_126
; %bb.127:
	s_or_b32 exec_lo, exec_lo, s0
.LBB116_128:
	s_delay_alu instid0(SALU_CYCLE_1)
	s_or_b32 exec_lo, exec_lo, s7
	v_lshlrev_b64 v[2:3], 4, v[20:21]
	ds_load_b128 v[6:9], v26 offset:4096
	v_add_co_u32 v2, vcc_lo, s14, v2
	v_add_co_ci_u32_e32 v3, vcc_lo, s15, v3, vcc_lo
	v_cmp_ne_u32_e32 vcc_lo, 1, v27
	global_load_b128 v[2:5], v[2:3], off
	s_and_b32 vcc_lo, exec_lo, vcc_lo
	s_waitcnt vmcnt(0) lgkmcnt(0)
	v_mul_f64 v[10:11], v[4:5], -v[8:9]
	v_mul_f64 v[4:5], v[4:5], v[6:7]
	s_delay_alu instid0(VALU_DEP_2) | instskip(NEXT) | instid1(VALU_DEP_2)
	v_fma_f64 v[10:11], v[6:7], v[2:3], v[10:11]
	v_fma_f64 v[12:13], v[8:9], v[2:3], v[4:5]
	v_add_co_u32 v2, s0, 0x200, v14
	s_delay_alu instid0(VALU_DEP_1)
	v_add_co_ci_u32_e64 v3, s0, 0, v15, s0
	v_dual_mov_b32 v4, s16 :: v_dual_mov_b32 v5, s17
	v_dual_mov_b32 v6, s30 :: v_dual_mov_b32 v7, s31
	ds_store_b128 v26, v[10:13] offset:4096
	s_cbranch_vccnz .LBB116_132
; %bb.129:
	v_dual_mov_b32 v4, s16 :: v_dual_mov_b32 v5, s17
	v_dual_mov_b32 v6, s30 :: v_dual_mov_b32 v7, s31
	s_mov_b32 s7, 0
	s_set_inst_prefetch_distance 0x1
	.p2align	6
.LBB116_130:                            ; =>This Inner Loop Header: Depth=1
	s_delay_alu instid0(VALU_DEP_1) | instskip(NEXT) | instid1(VALU_DEP_2)
	v_add_co_u32 v8, vcc_lo, v6, v4
	v_add_co_ci_u32_e32 v9, vcc_lo, v7, v5, vcc_lo
	s_delay_alu instid0(VALU_DEP_1) | instskip(NEXT) | instid1(VALU_DEP_1)
	v_lshrrev_b32_e32 v10, 31, v9
	v_add_co_u32 v8, vcc_lo, v8, v10
	v_add_co_ci_u32_e32 v9, vcc_lo, 0, v9, vcc_lo
	s_delay_alu instid0(VALU_DEP_1) | instskip(NEXT) | instid1(VALU_DEP_1)
	v_ashrrev_i64 v[8:9], 1, v[8:9]
	v_lshlrev_b64 v[10:11], 3, v[8:9]
	s_delay_alu instid0(VALU_DEP_1) | instskip(NEXT) | instid1(VALU_DEP_2)
	v_add_co_u32 v10, vcc_lo, s8, v10
	v_add_co_ci_u32_e32 v11, vcc_lo, s9, v11, vcc_lo
	global_load_b64 v[10:11], v[10:11], off
	s_waitcnt vmcnt(0)
	v_sub_co_u32 v10, vcc_lo, v10, s24
	v_subrev_co_ci_u32_e32 v11, vcc_lo, 0, v11, vcc_lo
	s_delay_alu instid0(VALU_DEP_1) | instskip(SKIP_2) | instid1(VALU_DEP_2)
	v_cmp_gt_i64_e32 vcc_lo, v[10:11], v[2:3]
	v_dual_cndmask_b32 v7, v7, v9 :: v_dual_cndmask_b32 v6, v6, v8
	v_dual_cndmask_b32 v5, v9, v5 :: v_dual_cndmask_b32 v4, v8, v4
	v_add_co_u32 v8, vcc_lo, v6, -1
	s_delay_alu instid0(VALU_DEP_3) | instskip(NEXT) | instid1(VALU_DEP_3)
	v_add_co_ci_u32_e32 v9, vcc_lo, -1, v7, vcc_lo
	v_cmp_ge_i64_e32 vcc_lo, v[4:5], v[6:7]
	s_delay_alu instid0(VALU_DEP_2) | instskip(NEXT) | instid1(VALU_DEP_1)
	v_cmp_eq_u64_e64 s0, v[4:5], v[8:9]
	s_or_b32 s0, vcc_lo, s0
	s_delay_alu instid0(SALU_CYCLE_1) | instskip(NEXT) | instid1(SALU_CYCLE_1)
	s_and_b32 s0, exec_lo, s0
	s_or_b32 s7, s0, s7
	s_delay_alu instid0(SALU_CYCLE_1)
	s_and_not1_b32 exec_lo, exec_lo, s7
	s_cbranch_execnz .LBB116_130
; %bb.131:
	s_set_inst_prefetch_distance 0x2
	s_or_b32 exec_lo, exec_lo, s7
.LBB116_132:
	v_lshlrev_b64 v[8:9], 3, v[6:7]
	s_mov_b32 s7, exec_lo
	s_delay_alu instid0(VALU_DEP_1) | instskip(NEXT) | instid1(VALU_DEP_2)
	v_add_co_u32 v8, vcc_lo, s8, v8
	v_add_co_ci_u32_e32 v9, vcc_lo, s9, v9, vcc_lo
	v_add_co_u32 v14, vcc_lo, 0x1000, v18
	v_add_co_ci_u32_e32 v15, vcc_lo, 0, v19, vcc_lo
	global_load_b64 v[8:9], v[8:9], off
	global_load_b64 v[10:11], v[14:15], off
	s_waitcnt vmcnt(1)
	v_sub_co_u32 v8, vcc_lo, v8, s24
	v_subrev_co_ci_u32_e32 v9, vcc_lo, 0, v9, vcc_lo
	s_delay_alu instid0(VALU_DEP_1) | instskip(SKIP_4) | instid1(VALU_DEP_1)
	v_cmp_gt_i64_e32 vcc_lo, v[8:9], v[2:3]
	v_dual_cndmask_b32 v5, v7, v5 :: v_dual_cndmask_b32 v4, v6, v4
	s_waitcnt vmcnt(0)
	v_sub_co_u32 v18, vcc_lo, v10, s24
	v_subrev_co_ci_u32_e32 v19, vcc_lo, 0, v11, vcc_lo
	v_cmpx_ne_u64_e64 v[18:19], v[4:5]
	s_cbranch_execz .LBB116_146
; %bb.133:
	s_load_b64 s[34:35], s[10:11], 0x0
	s_waitcnt lgkmcnt(0)
	s_sub_u32 s34, s34, s24
	s_subb_u32 s35, s35, 0
	s_delay_alu instid0(SALU_CYCLE_1)
	v_cmp_gt_i64_e32 vcc_lo, s[34:35], v[2:3]
	s_and_b32 exec_lo, exec_lo, vcc_lo
	s_cbranch_execz .LBB116_146
; %bb.134:
	v_cmp_gt_i64_e32 vcc_lo, s[12:13], v[18:19]
	v_cmp_le_i64_e64 s0, s[18:19], v[18:19]
	v_lshlrev_b64 v[2:3], 4, v[4:5]
	s_delay_alu instid0(VALU_DEP_2) | instskip(NEXT) | instid1(SALU_CYCLE_1)
	s_or_b32 s0, vcc_lo, s0
	s_and_saveexec_b32 s25, s0
	s_delay_alu instid0(SALU_CYCLE_1)
	s_xor_b32 s0, exec_lo, s25
	s_cbranch_execz .LBB116_140
; %bb.135:
	s_delay_alu instid0(VALU_DEP_1)
	v_add_co_u32 v2, vcc_lo, s14, v2
	v_add_co_ci_u32_e32 v3, vcc_lo, s15, v3, vcc_lo
	v_lshlrev_b64 v[6:7], 4, v[18:19]
	s_mov_b32 s25, 0
	global_load_b128 v[2:5], v[2:3], off
	v_add_co_u32 v20, vcc_lo, s20, v6
	v_add_co_ci_u32_e32 v21, vcc_lo, s21, v7, vcc_lo
	ds_load_b128 v[6:9], v26 offset:8192
	global_load_b64 v[12:13], v[20:21], off
	s_waitcnt vmcnt(1) lgkmcnt(0)
	v_mul_f64 v[10:11], v[4:5], -v[8:9]
	s_delay_alu instid0(VALU_DEP_1)
	v_fma_f64 v[22:23], v[6:7], v[2:3], v[10:11]
.LBB116_136:                            ; =>This Inner Loop Header: Depth=1
	s_waitcnt vmcnt(0)
	s_delay_alu instid0(VALU_DEP_1)
	v_add_f64 v[10:11], v[12:13], v[22:23]
	global_atomic_cmpswap_b64 v[10:11], v[20:21], v[10:13], off glc
	s_waitcnt vmcnt(0)
	v_cmp_eq_u64_e32 vcc_lo, v[10:11], v[12:13]
	v_dual_mov_b32 v13, v11 :: v_dual_mov_b32 v12, v10
	s_or_b32 s25, vcc_lo, s25
	s_delay_alu instid0(SALU_CYCLE_1)
	s_and_not1_b32 exec_lo, exec_lo, s25
	s_cbranch_execnz .LBB116_136
; %bb.137:
	s_or_b32 exec_lo, exec_lo, s25
	global_load_b64 v[10:11], v[20:21], off offset:8
	v_mul_f64 v[4:5], v[4:5], v[6:7]
	s_mov_b32 s25, 0
	s_delay_alu instid0(VALU_DEP_1)
	v_fma_f64 v[2:3], v[8:9], v[2:3], v[4:5]
.LBB116_138:                            ; =>This Inner Loop Header: Depth=1
	s_waitcnt vmcnt(0)
	s_delay_alu instid0(VALU_DEP_1)
	v_add_f64 v[8:9], v[10:11], v[2:3]
	global_atomic_cmpswap_b64 v[4:5], v[20:21], v[8:11], off offset:8 glc
	s_waitcnt vmcnt(0)
	v_cmp_eq_u64_e32 vcc_lo, v[4:5], v[10:11]
	v_dual_mov_b32 v11, v5 :: v_dual_mov_b32 v10, v4
	s_or_b32 s25, vcc_lo, s25
	s_delay_alu instid0(SALU_CYCLE_1)
	s_and_not1_b32 exec_lo, exec_lo, s25
	s_cbranch_execnz .LBB116_138
; %bb.139:
	s_or_b32 exec_lo, exec_lo, s25
                                        ; implicit-def: $vgpr2_vgpr3
.LBB116_140:
	s_and_not1_saveexec_b32 s0, s0
	s_cbranch_execz .LBB116_146
; %bb.141:
	v_add_co_u32 v2, vcc_lo, s14, v2
	v_add_co_ci_u32_e32 v3, vcc_lo, s15, v3, vcc_lo
	ds_load_b128 v[6:9], v26 offset:8192
	v_subrev_nc_u32_e32 v12, s12, v18
	s_mov_b32 s0, 0
	global_load_b128 v[2:5], v[2:3], off
	v_lshl_add_u32 v20, v12, 4, 0x4000
	ds_load_b64 v[12:13], v20
	s_waitcnt vmcnt(0) lgkmcnt(1)
	v_mul_f64 v[10:11], v[4:5], -v[8:9]
	s_delay_alu instid0(VALU_DEP_1)
	v_fma_f64 v[10:11], v[6:7], v[2:3], v[10:11]
.LBB116_142:                            ; =>This Inner Loop Header: Depth=1
	s_waitcnt lgkmcnt(0)
	s_delay_alu instid0(VALU_DEP_1)
	v_add_f64 v[21:22], v[12:13], v[10:11]
	ds_cmpstore_rtn_b64 v[21:22], v20, v[21:22], v[12:13]
	s_waitcnt lgkmcnt(0)
	v_cmp_eq_u64_e32 vcc_lo, v[21:22], v[12:13]
	v_dual_mov_b32 v12, v21 :: v_dual_mov_b32 v13, v22
	s_or_b32 s0, vcc_lo, s0
	s_delay_alu instid0(SALU_CYCLE_1)
	s_and_not1_b32 exec_lo, exec_lo, s0
	s_cbranch_execnz .LBB116_142
; %bb.143:
	s_or_b32 exec_lo, exec_lo, s0
	v_mul_f64 v[4:5], v[4:5], v[6:7]
	s_mov_b32 s0, 0
	s_delay_alu instid0(VALU_DEP_1)
	v_fma_f64 v[2:3], v[8:9], v[2:3], v[4:5]
	ds_load_b64 v[4:5], v20 offset:8
.LBB116_144:                            ; =>This Inner Loop Header: Depth=1
	s_waitcnt lgkmcnt(0)
	v_add_f64 v[6:7], v[4:5], v[2:3]
	ds_cmpstore_rtn_b64 v[6:7], v20, v[6:7], v[4:5] offset:8
	s_waitcnt lgkmcnt(0)
	v_cmp_eq_u64_e32 vcc_lo, v[6:7], v[4:5]
	v_dual_mov_b32 v4, v6 :: v_dual_mov_b32 v5, v7
	s_or_b32 s0, vcc_lo, s0
	s_delay_alu instid0(SALU_CYCLE_1)
	s_and_not1_b32 exec_lo, exec_lo, s0
	s_cbranch_execnz .LBB116_144
; %bb.145:
	s_or_b32 exec_lo, exec_lo, s0
.LBB116_146:
	s_delay_alu instid0(SALU_CYCLE_1)
	s_or_b32 exec_lo, exec_lo, s7
	v_lshlrev_b64 v[2:3], 4, v[18:19]
	ds_load_b128 v[6:9], v26 offset:8192
	v_add_co_u32 v2, vcc_lo, s14, v2
	v_add_co_ci_u32_e32 v3, vcc_lo, s15, v3, vcc_lo
	v_cmp_ne_u32_e32 vcc_lo, 1, v27
	global_load_b128 v[2:5], v[2:3], off
	s_and_b32 vcc_lo, exec_lo, vcc_lo
	s_waitcnt vmcnt(0) lgkmcnt(0)
	v_mul_f64 v[10:11], v[4:5], -v[8:9]
	v_mul_f64 v[4:5], v[4:5], v[6:7]
	s_delay_alu instid0(VALU_DEP_2) | instskip(NEXT) | instid1(VALU_DEP_2)
	v_fma_f64 v[6:7], v[6:7], v[2:3], v[10:11]
	v_fma_f64 v[8:9], v[8:9], v[2:3], v[4:5]
	v_dual_mov_b32 v2, s16 :: v_dual_mov_b32 v3, s17
	v_dual_mov_b32 v4, s30 :: v_dual_mov_b32 v5, s31
	ds_store_b128 v26, v[6:9] offset:8192
	s_cbranch_vccnz .LBB116_150
; %bb.147:
	v_dual_mov_b32 v2, s16 :: v_dual_mov_b32 v3, s17
	v_dual_mov_b32 v4, s30 :: v_dual_mov_b32 v5, s31
	s_mov_b32 s7, 0
	s_set_inst_prefetch_distance 0x1
	.p2align	6
.LBB116_148:                            ; =>This Inner Loop Header: Depth=1
	s_delay_alu instid0(VALU_DEP_1) | instskip(NEXT) | instid1(VALU_DEP_2)
	v_add_co_u32 v6, vcc_lo, v4, v2
	v_add_co_ci_u32_e32 v7, vcc_lo, v5, v3, vcc_lo
	s_delay_alu instid0(VALU_DEP_1) | instskip(NEXT) | instid1(VALU_DEP_1)
	v_lshrrev_b32_e32 v8, 31, v7
	v_add_co_u32 v6, vcc_lo, v6, v8
	v_add_co_ci_u32_e32 v7, vcc_lo, 0, v7, vcc_lo
	s_delay_alu instid0(VALU_DEP_1) | instskip(NEXT) | instid1(VALU_DEP_1)
	v_ashrrev_i64 v[6:7], 1, v[6:7]
	v_lshlrev_b64 v[8:9], 3, v[6:7]
	s_delay_alu instid0(VALU_DEP_1) | instskip(NEXT) | instid1(VALU_DEP_2)
	v_add_co_u32 v8, vcc_lo, s8, v8
	v_add_co_ci_u32_e32 v9, vcc_lo, s9, v9, vcc_lo
	global_load_b64 v[8:9], v[8:9], off
	s_waitcnt vmcnt(0)
	v_sub_co_u32 v8, vcc_lo, v8, s24
	v_subrev_co_ci_u32_e32 v9, vcc_lo, 0, v9, vcc_lo
	s_delay_alu instid0(VALU_DEP_1) | instskip(SKIP_2) | instid1(VALU_DEP_2)
	v_cmp_gt_i64_e32 vcc_lo, v[8:9], v[16:17]
	v_dual_cndmask_b32 v5, v5, v7 :: v_dual_cndmask_b32 v4, v4, v6
	v_dual_cndmask_b32 v3, v7, v3 :: v_dual_cndmask_b32 v2, v6, v2
	v_add_co_u32 v6, vcc_lo, v4, -1
	s_delay_alu instid0(VALU_DEP_3) | instskip(NEXT) | instid1(VALU_DEP_3)
	v_add_co_ci_u32_e32 v7, vcc_lo, -1, v5, vcc_lo
	v_cmp_ge_i64_e32 vcc_lo, v[2:3], v[4:5]
	s_delay_alu instid0(VALU_DEP_2) | instskip(NEXT) | instid1(VALU_DEP_1)
	v_cmp_eq_u64_e64 s0, v[2:3], v[6:7]
	s_or_b32 s0, vcc_lo, s0
	s_delay_alu instid0(SALU_CYCLE_1) | instskip(NEXT) | instid1(SALU_CYCLE_1)
	s_and_b32 s0, exec_lo, s0
	s_or_b32 s7, s0, s7
	s_delay_alu instid0(SALU_CYCLE_1)
	s_and_not1_b32 exec_lo, exec_lo, s7
	s_cbranch_execnz .LBB116_148
; %bb.149:
	s_set_inst_prefetch_distance 0x2
	s_or_b32 exec_lo, exec_lo, s7
.LBB116_150:
	v_lshlrev_b64 v[6:7], 3, v[4:5]
	s_mov_b32 s7, exec_lo
	s_delay_alu instid0(VALU_DEP_1) | instskip(NEXT) | instid1(VALU_DEP_2)
	v_add_co_u32 v6, vcc_lo, s8, v6
	v_add_co_ci_u32_e32 v7, vcc_lo, s9, v7, vcc_lo
	global_load_b64 v[6:7], v[6:7], off
	global_load_b64 v[8:9], v[14:15], off offset:2048
	s_waitcnt vmcnt(1)
	v_sub_co_u32 v6, vcc_lo, v6, s24
	v_subrev_co_ci_u32_e32 v7, vcc_lo, 0, v7, vcc_lo
	s_delay_alu instid0(VALU_DEP_1) | instskip(SKIP_4) | instid1(VALU_DEP_1)
	v_cmp_gt_i64_e32 vcc_lo, v[6:7], v[16:17]
	v_dual_cndmask_b32 v3, v5, v3 :: v_dual_cndmask_b32 v2, v4, v2
	s_waitcnt vmcnt(0)
	v_sub_co_u32 v14, vcc_lo, v8, s24
	v_subrev_co_ci_u32_e32 v15, vcc_lo, 0, v9, vcc_lo
	v_cmpx_ne_u64_e64 v[14:15], v[2:3]
	s_cbranch_execz .LBB116_164
; %bb.151:
	s_load_b64 s[10:11], s[10:11], 0x0
	s_waitcnt lgkmcnt(0)
	s_sub_u32 s10, s10, s24
	s_subb_u32 s11, s11, 0
	s_delay_alu instid0(SALU_CYCLE_1)
	v_cmp_gt_i64_e32 vcc_lo, s[10:11], v[16:17]
	s_and_b32 exec_lo, exec_lo, vcc_lo
	s_cbranch_execz .LBB116_164
; %bb.152:
	v_cmp_gt_i64_e32 vcc_lo, s[12:13], v[14:15]
	v_cmp_le_i64_e64 s0, s[18:19], v[14:15]
	v_lshlrev_b64 v[2:3], 4, v[2:3]
	s_delay_alu instid0(VALU_DEP_2) | instskip(NEXT) | instid1(SALU_CYCLE_1)
	s_or_b32 s0, vcc_lo, s0
	s_and_saveexec_b32 s10, s0
	s_delay_alu instid0(SALU_CYCLE_1)
	s_xor_b32 s0, exec_lo, s10
	s_cbranch_execz .LBB116_158
; %bb.153:
	s_delay_alu instid0(VALU_DEP_1)
	v_add_co_u32 v2, vcc_lo, s14, v2
	v_add_co_ci_u32_e32 v3, vcc_lo, s15, v3, vcc_lo
	v_lshlrev_b64 v[6:7], 4, v[14:15]
	s_mov_b32 s10, 0
	global_load_b128 v[2:5], v[2:3], off
	v_add_co_u32 v16, vcc_lo, s20, v6
	v_add_co_ci_u32_e32 v17, vcc_lo, s21, v7, vcc_lo
	ds_load_b128 v[6:9], v26 offset:12288
	global_load_b64 v[12:13], v[16:17], off
	s_waitcnt vmcnt(1) lgkmcnt(0)
	v_mul_f64 v[10:11], v[4:5], -v[8:9]
	s_delay_alu instid0(VALU_DEP_1)
	v_fma_f64 v[18:19], v[6:7], v[2:3], v[10:11]
.LBB116_154:                            ; =>This Inner Loop Header: Depth=1
	s_waitcnt vmcnt(0)
	s_delay_alu instid0(VALU_DEP_1)
	v_add_f64 v[10:11], v[12:13], v[18:19]
	global_atomic_cmpswap_b64 v[10:11], v[16:17], v[10:13], off glc
	s_waitcnt vmcnt(0)
	v_cmp_eq_u64_e32 vcc_lo, v[10:11], v[12:13]
	v_dual_mov_b32 v13, v11 :: v_dual_mov_b32 v12, v10
	s_or_b32 s10, vcc_lo, s10
	s_delay_alu instid0(SALU_CYCLE_1)
	s_and_not1_b32 exec_lo, exec_lo, s10
	s_cbranch_execnz .LBB116_154
; %bb.155:
	s_or_b32 exec_lo, exec_lo, s10
	global_load_b64 v[10:11], v[16:17], off offset:8
	v_mul_f64 v[4:5], v[4:5], v[6:7]
	s_mov_b32 s10, 0
	s_delay_alu instid0(VALU_DEP_1)
	v_fma_f64 v[2:3], v[8:9], v[2:3], v[4:5]
.LBB116_156:                            ; =>This Inner Loop Header: Depth=1
	s_waitcnt vmcnt(0)
	s_delay_alu instid0(VALU_DEP_1)
	v_add_f64 v[8:9], v[10:11], v[2:3]
	global_atomic_cmpswap_b64 v[4:5], v[16:17], v[8:11], off offset:8 glc
	s_waitcnt vmcnt(0)
	v_cmp_eq_u64_e32 vcc_lo, v[4:5], v[10:11]
	v_dual_mov_b32 v11, v5 :: v_dual_mov_b32 v10, v4
	s_or_b32 s10, vcc_lo, s10
	s_delay_alu instid0(SALU_CYCLE_1)
	s_and_not1_b32 exec_lo, exec_lo, s10
	s_cbranch_execnz .LBB116_156
; %bb.157:
	s_or_b32 exec_lo, exec_lo, s10
                                        ; implicit-def: $vgpr2_vgpr3
.LBB116_158:
	s_and_not1_saveexec_b32 s0, s0
	s_cbranch_execz .LBB116_164
; %bb.159:
	v_add_co_u32 v2, vcc_lo, s14, v2
	v_add_co_ci_u32_e32 v3, vcc_lo, s15, v3, vcc_lo
	ds_load_b128 v[6:9], v26 offset:12288
	v_subrev_nc_u32_e32 v12, s12, v14
	s_mov_b32 s0, 0
	global_load_b128 v[2:5], v[2:3], off
	v_lshl_add_u32 v16, v12, 4, 0x4000
	ds_load_b64 v[12:13], v16
	s_waitcnt vmcnt(0) lgkmcnt(1)
	v_mul_f64 v[10:11], v[4:5], -v[8:9]
	s_delay_alu instid0(VALU_DEP_1)
	v_fma_f64 v[10:11], v[6:7], v[2:3], v[10:11]
.LBB116_160:                            ; =>This Inner Loop Header: Depth=1
	s_waitcnt lgkmcnt(0)
	s_delay_alu instid0(VALU_DEP_1)
	v_add_f64 v[17:18], v[12:13], v[10:11]
	ds_cmpstore_rtn_b64 v[17:18], v16, v[17:18], v[12:13]
	s_waitcnt lgkmcnt(0)
	v_cmp_eq_u64_e32 vcc_lo, v[17:18], v[12:13]
	v_dual_mov_b32 v12, v17 :: v_dual_mov_b32 v13, v18
	s_or_b32 s0, vcc_lo, s0
	s_delay_alu instid0(SALU_CYCLE_1)
	s_and_not1_b32 exec_lo, exec_lo, s0
	s_cbranch_execnz .LBB116_160
; %bb.161:
	s_or_b32 exec_lo, exec_lo, s0
	v_mul_f64 v[4:5], v[4:5], v[6:7]
	s_mov_b32 s0, 0
	s_delay_alu instid0(VALU_DEP_1)
	v_fma_f64 v[2:3], v[8:9], v[2:3], v[4:5]
	ds_load_b64 v[4:5], v16 offset:8
.LBB116_162:                            ; =>This Inner Loop Header: Depth=1
	s_waitcnt lgkmcnt(0)
	v_add_f64 v[6:7], v[4:5], v[2:3]
	ds_cmpstore_rtn_b64 v[6:7], v16, v[6:7], v[4:5] offset:8
	s_waitcnt lgkmcnt(0)
	v_cmp_eq_u64_e32 vcc_lo, v[6:7], v[4:5]
	v_dual_mov_b32 v4, v6 :: v_dual_mov_b32 v5, v7
	s_or_b32 s0, vcc_lo, s0
	s_delay_alu instid0(SALU_CYCLE_1)
	s_and_not1_b32 exec_lo, exec_lo, s0
	s_cbranch_execnz .LBB116_162
; %bb.163:
	s_or_b32 exec_lo, exec_lo, s0
.LBB116_164:
	s_delay_alu instid0(SALU_CYCLE_1)
	s_or_b32 exec_lo, exec_lo, s7
	v_lshlrev_b64 v[2:3], 4, v[14:15]
	ds_load_b128 v[6:9], v26 offset:12288
	v_add_co_u32 v2, vcc_lo, s14, v2
	v_add_co_ci_u32_e32 v3, vcc_lo, s15, v3, vcc_lo
	global_load_b128 v[2:5], v[2:3], off
	s_waitcnt vmcnt(0) lgkmcnt(0)
	v_mul_f64 v[10:11], v[4:5], -v[8:9]
	v_mul_f64 v[12:13], v[4:5], v[6:7]
	s_delay_alu instid0(VALU_DEP_2) | instskip(NEXT) | instid1(VALU_DEP_2)
	v_fma_f64 v[4:5], v[6:7], v[2:3], v[10:11]
	v_fma_f64 v[6:7], v[8:9], v[2:3], v[12:13]
	ds_store_b128 v26, v[4:7] offset:12288
.LBB116_165:
	s_or_b32 exec_lo, exec_lo, s1
	v_cmp_lt_i64_e64 s0, s[18:19], s[2:3]
	s_waitcnt lgkmcnt(0)
	s_barrier
	buffer_gl0_inv
	s_and_b32 s0, s0, exec_lo
	s_cselect_b32 s1, s18, s2
	s_cselect_b32 s0, s19, s3
	s_sub_u32 s2, s1, s22
	s_subb_u32 s3, s0, s23
	s_mov_b32 s0, exec_lo
	v_cmpx_gt_i64_e64 s[2:3], v[0:1]
	s_cbranch_execz .LBB116_172
; %bb.166:
	s_lshl_b64 s[10:11], s[12:13], 4
	v_dual_mov_b32 v11, v1 :: v_dual_mov_b32 v10, v0
	s_add_u32 s7, s20, s10
	s_addc_u32 s10, s21, s11
	s_mov_b32 s11, 0
	s_set_inst_prefetch_distance 0x1
	.p2align	6
.LBB116_167:                            ; =>This Loop Header: Depth=1
                                        ;     Child Loop BB116_168 Depth 2
                                        ;     Child Loop BB116_170 Depth 2
	v_lshlrev_b64 v[2:3], 4, v[10:11]
	s_mov_b32 s12, 0
	s_delay_alu instid0(VALU_DEP_1) | instskip(NEXT) | instid1(VALU_DEP_2)
	v_add_co_u32 v12, vcc_lo, s7, v2
	v_add_co_ci_u32_e32 v13, vcc_lo, s10, v3, vcc_lo
	v_lshl_add_u32 v2, v10, 4, 0x4000
	global_load_b64 v[8:9], v[12:13], off
	ds_load_2addr_b64 v[2:5], v2 offset1:1
.LBB116_168:                            ;   Parent Loop BB116_167 Depth=1
                                        ; =>  This Inner Loop Header: Depth=2
	s_waitcnt vmcnt(0) lgkmcnt(0)
	v_add_f64 v[6:7], v[8:9], v[2:3]
	global_atomic_cmpswap_b64 v[6:7], v[12:13], v[6:9], off glc
	s_waitcnt vmcnt(0)
	v_cmp_eq_u64_e32 vcc_lo, v[6:7], v[8:9]
	v_dual_mov_b32 v9, v7 :: v_dual_mov_b32 v8, v6
	s_or_b32 s12, vcc_lo, s12
	s_delay_alu instid0(SALU_CYCLE_1)
	s_and_not1_b32 exec_lo, exec_lo, s12
	s_cbranch_execnz .LBB116_168
; %bb.169:                              ;   in Loop: Header=BB116_167 Depth=1
	s_or_b32 exec_lo, exec_lo, s12
	global_load_b64 v[8:9], v[12:13], off offset:8
	s_mov_b32 s12, 0
.LBB116_170:                            ;   Parent Loop BB116_167 Depth=1
                                        ; =>  This Inner Loop Header: Depth=2
	s_waitcnt vmcnt(0)
	v_add_f64 v[6:7], v[8:9], v[4:5]
	global_atomic_cmpswap_b64 v[2:3], v[12:13], v[6:9], off offset:8 glc
	s_waitcnt vmcnt(0)
	v_cmp_eq_u64_e32 vcc_lo, v[2:3], v[8:9]
	v_dual_mov_b32 v9, v3 :: v_dual_mov_b32 v8, v2
	s_or_b32 s12, vcc_lo, s12
	s_delay_alu instid0(SALU_CYCLE_1)
	s_and_not1_b32 exec_lo, exec_lo, s12
	s_cbranch_execnz .LBB116_170
; %bb.171:                              ;   in Loop: Header=BB116_167 Depth=1
	s_or_b32 exec_lo, exec_lo, s12
	v_add_co_u32 v10, vcc_lo, 0x100, v10
	v_add_co_ci_u32_e32 v11, vcc_lo, 0, v11, vcc_lo
	s_delay_alu instid0(VALU_DEP_1) | instskip(SKIP_1) | instid1(SALU_CYCLE_1)
	v_cmp_le_i64_e32 vcc_lo, s[2:3], v[10:11]
	s_or_b32 s11, vcc_lo, s11
	s_and_not1_b32 exec_lo, exec_lo, s11
	s_cbranch_execnz .LBB116_167
.LBB116_172:
	s_set_inst_prefetch_distance 0x2
	s_or_b32 exec_lo, exec_lo, s0
	s_add_i32 s0, s28, -1
	v_add_co_u32 v10, s10, s16, v0
	s_ashr_i32 s3, s0, 1
	v_add_co_ci_u32_e64 v11, null, s17, 0, s10
	s_or_b32 s0, s3, s0
	s_delay_alu instid0(SALU_CYCLE_1) | instskip(SKIP_4) | instid1(SALU_CYCLE_1)
	s_ashr_i32 s3, s0, 2
	s_barrier
	s_or_b32 s0, s3, s0
	buffer_gl0_inv
	s_ashr_i32 s3, s0, 4
	s_or_b32 s0, s3, s0
	s_delay_alu instid0(SALU_CYCLE_1) | instskip(NEXT) | instid1(SALU_CYCLE_1)
	s_ashr_i32 s3, s0, 8
	s_or_b32 s0, s3, s0
	s_delay_alu instid0(SALU_CYCLE_1) | instskip(NEXT) | instid1(SALU_CYCLE_1)
	s_ashr_i32 s3, s0, 16
	s_or_b32 s3, s3, s0
	s_mov_b32 s0, -1
	s_add_i32 s3, s3, 1
	s_delay_alu instid0(SALU_CYCLE_1) | instskip(NEXT) | instid1(SALU_CYCLE_1)
	s_ashr_i32 s7, s3, 1
	s_cmp_gt_i32 s7, 1
	s_cbranch_scc1 .LBB116_185
; %bb.173:
	s_mov_b32 s0, exec_lo
	v_cmpx_gt_i64_e64 s[18:19], v[10:11]
	s_cbranch_execz .LBB116_184
; %bb.174:
	s_sub_i32 s1, s1, s18
	v_dual_mov_b32 v13, v11 :: v_dual_mov_b32 v12, v10
	s_lshl_b32 s11, s4, 4
	s_lshl_b32 s1, s1, 4
	s_mov_b32 s10, 0
	s_addk_i32 s1, 0x4000
	s_sub_i32 s11, 0, s11
.LBB116_175:                            ; =>This Loop Header: Depth=1
                                        ;     Child Loop BB116_177 Depth 2
                                        ;     Child Loop BB116_180 Depth 2
	;; [unrolled: 1-line block ×3, first 2 shown]
	v_lshlrev_b64 v[2:3], 3, v[12:13]
	v_mov_b32_e32 v14, 0
	v_mov_b32_e32 v15, 0
	s_delay_alu instid0(VALU_DEP_2) | instskip(SKIP_1) | instid1(VALU_DEP_4)
	v_mov_b32_e32 v6, v14
	s_mov_b32 s12, exec_lo
	v_add_co_u32 v2, vcc_lo, s8, v2
	s_delay_alu instid0(VALU_DEP_3)
	v_mov_b32_e32 v7, v15
	v_add_co_ci_u32_e32 v3, vcc_lo, s9, v3, vcc_lo
	global_load_b128 v[2:5], v[2:3], off
	s_waitcnt vmcnt(0)
	v_cmpx_lt_i64_e64 v[2:3], v[4:5]
	s_cbranch_execz .LBB116_179
; %bb.176:                              ;   in Loop: Header=BB116_175 Depth=1
	v_mov_b32_e32 v14, 0
	v_sub_co_u32 v4, vcc_lo, v4, s4
	v_mov_b32_e32 v15, 0
	v_subrev_co_ci_u32_e32 v5, vcc_lo, s5, v5, vcc_lo
	v_sub_co_u32 v8, vcc_lo, v2, s4
	v_subrev_co_ci_u32_e32 v9, vcc_lo, s5, v3, vcc_lo
	v_lshl_add_u32 v2, v2, 4, s11
	v_dual_mov_b32 v6, v14 :: v_dual_mov_b32 v7, v15
	s_mov_b32 s13, 0
.LBB116_177:                            ;   Parent Loop BB116_175 Depth=1
                                        ; =>  This Inner Loop Header: Depth=2
	ds_load_b128 v[16:19], v2
	v_add_co_u32 v8, vcc_lo, v8, 1
	v_add_co_ci_u32_e32 v9, vcc_lo, 0, v9, vcc_lo
	v_add_nc_u32_e32 v2, 16, v2
	s_delay_alu instid0(VALU_DEP_2)
	v_cmp_ge_i64_e32 vcc_lo, v[8:9], v[4:5]
	s_or_b32 s13, vcc_lo, s13
	s_waitcnt lgkmcnt(0)
	v_add_f64 v[6:7], v[6:7], v[16:17]
	v_add_f64 v[14:15], v[14:15], v[18:19]
	s_and_not1_b32 exec_lo, exec_lo, s13
	s_cbranch_execnz .LBB116_177
; %bb.178:                              ;   in Loop: Header=BB116_175 Depth=1
	s_or_b32 exec_lo, exec_lo, s13
.LBB116_179:                            ;   in Loop: Header=BB116_175 Depth=1
	s_delay_alu instid0(SALU_CYCLE_1) | instskip(SKIP_2) | instid1(VALU_DEP_1)
	s_or_b32 exec_lo, exec_lo, s12
	v_lshlrev_b64 v[2:3], 4, v[12:13]
	s_mov_b32 s12, 0
	v_add_co_u32 v16, vcc_lo, s20, v2
	s_delay_alu instid0(VALU_DEP_2)
	v_add_co_ci_u32_e32 v17, vcc_lo, s21, v3, vcc_lo
	v_lshl_add_u32 v2, v12, 4, s1
	global_load_b64 v[8:9], v[16:17], off
	ds_load_2addr_b64 v[2:5], v2 offset1:1
	s_waitcnt lgkmcnt(0)
	v_add_f64 v[2:3], v[6:7], v[2:3]
.LBB116_180:                            ;   Parent Loop BB116_175 Depth=1
                                        ; =>  This Inner Loop Header: Depth=2
	s_waitcnt vmcnt(0)
	s_delay_alu instid0(VALU_DEP_1)
	v_add_f64 v[6:7], v[8:9], v[2:3]
	global_atomic_cmpswap_b64 v[6:7], v[16:17], v[6:9], off glc
	s_waitcnt vmcnt(0)
	v_cmp_eq_u64_e32 vcc_lo, v[6:7], v[8:9]
	v_dual_mov_b32 v9, v7 :: v_dual_mov_b32 v8, v6
	s_or_b32 s12, vcc_lo, s12
	s_delay_alu instid0(SALU_CYCLE_1)
	s_and_not1_b32 exec_lo, exec_lo, s12
	s_cbranch_execnz .LBB116_180
; %bb.181:                              ;   in Loop: Header=BB116_175 Depth=1
	s_or_b32 exec_lo, exec_lo, s12
	global_load_b64 v[6:7], v[16:17], off offset:8
	v_add_f64 v[2:3], v[14:15], v[4:5]
	s_mov_b32 s12, 0
.LBB116_182:                            ;   Parent Loop BB116_175 Depth=1
                                        ; =>  This Inner Loop Header: Depth=2
	s_waitcnt vmcnt(0)
	s_delay_alu instid0(VALU_DEP_1)
	v_add_f64 v[4:5], v[6:7], v[2:3]
	global_atomic_cmpswap_b64 v[4:5], v[16:17], v[4:7], off offset:8 glc
	s_waitcnt vmcnt(0)
	v_cmp_eq_u64_e32 vcc_lo, v[4:5], v[6:7]
	v_dual_mov_b32 v7, v5 :: v_dual_mov_b32 v6, v4
	s_or_b32 s12, vcc_lo, s12
	s_delay_alu instid0(SALU_CYCLE_1)
	s_and_not1_b32 exec_lo, exec_lo, s12
	s_cbranch_execnz .LBB116_182
; %bb.183:                              ;   in Loop: Header=BB116_175 Depth=1
	s_or_b32 exec_lo, exec_lo, s12
	v_add_co_u32 v12, vcc_lo, v12, s6
	v_add_co_ci_u32_e32 v13, vcc_lo, 0, v13, vcc_lo
	s_delay_alu instid0(VALU_DEP_1) | instskip(SKIP_1) | instid1(SALU_CYCLE_1)
	v_cmp_le_i64_e32 vcc_lo, s[18:19], v[12:13]
	s_or_b32 s10, vcc_lo, s10
	s_and_not1_b32 exec_lo, exec_lo, s10
	s_cbranch_execnz .LBB116_175
.LBB116_184:
	s_or_b32 exec_lo, exec_lo, s0
	s_mov_b32 s0, 0
.LBB116_185:
	s_delay_alu instid0(SALU_CYCLE_1)
	s_and_not1_b32 vcc_lo, exec_lo, s0
	s_cbranch_vccnz .LBB116_216
; %bb.186:
	v_cvt_f32_u32_e32 v6, s7
	s_sub_i32 s1, 0, s7
                                        ; implicit-def: $vgpr12_vgpr13
	s_mov_b32 s0, exec_lo
	v_mov_b32_e32 v15, 0
	s_delay_alu instid0(VALU_DEP_2) | instskip(SKIP_2) | instid1(VALU_DEP_1)
	v_rcp_iflag_f32_e32 v2, v6
	s_waitcnt_depctr 0xfff
	v_mul_f32_e32 v2, 0x4f7ffffe, v2
	v_cvt_u32_f32_e32 v2, v2
	s_delay_alu instid0(VALU_DEP_1) | instskip(NEXT) | instid1(VALU_DEP_1)
	v_mul_lo_u32 v3, s1, v2
	v_mul_hi_u32 v3, v2, v3
	s_delay_alu instid0(VALU_DEP_1) | instskip(NEXT) | instid1(VALU_DEP_1)
	v_add_nc_u32_e32 v2, v2, v3
	v_mul_hi_u32 v2, v0, v2
	s_delay_alu instid0(VALU_DEP_1) | instskip(SKIP_1) | instid1(VALU_DEP_2)
	v_mul_lo_u32 v3, v2, s7
	v_add_nc_u32_e32 v4, 1, v2
	v_sub_nc_u32_e32 v3, v0, v3
	s_delay_alu instid0(VALU_DEP_1) | instskip(SKIP_1) | instid1(VALU_DEP_2)
	v_subrev_nc_u32_e32 v5, s7, v3
	v_cmp_le_u32_e32 vcc_lo, s7, v3
	v_dual_cndmask_b32 v2, v2, v4 :: v_dual_cndmask_b32 v3, v3, v5
	s_delay_alu instid0(VALU_DEP_1) | instskip(NEXT) | instid1(VALU_DEP_2)
	v_add_nc_u32_e32 v4, 1, v2
	v_cmp_le_u32_e32 vcc_lo, s7, v3
	s_delay_alu instid0(VALU_DEP_2) | instskip(NEXT) | instid1(VALU_DEP_1)
	v_cndmask_b32_e32 v14, v2, v4, vcc_lo
	v_lshlrev_b64 v[2:3], 3, v[14:15]
	s_delay_alu instid0(VALU_DEP_1) | instskip(NEXT) | instid1(VALU_DEP_2)
	v_add_co_u32 v2, vcc_lo, s26, v2
	v_add_co_ci_u32_e32 v3, vcc_lo, s27, v3, vcc_lo
	global_load_b128 v[2:5], v[2:3], off
	s_waitcnt vmcnt(0)
	v_sub_co_u32 v7, vcc_lo, v2, s4
	v_subrev_co_ci_u32_e32 v8, vcc_lo, s5, v3, vcc_lo
	v_mov_b32_e32 v3, v15
	v_sub_co_u32 v9, vcc_lo, v4, s4
	v_subrev_co_ci_u32_e32 v18, vcc_lo, s5, v5, vcc_lo
	s_delay_alu instid0(VALU_DEP_2) | instskip(NEXT) | instid1(VALU_DEP_2)
	v_sub_co_u32 v5, vcc_lo, v9, v7
	v_sub_co_ci_u32_e32 v4, vcc_lo, v18, v8, vcc_lo
	s_delay_alu instid0(VALU_DEP_1)
	v_cmpx_ne_u64_e32 0, v[3:4]
	s_xor_b32 s5, exec_lo, s0
	s_cbranch_execz .LBB116_188
; %bb.187:
	v_cvt_f32_ubyte0_e32 v3, 0
	s_sub_u32 s0, 0, s7
	s_subb_u32 s6, 0, 0
	s_delay_alu instid0(VALU_DEP_1) | instskip(NEXT) | instid1(VALU_DEP_1)
	v_fmamk_f32 v3, v3, 0x4f800000, v6
	v_rcp_f32_e32 v3, v3
	s_waitcnt_depctr 0xfff
	v_mul_f32_e32 v3, 0x5f7ffffc, v3
	s_delay_alu instid0(VALU_DEP_1) | instskip(NEXT) | instid1(VALU_DEP_1)
	v_mul_f32_e32 v6, 0x2f800000, v3
	v_trunc_f32_e32 v6, v6
	s_delay_alu instid0(VALU_DEP_1) | instskip(SKIP_1) | instid1(VALU_DEP_2)
	v_fmamk_f32 v3, v6, 0xcf800000, v3
	v_cvt_u32_f32_e32 v6, v6
	v_cvt_u32_f32_e32 v3, v3
	s_delay_alu instid0(VALU_DEP_2) | instskip(NEXT) | instid1(VALU_DEP_2)
	v_mul_lo_u32 v12, s0, v6
	v_mul_hi_u32 v13, s0, v3
	v_mul_lo_u32 v16, s6, v3
	s_delay_alu instid0(VALU_DEP_2) | instskip(SKIP_1) | instid1(VALU_DEP_2)
	v_add_nc_u32_e32 v12, v13, v12
	v_mul_lo_u32 v13, s0, v3
	v_add_nc_u32_e32 v12, v12, v16
	s_delay_alu instid0(VALU_DEP_2) | instskip(NEXT) | instid1(VALU_DEP_2)
	v_mul_hi_u32 v16, v3, v13
	v_mul_lo_u32 v17, v3, v12
	v_mul_hi_u32 v19, v3, v12
	v_mul_hi_u32 v20, v6, v13
	v_mul_lo_u32 v13, v6, v13
	v_mul_hi_u32 v21, v6, v12
	v_mul_lo_u32 v12, v6, v12
	v_add_co_u32 v16, vcc_lo, v16, v17
	v_add_co_ci_u32_e32 v17, vcc_lo, 0, v19, vcc_lo
	s_delay_alu instid0(VALU_DEP_2) | instskip(NEXT) | instid1(VALU_DEP_2)
	v_add_co_u32 v13, vcc_lo, v16, v13
	v_add_co_ci_u32_e32 v13, vcc_lo, v17, v20, vcc_lo
	v_add_co_ci_u32_e32 v16, vcc_lo, 0, v21, vcc_lo
	v_ashrrev_i32_e32 v20, 31, v4
	s_delay_alu instid0(VALU_DEP_3) | instskip(NEXT) | instid1(VALU_DEP_3)
	v_add_co_u32 v12, vcc_lo, v13, v12
	v_add_co_ci_u32_e32 v13, vcc_lo, 0, v16, vcc_lo
	s_delay_alu instid0(VALU_DEP_2) | instskip(NEXT) | instid1(VALU_DEP_2)
	v_add_co_u32 v3, vcc_lo, v3, v12
	v_add_co_ci_u32_e32 v6, vcc_lo, v6, v13, vcc_lo
	s_delay_alu instid0(VALU_DEP_2) | instskip(SKIP_1) | instid1(VALU_DEP_3)
	v_mul_hi_u32 v12, s0, v3
	v_mul_lo_u32 v16, s6, v3
	v_mul_lo_u32 v13, s0, v6
	s_delay_alu instid0(VALU_DEP_1) | instskip(SKIP_1) | instid1(VALU_DEP_2)
	v_add_nc_u32_e32 v12, v12, v13
	v_mul_lo_u32 v13, s0, v3
	v_add_nc_u32_e32 v12, v12, v16
	s_delay_alu instid0(VALU_DEP_2) | instskip(NEXT) | instid1(VALU_DEP_2)
	v_mul_hi_u32 v16, v3, v13
	v_mul_lo_u32 v17, v3, v12
	v_mul_hi_u32 v19, v3, v12
	v_mul_hi_u32 v21, v6, v13
	v_mul_lo_u32 v13, v6, v13
	v_mul_hi_u32 v22, v6, v12
	v_mul_lo_u32 v12, v6, v12
	v_add_co_u32 v16, vcc_lo, v16, v17
	v_add_co_ci_u32_e32 v17, vcc_lo, 0, v19, vcc_lo
	s_delay_alu instid0(VALU_DEP_2) | instskip(NEXT) | instid1(VALU_DEP_2)
	v_add_co_u32 v13, vcc_lo, v16, v13
	v_add_co_ci_u32_e32 v13, vcc_lo, v17, v21, vcc_lo
	v_add_co_ci_u32_e32 v16, vcc_lo, 0, v22, vcc_lo
	v_add_co_u32 v5, vcc_lo, v5, v20
	v_add_co_ci_u32_e32 v4, vcc_lo, v4, v20, vcc_lo
	s_delay_alu instid0(VALU_DEP_4) | instskip(NEXT) | instid1(VALU_DEP_4)
	v_add_co_u32 v12, vcc_lo, v13, v12
	v_add_co_ci_u32_e32 v13, vcc_lo, 0, v16, vcc_lo
	s_delay_alu instid0(VALU_DEP_4) | instskip(NEXT) | instid1(VALU_DEP_3)
	v_xor_b32_e32 v16, v5, v20
	v_add_co_u32 v12, vcc_lo, v3, v12
	s_delay_alu instid0(VALU_DEP_3) | instskip(SKIP_1) | instid1(VALU_DEP_3)
	v_add_co_ci_u32_e32 v17, vcc_lo, v6, v13, vcc_lo
	v_xor_b32_e32 v19, v4, v20
	v_mul_hi_u32 v21, v16, v12
	s_delay_alu instid0(VALU_DEP_3) | instskip(NEXT) | instid1(VALU_DEP_3)
	v_mad_u64_u32 v[3:4], null, v16, v17, 0
	v_mad_u64_u32 v[5:6], null, v19, v12, 0
	;; [unrolled: 1-line block ×3, first 2 shown]
	s_delay_alu instid0(VALU_DEP_3) | instskip(NEXT) | instid1(VALU_DEP_4)
	v_add_co_u32 v3, vcc_lo, v21, v3
	v_add_co_ci_u32_e32 v4, vcc_lo, 0, v4, vcc_lo
	s_delay_alu instid0(VALU_DEP_2) | instskip(NEXT) | instid1(VALU_DEP_2)
	v_add_co_u32 v3, vcc_lo, v3, v5
	v_add_co_ci_u32_e32 v3, vcc_lo, v4, v6, vcc_lo
	v_add_co_ci_u32_e32 v4, vcc_lo, 0, v13, vcc_lo
	s_delay_alu instid0(VALU_DEP_2) | instskip(NEXT) | instid1(VALU_DEP_2)
	v_add_co_u32 v12, vcc_lo, v3, v12
	v_add_co_ci_u32_e32 v13, vcc_lo, 0, v4, vcc_lo
	s_delay_alu instid0(VALU_DEP_2) | instskip(NEXT) | instid1(VALU_DEP_1)
	v_mad_u64_u32 v[3:4], null, s7, v12, 0
	v_mad_u64_u32 v[5:6], null, s7, v13, v[4:5]
	s_delay_alu instid0(VALU_DEP_2) | instskip(NEXT) | instid1(VALU_DEP_2)
	v_sub_co_u32 v3, vcc_lo, v16, v3
	v_sub_co_ci_u32_e32 v4, vcc_lo, v19, v5, vcc_lo
	s_delay_alu instid0(VALU_DEP_2) | instskip(NEXT) | instid1(VALU_DEP_2)
	v_sub_co_u32 v5, vcc_lo, v3, s7
	v_subrev_co_ci_u32_e32 v6, vcc_lo, 0, v4, vcc_lo
	s_delay_alu instid0(VALU_DEP_2)
	v_cmp_le_u32_e32 vcc_lo, s7, v5
	v_cmp_eq_u32_e64 s0, 0, v4
	v_cndmask_b32_e64 v5, 0, -1, vcc_lo
	v_add_co_u32 v16, vcc_lo, v12, 2
	v_add_co_ci_u32_e32 v17, vcc_lo, 0, v13, vcc_lo
	v_cmp_le_u32_e32 vcc_lo, s7, v3
	v_cndmask_b32_e64 v3, 0, -1, vcc_lo
	v_cmp_eq_u32_e32 vcc_lo, 0, v6
	s_delay_alu instid0(VALU_DEP_2) | instskip(SKIP_3) | instid1(VALU_DEP_3)
	v_cndmask_b32_e64 v3, -1, v3, s0
	v_cndmask_b32_e32 v5, -1, v5, vcc_lo
	v_add_co_u32 v6, vcc_lo, v12, 1
	v_add_co_ci_u32_e32 v19, vcc_lo, 0, v13, vcc_lo
	v_cmp_ne_u32_e32 vcc_lo, 0, v5
	s_delay_alu instid0(VALU_DEP_2) | instskip(SKIP_1) | instid1(VALU_DEP_2)
	v_dual_cndmask_b32 v4, v19, v17 :: v_dual_cndmask_b32 v5, v6, v16
	v_cmp_ne_u32_e32 vcc_lo, 0, v3
	v_dual_cndmask_b32 v3, v13, v4 :: v_dual_cndmask_b32 v4, v12, v5
                                        ; implicit-def: $vgpr5
	s_delay_alu instid0(VALU_DEP_1) | instskip(NEXT) | instid1(VALU_DEP_2)
	v_xor_b32_e32 v3, v3, v20
	v_xor_b32_e32 v4, v4, v20
	s_delay_alu instid0(VALU_DEP_1) | instskip(NEXT) | instid1(VALU_DEP_3)
	v_sub_co_u32 v12, vcc_lo, v4, v20
	v_sub_co_ci_u32_e32 v13, vcc_lo, v3, v20, vcc_lo
.LBB116_188:
	s_and_not1_saveexec_b32 s0, s5
	s_cbranch_execz .LBB116_190
; %bb.189:
	v_cvt_f32_u32_e32 v3, s7
	v_mov_b32_e32 v13, 0
	s_delay_alu instid0(VALU_DEP_2) | instskip(SKIP_2) | instid1(VALU_DEP_1)
	v_rcp_iflag_f32_e32 v3, v3
	s_waitcnt_depctr 0xfff
	v_mul_f32_e32 v3, 0x4f7ffffe, v3
	v_cvt_u32_f32_e32 v3, v3
	s_delay_alu instid0(VALU_DEP_1) | instskip(NEXT) | instid1(VALU_DEP_1)
	v_mul_lo_u32 v4, s1, v3
	v_mul_hi_u32 v4, v3, v4
	s_delay_alu instid0(VALU_DEP_1) | instskip(NEXT) | instid1(VALU_DEP_1)
	v_add_nc_u32_e32 v3, v3, v4
	v_mul_hi_u32 v3, v5, v3
	s_delay_alu instid0(VALU_DEP_1) | instskip(NEXT) | instid1(VALU_DEP_1)
	v_mul_lo_u32 v4, v3, s7
	v_sub_nc_u32_e32 v4, v5, v4
	v_add_nc_u32_e32 v5, 1, v3
	s_delay_alu instid0(VALU_DEP_2) | instskip(SKIP_1) | instid1(VALU_DEP_2)
	v_subrev_nc_u32_e32 v6, s7, v4
	v_cmp_le_u32_e32 vcc_lo, s7, v4
	v_dual_cndmask_b32 v4, v4, v6 :: v_dual_cndmask_b32 v3, v3, v5
	s_delay_alu instid0(VALU_DEP_1) | instskip(NEXT) | instid1(VALU_DEP_2)
	v_cmp_le_u32_e32 vcc_lo, s7, v4
	v_add_nc_u32_e32 v5, 1, v3
	s_delay_alu instid0(VALU_DEP_1)
	v_cndmask_b32_e32 v12, v3, v5, vcc_lo
.LBB116_190:
	s_or_b32 exec_lo, exec_lo, s0
	v_mov_b32_e32 v5, 0
	v_mov_b32_e32 v6, 0
	s_delay_alu instid0(VALU_DEP_2) | instskip(SKIP_1) | instid1(VALU_DEP_2)
	v_mov_b32_e32 v3, v5
	s_mov_b32 s5, exec_lo
	v_mov_b32_e32 v4, v6
	v_cmpx_gt_i64_e64 s[22:23], v[14:15]
	s_cbranch_execz .LBB116_204
; %bb.191:
	s_add_i32 s0, s7, -1
	s_delay_alu instid0(SALU_CYCLE_1) | instskip(SKIP_1) | instid1(VALU_DEP_2)
	v_dual_mov_b32 v5, 0 :: v_dual_and_b32 v14, s0, v0
	v_mov_b32_e32 v6, 0
	v_mov_b32_e32 v3, v5
	s_mov_b32 s6, exec_lo
	s_delay_alu instid0(VALU_DEP_2)
	v_mov_b32_e32 v4, v6
	v_cmpx_lt_i64_e32 0, v[12:13]
	s_cbranch_execz .LBB116_201
; %bb.192:
	v_mov_b32_e32 v3, 0
	v_dual_mov_b32 v4, 0 :: v_dual_mov_b32 v15, 0
	s_mov_b32 s8, exec_lo
	v_mov_b32_e32 v16, 0
	s_delay_alu instid0(VALU_DEP_2)
	v_dual_mov_b32 v6, v4 :: v_dual_mov_b32 v5, v3
	v_cmpx_lt_u64_e32 3, v[12:13]
	s_cbranch_execz .LBB116_196
; %bb.193:
	v_add_nc_u32_e32 v3, v14, v2
	v_dual_mov_b32 v5, 0 :: v_dual_and_b32 v16, 0x7fffffff, v13
	v_dual_mov_b32 v6, 0 :: v_dual_and_b32 v15, -4, v12
	s_delay_alu instid0(VALU_DEP_3)
	v_subrev_nc_u32_e32 v3, s4, v3
	s_lshl_b32 s9, s7, 6
	s_lshl_b32 s10, s7, 4
	s_mov_b64 s[0:1], 0
	s_mov_b32 s11, 0
	v_lshlrev_b32_e32 v17, 4, v3
	v_dual_mov_b32 v3, v5 :: v_dual_mov_b32 v4, v6
	s_set_inst_prefetch_distance 0x1
	.p2align	6
.LBB116_194:                            ; =>This Inner Loop Header: Depth=1
	ds_load_b128 v[19:22], v17
	v_add_nc_u32_e32 v25, s10, v17
	s_add_u32 s0, s0, 4
	s_addc_u32 s1, s1, 0
	s_delay_alu instid0(SALU_CYCLE_1) | instskip(NEXT) | instid1(VALU_DEP_2)
	v_cmp_eq_u64_e32 vcc_lo, s[0:1], v[15:16]
	v_add_nc_u32_e32 v33, s10, v25
	s_or_b32 s11, vcc_lo, s11
	s_delay_alu instid0(VALU_DEP_1)
	v_add_nc_u32_e32 v23, s10, v33
	ds_load_b128 v[27:30], v23
	v_add_nc_u32_e32 v17, s9, v17
	s_waitcnt lgkmcnt(1)
	v_add_f64 v[23:24], v[3:4], v[19:20]
	v_add_f64 v[31:32], v[5:6], v[21:22]
	ds_load_b128 v[3:6], v25
	ds_load_b128 v[19:22], v33
	s_waitcnt lgkmcnt(1)
	v_add_f64 v[3:4], v[23:24], v[3:4]
	v_add_f64 v[5:6], v[31:32], v[5:6]
	s_waitcnt lgkmcnt(0)
	s_delay_alu instid0(VALU_DEP_2) | instskip(NEXT) | instid1(VALU_DEP_2)
	v_add_f64 v[3:4], v[3:4], v[19:20]
	v_add_f64 v[5:6], v[5:6], v[21:22]
	s_delay_alu instid0(VALU_DEP_2) | instskip(NEXT) | instid1(VALU_DEP_2)
	v_add_f64 v[3:4], v[3:4], v[27:28]
	v_add_f64 v[5:6], v[5:6], v[29:30]
	s_and_not1_b32 exec_lo, exec_lo, s11
	s_cbranch_execnz .LBB116_194
; %bb.195:
	s_set_inst_prefetch_distance 0x2
	s_or_b32 exec_lo, exec_lo, s11
.LBB116_196:
	s_delay_alu instid0(SALU_CYCLE_1) | instskip(SKIP_2) | instid1(VALU_DEP_1)
	s_or_b32 exec_lo, exec_lo, s8
	v_dual_mov_b32 v17, 0 :: v_dual_and_b32 v16, 3, v12
	s_mov_b32 s0, exec_lo
	v_cmpx_ne_u64_e32 0, v[16:17]
	s_cbranch_execz .LBB116_200
; %bb.197:
	v_mul_lo_u32 v15, s7, v15
	s_mov_b32 s1, 0
	s_delay_alu instid0(VALU_DEP_1) | instskip(NEXT) | instid1(VALU_DEP_1)
	v_add3_u32 v2, v14, v15, v2
	v_subrev_nc_u32_e32 v2, s4, v2
	s_lshl_b32 s4, s7, 4
	s_delay_alu instid0(VALU_DEP_1)
	v_lshlrev_b32_e32 v2, 4, v2
.LBB116_198:                            ; =>This Inner Loop Header: Depth=1
	ds_load_b128 v[19:22], v2
	v_add_co_u32 v16, vcc_lo, v16, -1
	v_add_co_ci_u32_e32 v17, vcc_lo, -1, v17, vcc_lo
	v_add_nc_u32_e32 v2, s4, v2
	s_delay_alu instid0(VALU_DEP_2)
	v_cmp_eq_u64_e32 vcc_lo, 0, v[16:17]
	s_or_b32 s1, vcc_lo, s1
	s_waitcnt lgkmcnt(0)
	v_add_f64 v[3:4], v[3:4], v[19:20]
	v_add_f64 v[5:6], v[5:6], v[21:22]
	s_and_not1_b32 exec_lo, exec_lo, s1
	s_cbranch_execnz .LBB116_198
; %bb.199:
	s_or_b32 exec_lo, exec_lo, s1
.LBB116_200:
	s_delay_alu instid0(SALU_CYCLE_1)
	s_or_b32 exec_lo, exec_lo, s0
.LBB116_201:
	s_delay_alu instid0(SALU_CYCLE_1) | instskip(SKIP_2) | instid1(VALU_DEP_1)
	s_or_b32 exec_lo, exec_lo, s6
	v_mad_u64_u32 v[16:17], null, v12, s7, v[7:8]
	s_mov_b32 s0, exec_lo
	v_dual_mov_b32 v15, 0 :: v_dual_mov_b32 v2, v17
	s_delay_alu instid0(VALU_DEP_1) | instskip(NEXT) | instid1(VALU_DEP_1)
	v_mad_u64_u32 v[7:8], null, v13, s7, v[2:3]
	v_mov_b32_e32 v2, v7
	s_delay_alu instid0(VALU_DEP_4) | instskip(NEXT) | instid1(VALU_DEP_2)
	v_sub_co_u32 v7, vcc_lo, v9, v16
	v_sub_co_ci_u32_e32 v8, vcc_lo, v18, v2, vcc_lo
	s_delay_alu instid0(VALU_DEP_1)
	v_cmpx_gt_i64_e64 v[7:8], v[14:15]
	s_cbranch_execz .LBB116_203
; %bb.202:
	v_add_lshl_u32 v2, v14, v16, 4
	ds_load_b128 v[12:15], v2
	s_waitcnt lgkmcnt(0)
	v_add_f64 v[3:4], v[3:4], v[12:13]
	v_add_f64 v[5:6], v[5:6], v[14:15]
.LBB116_203:
	s_or_b32 exec_lo, exec_lo, s0
.LBB116_204:
	s_delay_alu instid0(SALU_CYCLE_1)
	s_or_b32 exec_lo, exec_lo, s5
	v_cmp_gt_i64_e32 vcc_lo, s[22:23], v[0:1]
	s_barrier
	buffer_gl0_inv
	ds_store_b128 v26, v[3:6]
	s_waitcnt lgkmcnt(0)
	s_barrier
	buffer_gl0_inv
	s_and_b32 exec_lo, exec_lo, vcc_lo
	s_cbranch_execz .LBB116_216
; %bb.205:
	v_mul_lo_u32 v1, s7, v0
	v_mov_b32_e32 v4, 0
	v_mov_b32_e32 v5, 0
	s_cmp_lt_u32 s7, 8
	s_cbranch_scc1 .LBB116_208
; %bb.206:
	v_mov_b32_e32 v8, 0
	s_delay_alu instid0(VALU_DEP_4) | instskip(NEXT) | instid1(VALU_DEP_2)
	v_dual_mov_b32 v9, 0 :: v_dual_lshlrev_b32 v2, 4, v1
	v_mov_b32_e32 v4, v8
	s_and_b32 s0, s7, 0x7ffffff8
	s_mov_b32 s1, 0
	s_delay_alu instid0(VALU_DEP_2)
	v_mov_b32_e32 v5, v9
.LBB116_207:                            ; =>This Inner Loop Header: Depth=1
	ds_load_b128 v[12:15], v2
	ds_load_b128 v[16:19], v2 offset:16
	s_add_i32 s1, s1, 8
	s_delay_alu instid0(SALU_CYCLE_1) | instskip(SKIP_4) | instid1(VALU_DEP_2)
	s_cmp_eq_u32 s0, s1
	s_waitcnt lgkmcnt(1)
	v_add_f64 v[3:4], v[4:5], v[12:13]
	v_add_f64 v[5:6], v[8:9], v[14:15]
	s_waitcnt lgkmcnt(0)
	v_add_f64 v[7:8], v[3:4], v[16:17]
	s_delay_alu instid0(VALU_DEP_2)
	v_add_f64 v[16:17], v[5:6], v[18:19]
	ds_load_b128 v[3:6], v2 offset:32
	ds_load_b128 v[12:15], v2 offset:48
	s_waitcnt lgkmcnt(1)
	v_add_f64 v[3:4], v[7:8], v[3:4]
	v_add_f64 v[5:6], v[16:17], v[5:6]
	s_waitcnt lgkmcnt(0)
	s_delay_alu instid0(VALU_DEP_2) | instskip(NEXT) | instid1(VALU_DEP_2)
	v_add_f64 v[7:8], v[3:4], v[12:13]
	v_add_f64 v[16:17], v[5:6], v[14:15]
	ds_load_b128 v[3:6], v2 offset:64
	ds_load_b128 v[12:15], v2 offset:80
	s_waitcnt lgkmcnt(1)
	v_add_f64 v[3:4], v[7:8], v[3:4]
	v_add_f64 v[5:6], v[16:17], v[5:6]
	s_waitcnt lgkmcnt(0)
	s_delay_alu instid0(VALU_DEP_2) | instskip(NEXT) | instid1(VALU_DEP_2)
	v_add_f64 v[7:8], v[3:4], v[12:13]
	v_add_f64 v[16:17], v[5:6], v[14:15]
	ds_load_b128 v[3:6], v2 offset:96
	ds_load_b128 v[12:15], v2 offset:112
	v_add_nc_u32_e32 v2, 0x80, v2
	s_waitcnt lgkmcnt(1)
	v_add_f64 v[3:4], v[7:8], v[3:4]
	v_add_f64 v[6:7], v[16:17], v[5:6]
	s_waitcnt lgkmcnt(0)
	s_delay_alu instid0(VALU_DEP_2) | instskip(NEXT) | instid1(VALU_DEP_2)
	v_add_f64 v[4:5], v[3:4], v[12:13]
	v_add_f64 v[8:9], v[6:7], v[14:15]
	s_cbranch_scc0 .LBB116_207
	s_branch .LBB116_209
.LBB116_208:
	s_delay_alu instid0(VALU_DEP_1)
	v_dual_mov_b32 v9, v5 :: v_dual_mov_b32 v8, v4
	s_mov_b32 s0, 0
.LBB116_209:
	s_bfe_u32 s1, s3, 0x30001
	s_delay_alu instid0(SALU_CYCLE_1)
	s_cmp_eq_u32 s1, 0
	s_cbranch_scc1 .LBB116_212
; %bb.210:
	v_add_lshl_u32 v1, s0, v1, 4
.LBB116_211:                            ; =>This Inner Loop Header: Depth=1
	ds_load_b128 v[12:15], v1
	v_add_nc_u32_e32 v1, 16, v1
	s_add_i32 s1, s1, -1
	s_delay_alu instid0(SALU_CYCLE_1)
	s_cmp_lg_u32 s1, 0
	s_waitcnt lgkmcnt(0)
	v_add_f64 v[4:5], v[4:5], v[12:13]
	v_add_f64 v[8:9], v[8:9], v[14:15]
	s_cbranch_scc1 .LBB116_211
.LBB116_212:
	v_lshlrev_b64 v[1:2], 4, v[10:11]
	v_lshlrev_b32_e32 v0, 4, v0
	s_lshl_b32 s0, s2, 4
	s_delay_alu instid0(VALU_DEP_1) | instid1(SALU_CYCLE_1)
	v_add3_u32 v0, 0x4000, s0, v0
	s_delay_alu instid0(VALU_DEP_3) | instskip(NEXT) | instid1(VALU_DEP_4)
	v_add_co_u32 v10, vcc_lo, s20, v1
	v_add_co_ci_u32_e32 v11, vcc_lo, s21, v2, vcc_lo
	ds_load_2addr_b64 v[0:3], v0 offset1:1
	s_mov_b32 s0, 0
	global_load_b64 v[6:7], v[10:11], off
	s_waitcnt lgkmcnt(0)
	v_add_f64 v[0:1], v[4:5], v[0:1]
.LBB116_213:                            ; =>This Inner Loop Header: Depth=1
	s_waitcnt vmcnt(0)
	s_delay_alu instid0(VALU_DEP_1)
	v_add_f64 v[4:5], v[6:7], v[0:1]
	global_atomic_cmpswap_b64 v[4:5], v[10:11], v[4:7], off glc
	s_waitcnt vmcnt(0)
	v_cmp_eq_u64_e32 vcc_lo, v[4:5], v[6:7]
	v_dual_mov_b32 v7, v5 :: v_dual_mov_b32 v6, v4
	s_or_b32 s0, vcc_lo, s0
	s_delay_alu instid0(SALU_CYCLE_1)
	s_and_not1_b32 exec_lo, exec_lo, s0
	s_cbranch_execnz .LBB116_213
; %bb.214:
	s_or_b32 exec_lo, exec_lo, s0
	global_load_b64 v[4:5], v[10:11], off offset:8
	v_add_f64 v[0:1], v[8:9], v[2:3]
	s_mov_b32 s0, 0
.LBB116_215:                            ; =>This Inner Loop Header: Depth=1
	s_waitcnt vmcnt(0)
	s_delay_alu instid0(VALU_DEP_1)
	v_add_f64 v[2:3], v[4:5], v[0:1]
	global_atomic_cmpswap_b64 v[2:3], v[10:11], v[2:5], off offset:8 glc
	s_waitcnt vmcnt(0)
	v_cmp_eq_u64_e32 vcc_lo, v[2:3], v[4:5]
	v_dual_mov_b32 v5, v3 :: v_dual_mov_b32 v4, v2
	s_or_b32 s0, vcc_lo, s0
	s_delay_alu instid0(SALU_CYCLE_1)
	s_and_not1_b32 exec_lo, exec_lo, s0
	s_cbranch_execnz .LBB116_215
.LBB116_216:
	s_endpgm
	.section	.rodata,"a",@progbits
	.p2align	6, 0x0
	.amdhsa_kernel _ZN9rocsparseL27csrmvn_symm_adaptive_kernelIll21rocsparse_complex_numIfES1_IdES3_S3_EEvbT_S4_PKS4_NS_24const_host_device_scalarIT4_EES6_PKT0_PKT1_PKT2_S9_PT3_21rocsparse_index_base_b
		.amdhsa_group_segment_fixed_size 16384
		.amdhsa_private_segment_fixed_size 24
		.amdhsa_kernarg_size 368
		.amdhsa_user_sgpr_count 15
		.amdhsa_user_sgpr_dispatch_ptr 0
		.amdhsa_user_sgpr_queue_ptr 0
		.amdhsa_user_sgpr_kernarg_segment_ptr 1
		.amdhsa_user_sgpr_dispatch_id 0
		.amdhsa_user_sgpr_private_segment_size 0
		.amdhsa_wavefront_size32 1
		.amdhsa_uses_dynamic_stack 0
		.amdhsa_enable_private_segment 1
		.amdhsa_system_sgpr_workgroup_id_x 1
		.amdhsa_system_sgpr_workgroup_id_y 0
		.amdhsa_system_sgpr_workgroup_id_z 0
		.amdhsa_system_sgpr_workgroup_info 0
		.amdhsa_system_vgpr_workitem_id 0
		.amdhsa_next_free_vgpr 43
		.amdhsa_next_free_sgpr 43
		.amdhsa_reserve_vcc 1
		.amdhsa_float_round_mode_32 0
		.amdhsa_float_round_mode_16_64 0
		.amdhsa_float_denorm_mode_32 3
		.amdhsa_float_denorm_mode_16_64 3
		.amdhsa_dx10_clamp 1
		.amdhsa_ieee_mode 1
		.amdhsa_fp16_overflow 0
		.amdhsa_workgroup_processor_mode 1
		.amdhsa_memory_ordered 1
		.amdhsa_forward_progress 0
		.amdhsa_shared_vgpr_count 0
		.amdhsa_exception_fp_ieee_invalid_op 0
		.amdhsa_exception_fp_denorm_src 0
		.amdhsa_exception_fp_ieee_div_zero 0
		.amdhsa_exception_fp_ieee_overflow 0
		.amdhsa_exception_fp_ieee_underflow 0
		.amdhsa_exception_fp_ieee_inexact 0
		.amdhsa_exception_int_div_zero 0
	.end_amdhsa_kernel
	.section	.text._ZN9rocsparseL27csrmvn_symm_adaptive_kernelIll21rocsparse_complex_numIfES1_IdES3_S3_EEvbT_S4_PKS4_NS_24const_host_device_scalarIT4_EES6_PKT0_PKT1_PKT2_S9_PT3_21rocsparse_index_base_b,"axG",@progbits,_ZN9rocsparseL27csrmvn_symm_adaptive_kernelIll21rocsparse_complex_numIfES1_IdES3_S3_EEvbT_S4_PKS4_NS_24const_host_device_scalarIT4_EES6_PKT0_PKT1_PKT2_S9_PT3_21rocsparse_index_base_b,comdat
.Lfunc_end116:
	.size	_ZN9rocsparseL27csrmvn_symm_adaptive_kernelIll21rocsparse_complex_numIfES1_IdES3_S3_EEvbT_S4_PKS4_NS_24const_host_device_scalarIT4_EES6_PKT0_PKT1_PKT2_S9_PT3_21rocsparse_index_base_b, .Lfunc_end116-_ZN9rocsparseL27csrmvn_symm_adaptive_kernelIll21rocsparse_complex_numIfES1_IdES3_S3_EEvbT_S4_PKS4_NS_24const_host_device_scalarIT4_EES6_PKT0_PKT1_PKT2_S9_PT3_21rocsparse_index_base_b
                                        ; -- End function
	.section	.AMDGPU.csdata,"",@progbits
; Kernel info:
; codeLenInByte = 12872
; NumSgprs: 45
; NumVgprs: 43
; ScratchSize: 24
; MemoryBound: 0
; FloatMode: 240
; IeeeMode: 1
; LDSByteSize: 16384 bytes/workgroup (compile time only)
; SGPRBlocks: 5
; VGPRBlocks: 5
; NumSGPRsForWavesPerEU: 45
; NumVGPRsForWavesPerEU: 43
; Occupancy: 16
; WaveLimiterHint : 1
; COMPUTE_PGM_RSRC2:SCRATCH_EN: 1
; COMPUTE_PGM_RSRC2:USER_SGPR: 15
; COMPUTE_PGM_RSRC2:TRAP_HANDLER: 0
; COMPUTE_PGM_RSRC2:TGID_X_EN: 1
; COMPUTE_PGM_RSRC2:TGID_Y_EN: 0
; COMPUTE_PGM_RSRC2:TGID_Z_EN: 0
; COMPUTE_PGM_RSRC2:TIDIG_COMP_CNT: 0
	.section	.text._ZL33csrmvn_symm_large_adaptive_kernelIll21rocsparse_complex_numIfES0_IdES2_S2_EvbT_PKS3_N9rocsparse24const_host_device_scalarIT4_EES5_PKT0_PKT1_PKT2_S9_PT3_21rocsparse_index_base_b,"axG",@progbits,_ZL33csrmvn_symm_large_adaptive_kernelIll21rocsparse_complex_numIfES0_IdES2_S2_EvbT_PKS3_N9rocsparse24const_host_device_scalarIT4_EES5_PKT0_PKT1_PKT2_S9_PT3_21rocsparse_index_base_b,comdat
	.globl	_ZL33csrmvn_symm_large_adaptive_kernelIll21rocsparse_complex_numIfES0_IdES2_S2_EvbT_PKS3_N9rocsparse24const_host_device_scalarIT4_EES5_PKT0_PKT1_PKT2_S9_PT3_21rocsparse_index_base_b ; -- Begin function _ZL33csrmvn_symm_large_adaptive_kernelIll21rocsparse_complex_numIfES0_IdES2_S2_EvbT_PKS3_N9rocsparse24const_host_device_scalarIT4_EES5_PKT0_PKT1_PKT2_S9_PT3_21rocsparse_index_base_b
	.p2align	8
	.type	_ZL33csrmvn_symm_large_adaptive_kernelIll21rocsparse_complex_numIfES0_IdES2_S2_EvbT_PKS3_N9rocsparse24const_host_device_scalarIT4_EES5_PKT0_PKT1_PKT2_S9_PT3_21rocsparse_index_base_b,@function
_ZL33csrmvn_symm_large_adaptive_kernelIll21rocsparse_complex_numIfES0_IdES2_S2_EvbT_PKS3_N9rocsparse24const_host_device_scalarIT4_EES5_PKT0_PKT1_PKT2_S9_PT3_21rocsparse_index_base_b: ; @_ZL33csrmvn_symm_large_adaptive_kernelIll21rocsparse_complex_numIfES0_IdES2_S2_EvbT_PKS3_N9rocsparse24const_host_device_scalarIT4_EES5_PKT0_PKT1_PKT2_S9_PT3_21rocsparse_index_base_b
; %bb.0:
	s_clause 0x2
	s_load_b64 s[20:21], s[0:1], 0x60
	s_load_b128 s[8:11], s[0:1], 0x18
	s_load_b128 s[4:7], s[0:1], 0x48
	s_mov_b64 s[2:3], src_private_base
	v_mov_b32_e32 v1, 0
	s_mov_b32 s12, s15
	s_waitcnt lgkmcnt(0)
	s_bitcmp1_b32 s21, 0
	v_dual_mov_b32 v3, s8 :: v_dual_mov_b32 v6, s5
	s_cselect_b32 s2, -1, 0
	v_mov_b32_e32 v4, s9
	s_and_b32 vcc_lo, s2, exec_lo
	s_cselect_b32 s13, s3, s9
	v_cndmask_b32_e64 v1, s8, v1, s2
	v_dual_mov_b32 v5, s4 :: v_dual_mov_b32 v2, s13
	s_clause 0x1
	scratch_store_b64 off, v[3:4], off
	scratch_store_b64 off, v[5:6], off offset:8
	v_dual_mov_b32 v10, s10 :: v_dual_mov_b32 v11, s11
	flat_load_b64 v[8:9], v[1:2]
	s_xor_b32 s10, s2, -1
	s_cbranch_vccnz .LBB117_2
; %bb.1:
	v_dual_mov_b32 v1, s8 :: v_dual_mov_b32 v2, s9
	flat_load_b64 v[10:11], v[1:2] offset:8
.LBB117_2:
	s_and_b32 s8, s2, exec_lo
	s_cselect_b32 s3, s3, s5
	s_delay_alu instid0(SALU_CYCLE_1) | instskip(SKIP_2) | instid1(VALU_DEP_2)
	v_dual_mov_b32 v1, 8 :: v_dual_mov_b32 v2, s3
	v_dual_mov_b32 v3, s6 :: v_dual_mov_b32 v4, s7
	s_and_not1_b32 vcc_lo, exec_lo, s10
	v_cndmask_b32_e64 v1, s4, v1, s2
	flat_load_b64 v[1:2], v[1:2]
	s_cbranch_vccnz .LBB117_4
; %bb.3:
	v_dual_mov_b32 v3, s4 :: v_dual_mov_b32 v4, s5
	flat_load_b64 v[3:4], v[3:4] offset:8
.LBB117_4:
	s_waitcnt vmcnt(1) lgkmcnt(1)
	v_cmp_eq_f64_e32 vcc_lo, 0, v[8:9]
	v_cmp_eq_f64_e64 s2, 0, v[10:11]
	s_delay_alu instid0(VALU_DEP_1)
	s_and_b32 s4, vcc_lo, s2
	s_mov_b32 s2, -1
	s_and_saveexec_b32 s3, s4
	s_cbranch_execz .LBB117_6
; %bb.5:
	s_waitcnt vmcnt(0) lgkmcnt(0)
	v_cmp_neq_f64_e32 vcc_lo, 1.0, v[1:2]
	v_cmp_neq_f64_e64 s2, 0, v[3:4]
	s_delay_alu instid0(VALU_DEP_1) | instskip(NEXT) | instid1(SALU_CYCLE_1)
	s_or_b32 s2, vcc_lo, s2
	s_or_not1_b32 s2, s2, exec_lo
.LBB117_6:
	s_or_b32 exec_lo, exec_lo, s3
	s_and_saveexec_b32 s3, s2
	s_cbranch_execz .LBB117_51
; %bb.7:
	s_clause 0x1
	s_load_b32 s8, s[0:1], 0x0
	s_load_b64 s[2:3], s[0:1], 0x10
	s_mov_b32 s4, 0
	s_delay_alu instid0(SALU_CYCLE_1)
	s_mov_b32 s5, s4
	s_mov_b32 s6, s4
	;; [unrolled: 1-line block ×3, first 2 shown]
	s_waitcnt vmcnt(0) lgkmcnt(0)
	v_dual_mov_b32 v1, s4 :: v_dual_lshlrev_b32 v14, 4, v0
	v_dual_mov_b32 v2, s5 :: v_dual_mov_b32 v3, s6
	v_mov_b32_e32 v4, s7
	ds_store_b128 v14, v[1:4]
	ds_store_b128 v14, v[1:4] offset:4096
	ds_store_b128 v14, v[1:4] offset:8192
	;; [unrolled: 1-line block ×3, first 2 shown]
	s_waitcnt lgkmcnt(0)
	s_waitcnt_vscnt null, 0x0
	s_barrier
	s_bitcmp1_b32 s8, 0
	buffer_gl0_inv
	s_cselect_b32 s21, -1, 0
	s_ashr_i32 s13, s12, 31
	s_delay_alu instid0(SALU_CYCLE_1) | instskip(NEXT) | instid1(SALU_CYCLE_1)
	s_lshl_b64 s[6:7], s[12:13], 3
	s_add_u32 s2, s2, s6
	s_addc_u32 s3, s3, s7
	s_load_b128 s[16:19], s[2:3], 0x0
	s_clause 0x1
	s_load_b64 s[6:7], s[0:1], 0x58
	s_load_b256 s[8:15], s[0:1], 0x28
	v_sub_co_u32 v15, s1, v0, s20
	s_delay_alu instid0(VALU_DEP_1) | instskip(SKIP_2) | instid1(VALU_DEP_1)
	v_sub_co_ci_u32_e64 v16, null, 0, 0, s1
	s_waitcnt lgkmcnt(0)
	v_cmp_lt_i64_e64 s0, s[16:17], s[18:19]
	s_and_b32 vcc_lo, exec_lo, s0
	s_cbranch_vccnz .LBB117_9
; %bb.8:
	s_lshl_b64 s[0:1], s[16:17], 3
	s_delay_alu instid0(SALU_CYCLE_1)
	s_add_u32 s0, s8, s0
	s_addc_u32 s1, s9, s1
	s_load_b64 s[22:23], s[0:1], 0x0
	s_and_not1_b32 vcc_lo, exec_lo, s4
	s_cbranch_vccz .LBB117_10
	s_branch .LBB117_39
.LBB117_9:
                                        ; implicit-def: $sgpr22_sgpr23
.LBB117_10:
	s_lshl_b64 s[0:1], s[16:17], 3
	v_cmp_gt_u32_e64 s2, 16, v0
	s_add_u32 s0, s8, s0
	s_addc_u32 s1, s9, s1
	v_cmp_gt_u32_e64 s3, 4, v0
	s_waitcnt lgkmcnt(0)
	s_load_b64 s[22:23], s[0:1], 0x0
	v_cmp_gt_u32_e64 s0, 0x100, v0
	v_cmp_gt_u32_e64 s1, 64, v0
	v_cmp_eq_u32_e64 s4, 0, v0
	v_mov_b32_e32 v17, 0
	s_add_u32 s30, s8, 8
	s_addc_u32 s31, s9, 0
	s_add_u32 s33, s12, 4
	s_addc_u32 s34, s13, 0
	s_mov_b64 s[24:25], s[16:17]
	s_waitcnt lgkmcnt(0)
	s_mov_b64 s[26:27], s[22:23]
	s_branch .LBB117_12
.LBB117_11:                             ;   in Loop: Header=BB117_12 Depth=1
	s_or_b32 exec_lo, exec_lo, s5
	s_add_u32 s24, s24, 1
	s_addc_u32 s25, s25, 0
	s_delay_alu instid0(SALU_CYCLE_1) | instskip(NEXT) | instid1(VALU_DEP_1)
	v_cmp_ge_i64_e64 s5, s[24:25], s[18:19]
	s_and_b32 vcc_lo, exec_lo, s5
	s_cbranch_vccnz .LBB117_39
.LBB117_12:                             ; =>This Loop Header: Depth=1
                                        ;     Child Loop BB117_14 Depth 2
                                        ;     Child Loop BB117_28 Depth 2
	;; [unrolled: 1-line block ×5, first 2 shown]
	s_lshl_b64 s[28:29], s[24:25], 3
	s_mov_b64 s[36:37], s[26:27]
	s_add_u32 s28, s30, s28
	s_addc_u32 s29, s31, s29
	v_mov_b32_e32 v2, 0
	s_load_b64 s[26:27], s[28:29], 0x0
	v_mov_b32_e32 v3, 0
	v_add_co_u32 v4, vcc_lo, s36, v15
	v_add_co_ci_u32_e32 v5, vcc_lo, s37, v16, vcc_lo
	s_delay_alu instid0(VALU_DEP_3) | instskip(SKIP_4) | instid1(SALU_CYCLE_1)
	v_dual_mov_b32 v0, v2 :: v_dual_mov_b32 v1, v3
	s_mov_b32 s35, exec_lo
	s_waitcnt lgkmcnt(0)
	s_sub_u32 s28, s26, s20
	s_subb_u32 s29, s27, 0
	v_cmpx_gt_i64_e64 s[28:29], v[4:5]
	s_cbranch_execz .LBB117_16
; %bb.13:                               ;   in Loop: Header=BB117_12 Depth=1
	v_lshlrev_b64 v[0:1], 3, v[4:5]
	v_mov_b32_e32 v2, 0
	v_mov_b32_e32 v3, 0
	s_mov_b32 s36, 0
	s_delay_alu instid0(VALU_DEP_3) | instskip(NEXT) | instid1(VALU_DEP_4)
	v_add_co_u32 v6, vcc_lo, s10, v0
	v_add_co_ci_u32_e32 v7, vcc_lo, s11, v1, vcc_lo
	v_add_co_u32 v12, vcc_lo, s33, v0
	v_add_co_ci_u32_e32 v13, vcc_lo, s34, v1, vcc_lo
	v_dual_mov_b32 v0, v2 :: v_dual_mov_b32 v1, v3
	s_set_inst_prefetch_distance 0x1
	.p2align	6
.LBB117_14:                             ;   Parent Loop BB117_12 Depth=1
                                        ; =>  This Inner Loop Header: Depth=2
	global_load_b64 v[18:19], v[6:7], off
	global_load_b64 v[22:23], v[12:13], off offset:-4
	v_add_co_u32 v12, s5, 0x800, v12
	s_delay_alu instid0(VALU_DEP_1)
	v_add_co_ci_u32_e64 v13, s5, 0, v13, s5
	s_waitcnt vmcnt(1)
	v_sub_co_u32 v18, vcc_lo, v18, s20
	v_subrev_co_ci_u32_e32 v19, vcc_lo, 0, v19, vcc_lo
	s_waitcnt vmcnt(0)
	v_cndmask_b32_e64 v24, v23, -v23, s21
	v_cvt_f64_f32_e32 v[22:23], v22
	s_delay_alu instid0(VALU_DEP_3) | instskip(NEXT) | instid1(VALU_DEP_3)
	v_lshlrev_b64 v[18:19], 4, v[18:19]
	v_cvt_f64_f32_e32 v[24:25], v24
	s_delay_alu instid0(VALU_DEP_2) | instskip(NEXT) | instid1(VALU_DEP_3)
	v_add_co_u32 v18, vcc_lo, s14, v18
	v_add_co_ci_u32_e32 v19, vcc_lo, s15, v19, vcc_lo
	v_add_co_u32 v4, vcc_lo, 0x100, v4
	v_add_co_ci_u32_e32 v5, vcc_lo, 0, v5, vcc_lo
	global_load_b128 v[18:21], v[18:19], off
	v_add_co_u32 v6, vcc_lo, 0x800, v6
	v_add_co_ci_u32_e32 v7, vcc_lo, 0, v7, vcc_lo
	v_cmp_le_i64_e32 vcc_lo, s[28:29], v[4:5]
	s_or_b32 s36, vcc_lo, s36
	s_waitcnt vmcnt(0)
	v_fma_f64 v[0:1], v[22:23], v[18:19], v[0:1]
	v_fma_f64 v[2:3], v[24:25], v[18:19], v[2:3]
	s_delay_alu instid0(VALU_DEP_2) | instskip(NEXT) | instid1(VALU_DEP_2)
	v_fma_f64 v[0:1], -v[24:25], v[20:21], v[0:1]
	v_fma_f64 v[2:3], v[22:23], v[20:21], v[2:3]
	s_and_not1_b32 exec_lo, exec_lo, s36
	s_cbranch_execnz .LBB117_14
; %bb.15:                               ;   in Loop: Header=BB117_12 Depth=1
	s_set_inst_prefetch_distance 0x2
	s_or_b32 exec_lo, exec_lo, s36
.LBB117_16:                             ;   in Loop: Header=BB117_12 Depth=1
	s_delay_alu instid0(SALU_CYCLE_1)
	s_or_b32 exec_lo, exec_lo, s35
	ds_store_b128 v14, v[0:3]
	s_waitcnt lgkmcnt(0)
	s_barrier
	buffer_gl0_inv
	s_and_saveexec_b32 s5, s0
	s_cbranch_execz .LBB117_18
; %bb.17:                               ;   in Loop: Header=BB117_12 Depth=1
	ds_load_b128 v[0:3], v14 offset:4096
	ds_load_b128 v[4:7], v14 offset:8192
	ds_load_b128 v[18:21], v14 offset:12288
	ds_load_b128 v[22:25], v14
	s_waitcnt lgkmcnt(2)
	v_add_f64 v[0:1], v[4:5], v[0:1]
	v_add_f64 v[2:3], v[6:7], v[2:3]
	s_waitcnt lgkmcnt(1)
	s_delay_alu instid0(VALU_DEP_2) | instskip(NEXT) | instid1(VALU_DEP_2)
	v_add_f64 v[0:1], v[0:1], v[18:19]
	v_add_f64 v[2:3], v[2:3], v[20:21]
	s_waitcnt lgkmcnt(0)
	s_delay_alu instid0(VALU_DEP_2) | instskip(NEXT) | instid1(VALU_DEP_2)
	v_add_f64 v[0:1], v[0:1], v[22:23]
	v_add_f64 v[2:3], v[2:3], v[24:25]
	ds_store_b128 v14, v[0:3]
.LBB117_18:                             ;   in Loop: Header=BB117_12 Depth=1
	s_or_b32 exec_lo, exec_lo, s5
	s_waitcnt lgkmcnt(0)
	s_barrier
	buffer_gl0_inv
	s_and_saveexec_b32 s5, s1
	s_cbranch_execz .LBB117_20
; %bb.19:                               ;   in Loop: Header=BB117_12 Depth=1
	ds_load_b128 v[0:3], v14 offset:1024
	ds_load_b128 v[4:7], v14 offset:2048
	ds_load_b128 v[18:21], v14 offset:3072
	ds_load_b128 v[22:25], v14
	s_waitcnt lgkmcnt(2)
	v_add_f64 v[0:1], v[4:5], v[0:1]
	v_add_f64 v[2:3], v[6:7], v[2:3]
	s_waitcnt lgkmcnt(1)
	s_delay_alu instid0(VALU_DEP_2) | instskip(NEXT) | instid1(VALU_DEP_2)
	v_add_f64 v[0:1], v[0:1], v[18:19]
	v_add_f64 v[2:3], v[2:3], v[20:21]
	s_waitcnt lgkmcnt(0)
	s_delay_alu instid0(VALU_DEP_2) | instskip(NEXT) | instid1(VALU_DEP_2)
	v_add_f64 v[0:1], v[0:1], v[22:23]
	v_add_f64 v[2:3], v[2:3], v[24:25]
	ds_store_b128 v14, v[0:3]
.LBB117_20:                             ;   in Loop: Header=BB117_12 Depth=1
	s_or_b32 exec_lo, exec_lo, s5
	s_waitcnt lgkmcnt(0)
	s_barrier
	buffer_gl0_inv
	s_and_saveexec_b32 s5, s2
	s_cbranch_execz .LBB117_22
; %bb.21:                               ;   in Loop: Header=BB117_12 Depth=1
	ds_load_b128 v[0:3], v14 offset:256
	ds_load_b128 v[4:7], v14 offset:512
	ds_load_b128 v[18:21], v14 offset:768
	ds_load_b128 v[22:25], v14
	s_waitcnt lgkmcnt(2)
	v_add_f64 v[0:1], v[4:5], v[0:1]
	v_add_f64 v[2:3], v[6:7], v[2:3]
	s_waitcnt lgkmcnt(1)
	s_delay_alu instid0(VALU_DEP_2) | instskip(NEXT) | instid1(VALU_DEP_2)
	v_add_f64 v[0:1], v[0:1], v[18:19]
	v_add_f64 v[2:3], v[2:3], v[20:21]
	s_waitcnt lgkmcnt(0)
	s_delay_alu instid0(VALU_DEP_2) | instskip(NEXT) | instid1(VALU_DEP_2)
	v_add_f64 v[0:1], v[0:1], v[22:23]
	v_add_f64 v[2:3], v[2:3], v[24:25]
	ds_store_b128 v14, v[0:3]
.LBB117_22:                             ;   in Loop: Header=BB117_12 Depth=1
	s_or_b32 exec_lo, exec_lo, s5
	s_waitcnt lgkmcnt(0)
	s_barrier
	buffer_gl0_inv
	s_and_saveexec_b32 s5, s3
	s_cbranch_execz .LBB117_24
; %bb.23:                               ;   in Loop: Header=BB117_12 Depth=1
	ds_load_b128 v[0:3], v14 offset:64
	ds_load_b128 v[4:7], v14 offset:128
	ds_load_b128 v[18:21], v14 offset:192
	ds_load_b128 v[22:25], v14
	s_waitcnt lgkmcnt(2)
	v_add_f64 v[0:1], v[4:5], v[0:1]
	v_add_f64 v[2:3], v[6:7], v[2:3]
	s_waitcnt lgkmcnt(1)
	s_delay_alu instid0(VALU_DEP_2) | instskip(NEXT) | instid1(VALU_DEP_2)
	v_add_f64 v[0:1], v[0:1], v[18:19]
	v_add_f64 v[2:3], v[2:3], v[20:21]
	s_waitcnt lgkmcnt(0)
	s_delay_alu instid0(VALU_DEP_2) | instskip(NEXT) | instid1(VALU_DEP_2)
	v_add_f64 v[0:1], v[0:1], v[22:23]
	v_add_f64 v[2:3], v[2:3], v[24:25]
	ds_store_b128 v14, v[0:3]
.LBB117_24:                             ;   in Loop: Header=BB117_12 Depth=1
	s_or_b32 exec_lo, exec_lo, s5
	s_waitcnt lgkmcnt(0)
	s_barrier
	buffer_gl0_inv
	s_and_saveexec_b32 s5, s4
	s_cbranch_execz .LBB117_26
; %bb.25:                               ;   in Loop: Header=BB117_12 Depth=1
	ds_load_b128 v[0:3], v17 offset:16
	ds_load_b128 v[4:7], v17 offset:32
	ds_load_b128 v[18:21], v17 offset:48
	ds_load_b128 v[22:25], v14
	s_waitcnt lgkmcnt(2)
	v_add_f64 v[0:1], v[4:5], v[0:1]
	v_add_f64 v[2:3], v[6:7], v[2:3]
	s_waitcnt lgkmcnt(1)
	s_delay_alu instid0(VALU_DEP_2) | instskip(NEXT) | instid1(VALU_DEP_2)
	v_add_f64 v[0:1], v[0:1], v[18:19]
	v_add_f64 v[2:3], v[2:3], v[20:21]
	s_waitcnt lgkmcnt(0)
	s_delay_alu instid0(VALU_DEP_2) | instskip(NEXT) | instid1(VALU_DEP_2)
	v_add_f64 v[0:1], v[0:1], v[22:23]
	v_add_f64 v[2:3], v[2:3], v[24:25]
	ds_store_b128 v14, v[0:3]
.LBB117_26:                             ;   in Loop: Header=BB117_12 Depth=1
	s_or_b32 exec_lo, exec_lo, s5
	s_waitcnt lgkmcnt(0)
	s_barrier
	buffer_gl0_inv
	s_and_saveexec_b32 s5, s4
	s_cbranch_execz .LBB117_11
; %bb.27:                               ;   in Loop: Header=BB117_12 Depth=1
	ds_load_b128 v[0:3], v17
	v_mov_b32_e32 v12, 0
	v_bfrev_b32_e32 v13, 1
	s_mov_b32 s28, exec_lo
	s_waitcnt lgkmcnt(0)
	v_mul_f64 v[4:5], v[2:3], -v[10:11]
	s_delay_alu instid0(VALU_DEP_1)
	v_fma_f64 v[4:5], v[8:9], v[0:1], v[4:5]
.LBB117_28:                             ;   Parent Loop BB117_12 Depth=1
                                        ; =>  This Inner Loop Header: Depth=2
	s_ctz_i32_b32 s29, s28
	s_delay_alu instid0(VALU_DEP_1) | instid1(SALU_CYCLE_1)
	v_readlane_b32 s37, v5, s29
	s_delay_alu instid0(VALU_DEP_2) | instskip(SKIP_1) | instid1(SALU_CYCLE_1)
	v_readlane_b32 s36, v4, s29
	s_lshl_b32 s29, 1, s29
	s_and_not1_b32 s28, s28, s29
	s_delay_alu instid0(VALU_DEP_1)
	v_add_f64 v[12:13], v[12:13], s[36:37]
	s_cmp_lg_u32 s28, 0
	s_cbranch_scc1 .LBB117_28
; %bb.29:                               ;   in Loop: Header=BB117_12 Depth=1
	v_mbcnt_lo_u32_b32 v4, exec_lo, 0
	s_lshl_b64 s[28:29], s[24:25], 4
	s_mov_b32 s35, exec_lo
	s_add_u32 s28, s6, s28
	s_addc_u32 s29, s7, s29
	v_cmpx_eq_u32_e32 0, v4
	s_xor_b32 s35, exec_lo, s35
	s_cbranch_execz .LBB117_33
; %bb.30:                               ;   in Loop: Header=BB117_12 Depth=1
	global_load_b64 v[6:7], v17, s[28:29]
	s_mov_b32 s36, 0
.LBB117_31:                             ;   Parent Loop BB117_12 Depth=1
                                        ; =>  This Inner Loop Header: Depth=2
	s_waitcnt vmcnt(0)
	v_add_f64 v[4:5], v[6:7], v[12:13]
	global_atomic_cmpswap_b64 v[4:5], v17, v[4:7], s[28:29] glc
	s_waitcnt vmcnt(0)
	v_cmp_eq_u64_e32 vcc_lo, v[4:5], v[6:7]
	v_dual_mov_b32 v7, v5 :: v_dual_mov_b32 v6, v4
	s_or_b32 s36, vcc_lo, s36
	s_delay_alu instid0(SALU_CYCLE_1)
	s_and_not1_b32 exec_lo, exec_lo, s36
	s_cbranch_execnz .LBB117_31
; %bb.32:                               ;   in Loop: Header=BB117_12 Depth=1
	s_or_b32 exec_lo, exec_lo, s36
.LBB117_33:                             ;   in Loop: Header=BB117_12 Depth=1
	s_delay_alu instid0(SALU_CYCLE_1) | instskip(SKIP_4) | instid1(VALU_DEP_3)
	s_or_b32 exec_lo, exec_lo, s35
	v_mul_f64 v[2:3], v[8:9], v[2:3]
	v_mov_b32_e32 v4, 0
	v_bfrev_b32_e32 v5, 1
	s_mov_b32 s35, exec_lo
	v_fma_f64 v[0:1], v[10:11], v[0:1], v[2:3]
.LBB117_34:                             ;   Parent Loop BB117_12 Depth=1
                                        ; =>  This Inner Loop Header: Depth=2
	s_ctz_i32_b32 s38, s35
	s_delay_alu instid0(VALU_DEP_1) | instid1(SALU_CYCLE_1)
	v_readlane_b32 s37, v1, s38
	s_delay_alu instid0(VALU_DEP_2) | instskip(NEXT) | instid1(VALU_DEP_1)
	v_readlane_b32 s36, v0, s38
	v_add_f64 v[4:5], v[4:5], s[36:37]
	s_lshl_b32 s36, 1, s38
	s_delay_alu instid0(SALU_CYCLE_1) | instskip(NEXT) | instid1(SALU_CYCLE_1)
	s_and_not1_b32 s35, s35, s36
	s_cmp_lg_u32 s35, 0
	s_cbranch_scc1 .LBB117_34
; %bb.35:                               ;   in Loop: Header=BB117_12 Depth=1
	v_mbcnt_lo_u32_b32 v0, exec_lo, 0
	s_mov_b32 s35, exec_lo
	s_delay_alu instid0(VALU_DEP_1)
	v_cmpx_eq_u32_e32 0, v0
	s_xor_b32 s35, exec_lo, s35
	s_cbranch_execz .LBB117_11
; %bb.36:                               ;   in Loop: Header=BB117_12 Depth=1
	global_load_b64 v[2:3], v17, s[28:29] offset:8
	s_mov_b32 s35, 0
.LBB117_37:                             ;   Parent Loop BB117_12 Depth=1
                                        ; =>  This Inner Loop Header: Depth=2
	s_waitcnt vmcnt(0)
	v_add_f64 v[0:1], v[2:3], v[4:5]
	global_atomic_cmpswap_b64 v[0:1], v17, v[0:3], s[28:29] offset:8 glc
	s_waitcnt vmcnt(0)
	v_cmp_eq_u64_e32 vcc_lo, v[0:1], v[2:3]
	v_dual_mov_b32 v3, v1 :: v_dual_mov_b32 v2, v0
	s_or_b32 s35, vcc_lo, s35
	s_delay_alu instid0(SALU_CYCLE_1)
	s_and_not1_b32 exec_lo, exec_lo, s35
	s_cbranch_execnz .LBB117_37
; %bb.38:                               ;   in Loop: Header=BB117_12 Depth=1
	s_or_b32 exec_lo, exec_lo, s35
	s_branch .LBB117_11
.LBB117_39:
	s_lshl_b64 s[0:1], s[18:19], 3
	s_waitcnt lgkmcnt(0)
	v_add_co_u32 v12, vcc_lo, s22, v15
	s_add_u32 s0, s8, s0
	s_addc_u32 s1, s9, s1
	v_add_co_ci_u32_e32 v13, vcc_lo, s23, v16, vcc_lo
	s_load_b64 s[0:1], s[0:1], 0x0
	s_waitcnt lgkmcnt(0)
	s_sub_u32 s2, s0, s20
	s_subb_u32 s3, s1, 0
	s_delay_alu instid0(SALU_CYCLE_1)
	v_cmp_gt_i64_e32 vcc_lo, s[2:3], v[12:13]
	s_and_b32 exec_lo, exec_lo, vcc_lo
	s_cbranch_execz .LBB117_51
; %bb.40:
	s_add_u32 s4, s18, -1
	s_addc_u32 s5, s19, -1
	s_add_u32 s0, s18, -2
	v_cmp_gt_i64_e64 s18, s[4:5], s[16:17]
	s_addc_u32 s1, s19, -1
	s_delay_alu instid0(SALU_CYCLE_1)
	s_cmp_lg_u64 s[0:1], s[16:17]
	s_cselect_b32 s0, -1, 0
	s_delay_alu instid0(VALU_DEP_1) | instid1(SALU_CYCLE_1)
	s_and_b32 s1, s18, s0
	s_mov_b32 s18, 0
	s_branch .LBB117_42
.LBB117_41:                             ;   in Loop: Header=BB117_42 Depth=1
	s_or_b32 exec_lo, exec_lo, s0
	v_add_co_u32 v12, vcc_lo, 0x100, v12
	v_add_co_ci_u32_e32 v13, vcc_lo, 0, v13, vcc_lo
	s_delay_alu instid0(VALU_DEP_1) | instskip(SKIP_1) | instid1(SALU_CYCLE_1)
	v_cmp_le_i64_e32 vcc_lo, s[2:3], v[12:13]
	s_or_b32 s18, vcc_lo, s18
	s_and_not1_b32 exec_lo, exec_lo, s18
	s_cbranch_execz .LBB117_51
.LBB117_42:                             ; =>This Loop Header: Depth=1
                                        ;     Child Loop BB117_44 Depth 2
                                        ;     Child Loop BB117_48 Depth 2
	;; [unrolled: 1-line block ×3, first 2 shown]
	v_dual_mov_b32 v0, s16 :: v_dual_mov_b32 v1, s17
	v_dual_mov_b32 v2, s4 :: v_dual_mov_b32 v3, s5
	s_and_not1_b32 vcc_lo, exec_lo, s1
	s_cbranch_vccnz .LBB117_46
; %bb.43:                               ;   in Loop: Header=BB117_42 Depth=1
	v_dual_mov_b32 v0, s16 :: v_dual_mov_b32 v1, s17
	v_dual_mov_b32 v2, s4 :: v_dual_mov_b32 v3, s5
	s_mov_b32 s19, 0
	s_set_inst_prefetch_distance 0x1
	.p2align	6
.LBB117_44:                             ;   Parent Loop BB117_42 Depth=1
                                        ; =>  This Inner Loop Header: Depth=2
	s_delay_alu instid0(VALU_DEP_1) | instskip(NEXT) | instid1(VALU_DEP_2)
	v_add_co_u32 v4, vcc_lo, v2, v0
	v_add_co_ci_u32_e32 v5, vcc_lo, v3, v1, vcc_lo
	s_delay_alu instid0(VALU_DEP_1) | instskip(NEXT) | instid1(VALU_DEP_1)
	v_lshrrev_b32_e32 v6, 31, v5
	v_add_co_u32 v4, vcc_lo, v4, v6
	v_add_co_ci_u32_e32 v5, vcc_lo, 0, v5, vcc_lo
	s_delay_alu instid0(VALU_DEP_1) | instskip(NEXT) | instid1(VALU_DEP_1)
	v_ashrrev_i64 v[4:5], 1, v[4:5]
	v_lshlrev_b64 v[6:7], 3, v[4:5]
	s_delay_alu instid0(VALU_DEP_1) | instskip(NEXT) | instid1(VALU_DEP_2)
	v_add_co_u32 v6, vcc_lo, s8, v6
	v_add_co_ci_u32_e32 v7, vcc_lo, s9, v7, vcc_lo
	global_load_b64 v[6:7], v[6:7], off
	s_waitcnt vmcnt(0)
	v_sub_co_u32 v6, vcc_lo, v6, s20
	v_subrev_co_ci_u32_e32 v7, vcc_lo, 0, v7, vcc_lo
	s_delay_alu instid0(VALU_DEP_1) | instskip(SKIP_2) | instid1(VALU_DEP_2)
	v_cmp_gt_i64_e32 vcc_lo, v[6:7], v[12:13]
	v_dual_cndmask_b32 v3, v3, v5 :: v_dual_cndmask_b32 v2, v2, v4
	v_dual_cndmask_b32 v1, v5, v1 :: v_dual_cndmask_b32 v0, v4, v0
	v_add_co_u32 v4, vcc_lo, v2, -1
	s_delay_alu instid0(VALU_DEP_3) | instskip(NEXT) | instid1(VALU_DEP_3)
	v_add_co_ci_u32_e32 v5, vcc_lo, -1, v3, vcc_lo
	v_cmp_ge_i64_e32 vcc_lo, v[0:1], v[2:3]
	s_delay_alu instid0(VALU_DEP_2) | instskip(NEXT) | instid1(VALU_DEP_1)
	v_cmp_eq_u64_e64 s0, v[0:1], v[4:5]
	s_or_b32 s0, vcc_lo, s0
	s_delay_alu instid0(SALU_CYCLE_1) | instskip(NEXT) | instid1(SALU_CYCLE_1)
	s_and_b32 s0, exec_lo, s0
	s_or_b32 s19, s0, s19
	s_delay_alu instid0(SALU_CYCLE_1)
	s_and_not1_b32 exec_lo, exec_lo, s19
	s_cbranch_execnz .LBB117_44
; %bb.45:                               ;   in Loop: Header=BB117_42 Depth=1
	s_set_inst_prefetch_distance 0x2
	s_or_b32 exec_lo, exec_lo, s19
.LBB117_46:                             ;   in Loop: Header=BB117_42 Depth=1
	s_delay_alu instid0(VALU_DEP_1) | instskip(SKIP_2) | instid1(VALU_DEP_2)
	v_lshlrev_b64 v[4:5], 3, v[2:3]
	v_lshlrev_b64 v[6:7], 3, v[12:13]
	s_mov_b32 s0, exec_lo
	v_add_co_u32 v4, vcc_lo, s8, v4
	s_delay_alu instid0(VALU_DEP_3) | instskip(NEXT) | instid1(VALU_DEP_3)
	v_add_co_ci_u32_e32 v5, vcc_lo, s9, v5, vcc_lo
	v_add_co_u32 v14, vcc_lo, s10, v6
	s_delay_alu instid0(VALU_DEP_4)
	v_add_co_ci_u32_e32 v15, vcc_lo, s11, v7, vcc_lo
	global_load_b64 v[4:5], v[4:5], off
	global_load_b64 v[14:15], v[14:15], off
	s_waitcnt vmcnt(1)
	v_sub_co_u32 v4, vcc_lo, v4, s20
	v_subrev_co_ci_u32_e32 v5, vcc_lo, 0, v5, vcc_lo
	s_delay_alu instid0(VALU_DEP_1) | instskip(SKIP_4) | instid1(VALU_DEP_1)
	v_cmp_gt_i64_e32 vcc_lo, v[4:5], v[12:13]
	v_dual_cndmask_b32 v1, v3, v1 :: v_dual_cndmask_b32 v0, v2, v0
	s_waitcnt vmcnt(0)
	v_sub_co_u32 v4, vcc_lo, v14, s20
	v_subrev_co_ci_u32_e32 v5, vcc_lo, 0, v15, vcc_lo
	v_cmpx_ne_u64_e64 v[4:5], v[0:1]
	s_cbranch_execz .LBB117_41
; %bb.47:                               ;   in Loop: Header=BB117_42 Depth=1
	v_add_co_u32 v2, vcc_lo, s12, v6
	v_add_co_ci_u32_e32 v3, vcc_lo, s13, v7, vcc_lo
	v_lshlrev_b64 v[0:1], 4, v[0:1]
	v_lshlrev_b64 v[4:5], 4, v[4:5]
	s_mov_b32 s19, 0
	global_load_b64 v[16:17], v[2:3], off
	v_add_co_u32 v0, vcc_lo, s14, v0
	v_add_co_ci_u32_e32 v1, vcc_lo, s15, v1, vcc_lo
	v_add_co_u32 v14, vcc_lo, s6, v4
	v_add_co_ci_u32_e32 v15, vcc_lo, s7, v5, vcc_lo
	global_load_b128 v[0:3], v[0:1], off
	global_load_b64 v[6:7], v[14:15], off
	s_waitcnt vmcnt(2)
	v_cndmask_b32_e64 v4, v17, -v17, s21
	v_cvt_f64_f32_e32 v[18:19], v16
	s_delay_alu instid0(VALU_DEP_2) | instskip(NEXT) | instid1(VALU_DEP_1)
	v_cvt_f64_f32_e32 v[4:5], v4
	v_mul_f64 v[16:17], v[8:9], v[4:5]
	v_mul_f64 v[4:5], -v[10:11], v[4:5]
	s_delay_alu instid0(VALU_DEP_2) | instskip(NEXT) | instid1(VALU_DEP_2)
	v_fma_f64 v[16:17], v[10:11], v[18:19], v[16:17]
	v_fma_f64 v[18:19], v[8:9], v[18:19], v[4:5]
	s_waitcnt vmcnt(1)
	s_delay_alu instid0(VALU_DEP_2) | instskip(NEXT) | instid1(VALU_DEP_1)
	v_mul_f64 v[4:5], v[2:3], -v[16:17]
	v_fma_f64 v[20:21], v[18:19], v[0:1], v[4:5]
.LBB117_48:                             ;   Parent Loop BB117_42 Depth=1
                                        ; =>  This Inner Loop Header: Depth=2
	s_waitcnt vmcnt(0)
	s_delay_alu instid0(VALU_DEP_1)
	v_add_f64 v[4:5], v[6:7], v[20:21]
	global_atomic_cmpswap_b64 v[4:5], v[14:15], v[4:7], off glc
	s_waitcnt vmcnt(0)
	v_cmp_eq_u64_e32 vcc_lo, v[4:5], v[6:7]
	v_dual_mov_b32 v7, v5 :: v_dual_mov_b32 v6, v4
	s_or_b32 s19, vcc_lo, s19
	s_delay_alu instid0(SALU_CYCLE_1)
	s_and_not1_b32 exec_lo, exec_lo, s19
	s_cbranch_execnz .LBB117_48
; %bb.49:                               ;   in Loop: Header=BB117_42 Depth=1
	s_or_b32 exec_lo, exec_lo, s19
	global_load_b64 v[4:5], v[14:15], off offset:8
	v_mul_f64 v[2:3], v[2:3], v[18:19]
	s_mov_b32 s19, 0
	s_delay_alu instid0(VALU_DEP_1)
	v_fma_f64 v[0:1], v[16:17], v[0:1], v[2:3]
.LBB117_50:                             ;   Parent Loop BB117_42 Depth=1
                                        ; =>  This Inner Loop Header: Depth=2
	s_waitcnt vmcnt(0)
	s_delay_alu instid0(VALU_DEP_1)
	v_add_f64 v[2:3], v[4:5], v[0:1]
	global_atomic_cmpswap_b64 v[2:3], v[14:15], v[2:5], off offset:8 glc
	s_waitcnt vmcnt(0)
	v_cmp_eq_u64_e32 vcc_lo, v[2:3], v[4:5]
	v_dual_mov_b32 v5, v3 :: v_dual_mov_b32 v4, v2
	s_or_b32 s19, vcc_lo, s19
	s_delay_alu instid0(SALU_CYCLE_1)
	s_and_not1_b32 exec_lo, exec_lo, s19
	s_cbranch_execnz .LBB117_50
	s_branch .LBB117_41
.LBB117_51:
	s_endpgm
	.section	.rodata,"a",@progbits
	.p2align	6, 0x0
	.amdhsa_kernel _ZL33csrmvn_symm_large_adaptive_kernelIll21rocsparse_complex_numIfES0_IdES2_S2_EvbT_PKS3_N9rocsparse24const_host_device_scalarIT4_EES5_PKT0_PKT1_PKT2_S9_PT3_21rocsparse_index_base_b
		.amdhsa_group_segment_fixed_size 16384
		.amdhsa_private_segment_fixed_size 24
		.amdhsa_kernarg_size 104
		.amdhsa_user_sgpr_count 15
		.amdhsa_user_sgpr_dispatch_ptr 0
		.amdhsa_user_sgpr_queue_ptr 0
		.amdhsa_user_sgpr_kernarg_segment_ptr 1
		.amdhsa_user_sgpr_dispatch_id 0
		.amdhsa_user_sgpr_private_segment_size 0
		.amdhsa_wavefront_size32 1
		.amdhsa_uses_dynamic_stack 0
		.amdhsa_enable_private_segment 1
		.amdhsa_system_sgpr_workgroup_id_x 1
		.amdhsa_system_sgpr_workgroup_id_y 0
		.amdhsa_system_sgpr_workgroup_id_z 0
		.amdhsa_system_sgpr_workgroup_info 0
		.amdhsa_system_vgpr_workitem_id 0
		.amdhsa_next_free_vgpr 26
		.amdhsa_next_free_sgpr 39
		.amdhsa_reserve_vcc 1
		.amdhsa_float_round_mode_32 0
		.amdhsa_float_round_mode_16_64 0
		.amdhsa_float_denorm_mode_32 3
		.amdhsa_float_denorm_mode_16_64 3
		.amdhsa_dx10_clamp 1
		.amdhsa_ieee_mode 1
		.amdhsa_fp16_overflow 0
		.amdhsa_workgroup_processor_mode 1
		.amdhsa_memory_ordered 1
		.amdhsa_forward_progress 0
		.amdhsa_shared_vgpr_count 0
		.amdhsa_exception_fp_ieee_invalid_op 0
		.amdhsa_exception_fp_denorm_src 0
		.amdhsa_exception_fp_ieee_div_zero 0
		.amdhsa_exception_fp_ieee_overflow 0
		.amdhsa_exception_fp_ieee_underflow 0
		.amdhsa_exception_fp_ieee_inexact 0
		.amdhsa_exception_int_div_zero 0
	.end_amdhsa_kernel
	.section	.text._ZL33csrmvn_symm_large_adaptive_kernelIll21rocsparse_complex_numIfES0_IdES2_S2_EvbT_PKS3_N9rocsparse24const_host_device_scalarIT4_EES5_PKT0_PKT1_PKT2_S9_PT3_21rocsparse_index_base_b,"axG",@progbits,_ZL33csrmvn_symm_large_adaptive_kernelIll21rocsparse_complex_numIfES0_IdES2_S2_EvbT_PKS3_N9rocsparse24const_host_device_scalarIT4_EES5_PKT0_PKT1_PKT2_S9_PT3_21rocsparse_index_base_b,comdat
.Lfunc_end117:
	.size	_ZL33csrmvn_symm_large_adaptive_kernelIll21rocsparse_complex_numIfES0_IdES2_S2_EvbT_PKS3_N9rocsparse24const_host_device_scalarIT4_EES5_PKT0_PKT1_PKT2_S9_PT3_21rocsparse_index_base_b, .Lfunc_end117-_ZL33csrmvn_symm_large_adaptive_kernelIll21rocsparse_complex_numIfES0_IdES2_S2_EvbT_PKS3_N9rocsparse24const_host_device_scalarIT4_EES5_PKT0_PKT1_PKT2_S9_PT3_21rocsparse_index_base_b
                                        ; -- End function
	.section	.AMDGPU.csdata,"",@progbits
; Kernel info:
; codeLenInByte = 2988
; NumSgprs: 41
; NumVgprs: 26
; ScratchSize: 24
; MemoryBound: 0
; FloatMode: 240
; IeeeMode: 1
; LDSByteSize: 16384 bytes/workgroup (compile time only)
; SGPRBlocks: 5
; VGPRBlocks: 3
; NumSGPRsForWavesPerEU: 41
; NumVGPRsForWavesPerEU: 26
; Occupancy: 16
; WaveLimiterHint : 1
; COMPUTE_PGM_RSRC2:SCRATCH_EN: 1
; COMPUTE_PGM_RSRC2:USER_SGPR: 15
; COMPUTE_PGM_RSRC2:TRAP_HANDLER: 0
; COMPUTE_PGM_RSRC2:TGID_X_EN: 1
; COMPUTE_PGM_RSRC2:TGID_Y_EN: 0
; COMPUTE_PGM_RSRC2:TGID_Z_EN: 0
; COMPUTE_PGM_RSRC2:TIDIG_COMP_CNT: 0
	.text
	.p2alignl 7, 3214868480
	.fill 96, 4, 3214868480
	.type	__hip_cuid_5fff2d97847ce302,@object ; @__hip_cuid_5fff2d97847ce302
	.section	.bss,"aw",@nobits
	.globl	__hip_cuid_5fff2d97847ce302
__hip_cuid_5fff2d97847ce302:
	.byte	0                               ; 0x0
	.size	__hip_cuid_5fff2d97847ce302, 1

	.ident	"AMD clang version 19.0.0git (https://github.com/RadeonOpenCompute/llvm-project roc-6.4.0 25133 c7fe45cf4b819c5991fe208aaa96edf142730f1d)"
	.section	".note.GNU-stack","",@progbits
	.addrsig
	.addrsig_sym _ZN9rocsparse12cols_in_rowsE
	.addrsig_sym __hip_cuid_5fff2d97847ce302
	.amdgpu_metadata
---
amdhsa.kernels:
  - .args:
      - .offset:         0
        .size:           1
        .value_kind:     by_value
      - .offset:         4
        .size:           4
        .value_kind:     by_value
      - .actual_access:  read_only
        .address_space:  global
        .offset:         8
        .size:           8
        .value_kind:     global_buffer
      - .address_space:  global
        .offset:         16
        .size:           8
        .value_kind:     global_buffer
      - .actual_access:  read_only
        .address_space:  global
        .offset:         24
        .size:           8
        .value_kind:     global_buffer
      - .offset:         32
        .size:           8
        .value_kind:     by_value
      - .actual_access:  read_only
        .address_space:  global
        .offset:         40
        .size:           8
        .value_kind:     global_buffer
      - .actual_access:  read_only
        .address_space:  global
        .offset:         48
        .size:           8
        .value_kind:     global_buffer
      - .actual_access:  read_only
        .address_space:  global
        .offset:         56
        .size:           8
        .value_kind:     global_buffer
      - .actual_access:  read_only
        .address_space:  global
        .offset:         64
        .size:           8
        .value_kind:     global_buffer
      - .offset:         72
        .size:           8
        .value_kind:     by_value
      - .address_space:  global
        .offset:         80
        .size:           8
        .value_kind:     global_buffer
      - .offset:         88
        .size:           4
        .value_kind:     by_value
      - .offset:         92
        .size:           1
        .value_kind:     by_value
    .group_segment_fixed_size: 4096
    .kernarg_segment_align: 8
    .kernarg_segment_size: 96
    .language:       OpenCL C
    .language_version:
      - 2
      - 0
    .max_flat_workgroup_size: 256
    .name:           _ZN9rocsparseL22csrmvn_adaptive_kernelIiiffffEEvbT_PKS1_PjPKT0_NS_24const_host_device_scalarIT4_EES3_S7_PKT1_PKT2_SA_PT3_21rocsparse_index_base_b
    .private_segment_fixed_size: 0
    .sgpr_count:     48
    .sgpr_spill_count: 0
    .symbol:         _ZN9rocsparseL22csrmvn_adaptive_kernelIiiffffEEvbT_PKS1_PjPKT0_NS_24const_host_device_scalarIT4_EES3_S7_PKT1_PKT2_SA_PT3_21rocsparse_index_base_b.kd
    .uniform_work_group_size: 1
    .uses_dynamic_stack: false
    .vgpr_count:     16
    .vgpr_spill_count: 0
    .wavefront_size: 32
    .workgroup_processor_mode: 1
  - .args:
      - .offset:         0
        .size:           4
        .value_kind:     by_value
      - .offset:         4
        .size:           4
        .value_kind:     by_value
      - .offset:         8
        .size:           4
        .value_kind:     by_value
      - .offset:         16
        .size:           8
        .value_kind:     by_value
      - .address_space:  global
        .offset:         24
        .size:           8
        .value_kind:     global_buffer
      - .offset:         32
        .size:           1
        .value_kind:     by_value
    .group_segment_fixed_size: 0
    .kernarg_segment_align: 8
    .kernarg_segment_size: 36
    .language:       OpenCL C
    .language_version:
      - 2
      - 0
    .max_flat_workgroup_size: 256
    .name:           _ZN9rocsparseL22partial_scale_y_kernelIiffEEvT_S1_S1_NS_24const_host_device_scalarIT1_EEPT0_b
    .private_segment_fixed_size: 0
    .sgpr_count:     18
    .sgpr_spill_count: 0
    .symbol:         _ZN9rocsparseL22partial_scale_y_kernelIiffEEvT_S1_S1_NS_24const_host_device_scalarIT1_EEPT0_b.kd
    .uniform_work_group_size: 1
    .uses_dynamic_stack: false
    .vgpr_count:     3
    .vgpr_spill_count: 0
    .wavefront_size: 32
    .workgroup_processor_mode: 1
  - .args:
      - .offset:         0
        .size:           1
        .value_kind:     by_value
      - .offset:         4
        .size:           4
        .value_kind:     by_value
      - .offset:         8
        .size:           4
        .value_kind:     by_value
      - .actual_access:  read_only
        .address_space:  global
        .offset:         16
        .size:           8
        .value_kind:     global_buffer
      - .offset:         24
        .size:           8
        .value_kind:     by_value
      - .actual_access:  read_only
        .address_space:  global
        .offset:         32
        .size:           8
        .value_kind:     global_buffer
      - .actual_access:  read_only
        .address_space:  global
        .offset:         40
        .size:           8
        .value_kind:     global_buffer
      - .actual_access:  read_only
        .address_space:  global
        .offset:         48
        .size:           8
        .value_kind:     global_buffer
      - .actual_access:  read_only
        .address_space:  global
        .offset:         56
        .size:           8
        .value_kind:     global_buffer
      - .offset:         64
        .size:           8
        .value_kind:     by_value
      - .address_space:  global
        .offset:         72
        .size:           8
        .value_kind:     global_buffer
      - .offset:         80
        .size:           4
        .value_kind:     by_value
      - .offset:         84
        .size:           1
        .value_kind:     by_value
      - .offset:         88
        .size:           4
        .value_kind:     hidden_block_count_x
      - .offset:         92
        .size:           4
        .value_kind:     hidden_block_count_y
      - .offset:         96
        .size:           4
        .value_kind:     hidden_block_count_z
      - .offset:         100
        .size:           2
        .value_kind:     hidden_group_size_x
      - .offset:         102
        .size:           2
        .value_kind:     hidden_group_size_y
      - .offset:         104
        .size:           2
        .value_kind:     hidden_group_size_z
      - .offset:         106
        .size:           2
        .value_kind:     hidden_remainder_x
      - .offset:         108
        .size:           2
        .value_kind:     hidden_remainder_y
      - .offset:         110
        .size:           2
        .value_kind:     hidden_remainder_z
      - .offset:         128
        .size:           8
        .value_kind:     hidden_global_offset_x
      - .offset:         136
        .size:           8
        .value_kind:     hidden_global_offset_y
      - .offset:         144
        .size:           8
        .value_kind:     hidden_global_offset_z
      - .offset:         152
        .size:           2
        .value_kind:     hidden_grid_dims
      - .offset:         208
        .size:           4
        .value_kind:     hidden_dynamic_lds_size
    .group_segment_fixed_size: 4096
    .kernarg_segment_align: 8
    .kernarg_segment_size: 344
    .language:       OpenCL C
    .language_version:
      - 2
      - 0
    .max_flat_workgroup_size: 256
    .name:           _ZN9rocsparseL27csrmvn_symm_adaptive_kernelIiiffffEEvbT_S1_PKS1_NS_24const_host_device_scalarIT4_EES3_PKT0_PKT1_PKT2_S6_PT3_21rocsparse_index_base_b
    .private_segment_fixed_size: 0
    .sgpr_count:     36
    .sgpr_spill_count: 0
    .symbol:         _ZN9rocsparseL27csrmvn_symm_adaptive_kernelIiiffffEEvbT_S1_PKS1_NS_24const_host_device_scalarIT4_EES3_PKT0_PKT1_PKT2_S6_PT3_21rocsparse_index_base_b.kd
    .uniform_work_group_size: 1
    .uses_dynamic_stack: false
    .vgpr_count:     18
    .vgpr_spill_count: 0
    .wavefront_size: 32
    .workgroup_processor_mode: 1
  - .args:
      - .offset:         0
        .size:           1
        .value_kind:     by_value
      - .offset:         4
        .size:           4
        .value_kind:     by_value
      - .actual_access:  read_only
        .address_space:  global
        .offset:         8
        .size:           8
        .value_kind:     global_buffer
      - .offset:         16
        .size:           8
        .value_kind:     by_value
      - .actual_access:  read_only
        .address_space:  global
        .offset:         24
        .size:           8
        .value_kind:     global_buffer
      - .actual_access:  read_only
        .address_space:  global
        .offset:         32
        .size:           8
        .value_kind:     global_buffer
      - .actual_access:  read_only
        .address_space:  global
        .offset:         40
        .size:           8
        .value_kind:     global_buffer
      - .actual_access:  read_only
        .address_space:  global
        .offset:         48
        .size:           8
        .value_kind:     global_buffer
      - .offset:         56
        .size:           8
        .value_kind:     by_value
      - .address_space:  global
        .offset:         64
        .size:           8
        .value_kind:     global_buffer
      - .offset:         72
        .size:           4
        .value_kind:     by_value
      - .offset:         76
        .size:           1
        .value_kind:     by_value
    .group_segment_fixed_size: 4096
    .kernarg_segment_align: 8
    .kernarg_segment_size: 80
    .language:       OpenCL C
    .language_version:
      - 2
      - 0
    .max_flat_workgroup_size: 256
    .name:           _ZL33csrmvn_symm_large_adaptive_kernelIiiffffEvbT_PKS0_N9rocsparse24const_host_device_scalarIT4_EES2_PKT0_PKT1_PKT2_S6_PT3_21rocsparse_index_base_b
    .private_segment_fixed_size: 0
    .sgpr_count:     32
    .sgpr_spill_count: 0
    .symbol:         _ZL33csrmvn_symm_large_adaptive_kernelIiiffffEvbT_PKS0_N9rocsparse24const_host_device_scalarIT4_EES2_PKT0_PKT1_PKT2_S6_PT3_21rocsparse_index_base_b.kd
    .uniform_work_group_size: 1
    .uses_dynamic_stack: false
    .vgpr_count:     12
    .vgpr_spill_count: 0
    .wavefront_size: 32
    .workgroup_processor_mode: 1
  - .args:
      - .offset:         0
        .size:           1
        .value_kind:     by_value
      - .offset:         8
        .size:           8
        .value_kind:     by_value
      - .actual_access:  read_only
        .address_space:  global
        .offset:         16
        .size:           8
        .value_kind:     global_buffer
      - .address_space:  global
        .offset:         24
        .size:           8
        .value_kind:     global_buffer
      - .actual_access:  read_only
        .address_space:  global
        .offset:         32
        .size:           8
        .value_kind:     global_buffer
      - .offset:         40
        .size:           8
        .value_kind:     by_value
      - .actual_access:  read_only
        .address_space:  global
        .offset:         48
        .size:           8
        .value_kind:     global_buffer
      - .actual_access:  read_only
        .address_space:  global
        .offset:         56
        .size:           8
        .value_kind:     global_buffer
      - .actual_access:  read_only
        .address_space:  global
        .offset:         64
        .size:           8
        .value_kind:     global_buffer
      - .actual_access:  read_only
        .address_space:  global
        .offset:         72
        .size:           8
        .value_kind:     global_buffer
      - .offset:         80
        .size:           8
        .value_kind:     by_value
      - .address_space:  global
        .offset:         88
        .size:           8
        .value_kind:     global_buffer
      - .offset:         96
        .size:           4
        .value_kind:     by_value
      - .offset:         100
        .size:           1
        .value_kind:     by_value
    .group_segment_fixed_size: 4096
    .kernarg_segment_align: 8
    .kernarg_segment_size: 104
    .language:       OpenCL C
    .language_version:
      - 2
      - 0
    .max_flat_workgroup_size: 256
    .name:           _ZN9rocsparseL22csrmvn_adaptive_kernelIliffffEEvbT_PKS1_PjPKT0_NS_24const_host_device_scalarIT4_EES3_S7_PKT1_PKT2_SA_PT3_21rocsparse_index_base_b
    .private_segment_fixed_size: 0
    .sgpr_count:     52
    .sgpr_spill_count: 0
    .symbol:         _ZN9rocsparseL22csrmvn_adaptive_kernelIliffffEEvbT_PKS1_PjPKT0_NS_24const_host_device_scalarIT4_EES3_S7_PKT1_PKT2_SA_PT3_21rocsparse_index_base_b.kd
    .uniform_work_group_size: 1
    .uses_dynamic_stack: false
    .vgpr_count:     16
    .vgpr_spill_count: 0
    .wavefront_size: 32
    .workgroup_processor_mode: 1
  - .args:
      - .offset:         0
        .size:           1
        .value_kind:     by_value
      - .offset:         8
        .size:           8
        .value_kind:     by_value
      - .offset:         16
        .size:           8
        .value_kind:     by_value
      - .actual_access:  read_only
        .address_space:  global
        .offset:         24
        .size:           8
        .value_kind:     global_buffer
      - .offset:         32
        .size:           8
        .value_kind:     by_value
      - .actual_access:  read_only
        .address_space:  global
        .offset:         40
        .size:           8
        .value_kind:     global_buffer
      - .actual_access:  read_only
        .address_space:  global
        .offset:         48
        .size:           8
        .value_kind:     global_buffer
      - .actual_access:  read_only
        .address_space:  global
        .offset:         56
        .size:           8
        .value_kind:     global_buffer
      - .actual_access:  read_only
        .address_space:  global
        .offset:         64
        .size:           8
        .value_kind:     global_buffer
      - .offset:         72
        .size:           8
        .value_kind:     by_value
      - .address_space:  global
        .offset:         80
        .size:           8
        .value_kind:     global_buffer
      - .offset:         88
        .size:           4
        .value_kind:     by_value
      - .offset:         92
        .size:           1
        .value_kind:     by_value
      - .offset:         96
        .size:           4
        .value_kind:     hidden_block_count_x
      - .offset:         100
        .size:           4
        .value_kind:     hidden_block_count_y
      - .offset:         104
        .size:           4
        .value_kind:     hidden_block_count_z
      - .offset:         108
        .size:           2
        .value_kind:     hidden_group_size_x
      - .offset:         110
        .size:           2
        .value_kind:     hidden_group_size_y
      - .offset:         112
        .size:           2
        .value_kind:     hidden_group_size_z
      - .offset:         114
        .size:           2
        .value_kind:     hidden_remainder_x
      - .offset:         116
        .size:           2
        .value_kind:     hidden_remainder_y
      - .offset:         118
        .size:           2
        .value_kind:     hidden_remainder_z
      - .offset:         136
        .size:           8
        .value_kind:     hidden_global_offset_x
      - .offset:         144
        .size:           8
        .value_kind:     hidden_global_offset_y
      - .offset:         152
        .size:           8
        .value_kind:     hidden_global_offset_z
      - .offset:         160
        .size:           2
        .value_kind:     hidden_grid_dims
      - .offset:         216
        .size:           4
        .value_kind:     hidden_dynamic_lds_size
    .group_segment_fixed_size: 4096
    .kernarg_segment_align: 8
    .kernarg_segment_size: 352
    .language:       OpenCL C
    .language_version:
      - 2
      - 0
    .max_flat_workgroup_size: 256
    .name:           _ZN9rocsparseL27csrmvn_symm_adaptive_kernelIliffffEEvbT_S1_PKS1_NS_24const_host_device_scalarIT4_EES3_PKT0_PKT1_PKT2_S6_PT3_21rocsparse_index_base_b
    .private_segment_fixed_size: 0
    .sgpr_count:     43
    .sgpr_spill_count: 0
    .symbol:         _ZN9rocsparseL27csrmvn_symm_adaptive_kernelIliffffEEvbT_S1_PKS1_NS_24const_host_device_scalarIT4_EES3_PKT0_PKT1_PKT2_S6_PT3_21rocsparse_index_base_b.kd
    .uniform_work_group_size: 1
    .uses_dynamic_stack: false
    .vgpr_count:     24
    .vgpr_spill_count: 0
    .wavefront_size: 32
    .workgroup_processor_mode: 1
  - .args:
      - .offset:         0
        .size:           1
        .value_kind:     by_value
      - .offset:         8
        .size:           8
        .value_kind:     by_value
      - .actual_access:  read_only
        .address_space:  global
        .offset:         16
        .size:           8
        .value_kind:     global_buffer
      - .offset:         24
        .size:           8
        .value_kind:     by_value
      - .actual_access:  read_only
        .address_space:  global
        .offset:         32
        .size:           8
        .value_kind:     global_buffer
      - .actual_access:  read_only
        .address_space:  global
        .offset:         40
        .size:           8
        .value_kind:     global_buffer
      - .actual_access:  read_only
        .address_space:  global
        .offset:         48
        .size:           8
        .value_kind:     global_buffer
      - .actual_access:  read_only
        .address_space:  global
        .offset:         56
        .size:           8
        .value_kind:     global_buffer
      - .offset:         64
        .size:           8
        .value_kind:     by_value
      - .address_space:  global
        .offset:         72
        .size:           8
        .value_kind:     global_buffer
      - .offset:         80
        .size:           4
        .value_kind:     by_value
      - .offset:         84
        .size:           1
        .value_kind:     by_value
    .group_segment_fixed_size: 4096
    .kernarg_segment_align: 8
    .kernarg_segment_size: 88
    .language:       OpenCL C
    .language_version:
      - 2
      - 0
    .max_flat_workgroup_size: 256
    .name:           _ZL33csrmvn_symm_large_adaptive_kernelIliffffEvbT_PKS0_N9rocsparse24const_host_device_scalarIT4_EES2_PKT0_PKT1_PKT2_S6_PT3_21rocsparse_index_base_b
    .private_segment_fixed_size: 0
    .sgpr_count:     38
    .sgpr_spill_count: 0
    .symbol:         _ZL33csrmvn_symm_large_adaptive_kernelIliffffEvbT_PKS0_N9rocsparse24const_host_device_scalarIT4_EES2_PKT0_PKT1_PKT2_S6_PT3_21rocsparse_index_base_b.kd
    .uniform_work_group_size: 1
    .uses_dynamic_stack: false
    .vgpr_count:     14
    .vgpr_spill_count: 0
    .wavefront_size: 32
    .workgroup_processor_mode: 1
  - .args:
      - .offset:         0
        .size:           1
        .value_kind:     by_value
      - .offset:         8
        .size:           8
        .value_kind:     by_value
      - .actual_access:  read_only
        .address_space:  global
        .offset:         16
        .size:           8
        .value_kind:     global_buffer
      - .address_space:  global
        .offset:         24
        .size:           8
        .value_kind:     global_buffer
      - .actual_access:  read_only
        .address_space:  global
        .offset:         32
        .size:           8
        .value_kind:     global_buffer
      - .offset:         40
        .size:           8
        .value_kind:     by_value
      - .actual_access:  read_only
        .address_space:  global
        .offset:         48
        .size:           8
        .value_kind:     global_buffer
      - .actual_access:  read_only
        .address_space:  global
        .offset:         56
        .size:           8
        .value_kind:     global_buffer
      - .actual_access:  read_only
        .address_space:  global
        .offset:         64
        .size:           8
        .value_kind:     global_buffer
      - .actual_access:  read_only
        .address_space:  global
        .offset:         72
        .size:           8
        .value_kind:     global_buffer
      - .offset:         80
        .size:           8
        .value_kind:     by_value
      - .address_space:  global
        .offset:         88
        .size:           8
        .value_kind:     global_buffer
      - .offset:         96
        .size:           4
        .value_kind:     by_value
      - .offset:         100
        .size:           1
        .value_kind:     by_value
    .group_segment_fixed_size: 4096
    .kernarg_segment_align: 8
    .kernarg_segment_size: 104
    .language:       OpenCL C
    .language_version:
      - 2
      - 0
    .max_flat_workgroup_size: 256
    .name:           _ZN9rocsparseL22csrmvn_adaptive_kernelIllffffEEvbT_PKS1_PjPKT0_NS_24const_host_device_scalarIT4_EES3_S7_PKT1_PKT2_SA_PT3_21rocsparse_index_base_b
    .private_segment_fixed_size: 0
    .sgpr_count:     52
    .sgpr_spill_count: 0
    .symbol:         _ZN9rocsparseL22csrmvn_adaptive_kernelIllffffEEvbT_PKS1_PjPKT0_NS_24const_host_device_scalarIT4_EES3_S7_PKT1_PKT2_SA_PT3_21rocsparse_index_base_b.kd
    .uniform_work_group_size: 1
    .uses_dynamic_stack: false
    .vgpr_count:     16
    .vgpr_spill_count: 0
    .wavefront_size: 32
    .workgroup_processor_mode: 1
  - .args:
      - .offset:         0
        .size:           8
        .value_kind:     by_value
      - .offset:         8
        .size:           8
        .value_kind:     by_value
      - .offset:         16
        .size:           8
        .value_kind:     by_value
      - .offset:         24
        .size:           8
        .value_kind:     by_value
      - .address_space:  global
        .offset:         32
        .size:           8
        .value_kind:     global_buffer
      - .offset:         40
        .size:           1
        .value_kind:     by_value
    .group_segment_fixed_size: 0
    .kernarg_segment_align: 8
    .kernarg_segment_size: 44
    .language:       OpenCL C
    .language_version:
      - 2
      - 0
    .max_flat_workgroup_size: 256
    .name:           _ZN9rocsparseL22partial_scale_y_kernelIlffEEvT_S1_S1_NS_24const_host_device_scalarIT1_EEPT0_b
    .private_segment_fixed_size: 0
    .sgpr_count:     18
    .sgpr_spill_count: 0
    .symbol:         _ZN9rocsparseL22partial_scale_y_kernelIlffEEvT_S1_S1_NS_24const_host_device_scalarIT1_EEPT0_b.kd
    .uniform_work_group_size: 1
    .uses_dynamic_stack: false
    .vgpr_count:     4
    .vgpr_spill_count: 0
    .wavefront_size: 32
    .workgroup_processor_mode: 1
  - .args:
      - .offset:         0
        .size:           1
        .value_kind:     by_value
      - .offset:         8
        .size:           8
        .value_kind:     by_value
      - .offset:         16
        .size:           8
        .value_kind:     by_value
      - .actual_access:  read_only
        .address_space:  global
        .offset:         24
        .size:           8
        .value_kind:     global_buffer
      - .offset:         32
        .size:           8
        .value_kind:     by_value
      - .actual_access:  read_only
        .address_space:  global
        .offset:         40
        .size:           8
        .value_kind:     global_buffer
      - .actual_access:  read_only
        .address_space:  global
        .offset:         48
        .size:           8
        .value_kind:     global_buffer
      - .actual_access:  read_only
        .address_space:  global
        .offset:         56
        .size:           8
        .value_kind:     global_buffer
      - .actual_access:  read_only
        .address_space:  global
        .offset:         64
        .size:           8
        .value_kind:     global_buffer
      - .offset:         72
        .size:           8
        .value_kind:     by_value
      - .address_space:  global
        .offset:         80
        .size:           8
        .value_kind:     global_buffer
      - .offset:         88
        .size:           4
        .value_kind:     by_value
      - .offset:         92
        .size:           1
        .value_kind:     by_value
      - .offset:         96
        .size:           4
        .value_kind:     hidden_block_count_x
      - .offset:         100
        .size:           4
        .value_kind:     hidden_block_count_y
      - .offset:         104
        .size:           4
        .value_kind:     hidden_block_count_z
      - .offset:         108
        .size:           2
        .value_kind:     hidden_group_size_x
      - .offset:         110
        .size:           2
        .value_kind:     hidden_group_size_y
      - .offset:         112
        .size:           2
        .value_kind:     hidden_group_size_z
      - .offset:         114
        .size:           2
        .value_kind:     hidden_remainder_x
      - .offset:         116
        .size:           2
        .value_kind:     hidden_remainder_y
      - .offset:         118
        .size:           2
        .value_kind:     hidden_remainder_z
      - .offset:         136
        .size:           8
        .value_kind:     hidden_global_offset_x
      - .offset:         144
        .size:           8
        .value_kind:     hidden_global_offset_y
      - .offset:         152
        .size:           8
        .value_kind:     hidden_global_offset_z
      - .offset:         160
        .size:           2
        .value_kind:     hidden_grid_dims
      - .offset:         216
        .size:           4
        .value_kind:     hidden_dynamic_lds_size
    .group_segment_fixed_size: 4096
    .kernarg_segment_align: 8
    .kernarg_segment_size: 352
    .language:       OpenCL C
    .language_version:
      - 2
      - 0
    .max_flat_workgroup_size: 256
    .name:           _ZN9rocsparseL27csrmvn_symm_adaptive_kernelIllffffEEvbT_S1_PKS1_NS_24const_host_device_scalarIT4_EES3_PKT0_PKT1_PKT2_S6_PT3_21rocsparse_index_base_b
    .private_segment_fixed_size: 0
    .sgpr_count:     43
    .sgpr_spill_count: 0
    .symbol:         _ZN9rocsparseL27csrmvn_symm_adaptive_kernelIllffffEEvbT_S1_PKS1_NS_24const_host_device_scalarIT4_EES3_PKT0_PKT1_PKT2_S6_PT3_21rocsparse_index_base_b.kd
    .uniform_work_group_size: 1
    .uses_dynamic_stack: false
    .vgpr_count:     24
    .vgpr_spill_count: 0
    .wavefront_size: 32
    .workgroup_processor_mode: 1
  - .args:
      - .offset:         0
        .size:           1
        .value_kind:     by_value
      - .offset:         8
        .size:           8
        .value_kind:     by_value
      - .actual_access:  read_only
        .address_space:  global
        .offset:         16
        .size:           8
        .value_kind:     global_buffer
      - .offset:         24
        .size:           8
        .value_kind:     by_value
      - .actual_access:  read_only
        .address_space:  global
        .offset:         32
        .size:           8
        .value_kind:     global_buffer
      - .actual_access:  read_only
        .address_space:  global
        .offset:         40
        .size:           8
        .value_kind:     global_buffer
      - .actual_access:  read_only
        .address_space:  global
        .offset:         48
        .size:           8
        .value_kind:     global_buffer
      - .actual_access:  read_only
        .address_space:  global
        .offset:         56
        .size:           8
        .value_kind:     global_buffer
      - .offset:         64
        .size:           8
        .value_kind:     by_value
      - .address_space:  global
        .offset:         72
        .size:           8
        .value_kind:     global_buffer
      - .offset:         80
        .size:           4
        .value_kind:     by_value
      - .offset:         84
        .size:           1
        .value_kind:     by_value
    .group_segment_fixed_size: 4096
    .kernarg_segment_align: 8
    .kernarg_segment_size: 88
    .language:       OpenCL C
    .language_version:
      - 2
      - 0
    .max_flat_workgroup_size: 256
    .name:           _ZL33csrmvn_symm_large_adaptive_kernelIllffffEvbT_PKS0_N9rocsparse24const_host_device_scalarIT4_EES2_PKT0_PKT1_PKT2_S6_PT3_21rocsparse_index_base_b
    .private_segment_fixed_size: 0
    .sgpr_count:     38
    .sgpr_spill_count: 0
    .symbol:         _ZL33csrmvn_symm_large_adaptive_kernelIllffffEvbT_PKS0_N9rocsparse24const_host_device_scalarIT4_EES2_PKT0_PKT1_PKT2_S6_PT3_21rocsparse_index_base_b.kd
    .uniform_work_group_size: 1
    .uses_dynamic_stack: false
    .vgpr_count:     14
    .vgpr_spill_count: 0
    .wavefront_size: 32
    .workgroup_processor_mode: 1
  - .args:
      - .offset:         0
        .size:           1
        .value_kind:     by_value
      - .offset:         4
        .size:           4
        .value_kind:     by_value
      - .actual_access:  read_only
        .address_space:  global
        .offset:         8
        .size:           8
        .value_kind:     global_buffer
      - .address_space:  global
        .offset:         16
        .size:           8
        .value_kind:     global_buffer
      - .actual_access:  read_only
        .address_space:  global
        .offset:         24
        .size:           8
        .value_kind:     global_buffer
      - .offset:         32
        .size:           8
        .value_kind:     by_value
      - .actual_access:  read_only
        .address_space:  global
        .offset:         40
        .size:           8
        .value_kind:     global_buffer
      - .actual_access:  read_only
        .address_space:  global
        .offset:         48
        .size:           8
        .value_kind:     global_buffer
      - .actual_access:  read_only
        .address_space:  global
        .offset:         56
        .size:           8
        .value_kind:     global_buffer
      - .actual_access:  read_only
        .address_space:  global
        .offset:         64
        .size:           8
        .value_kind:     global_buffer
      - .offset:         72
        .size:           8
        .value_kind:     by_value
      - .address_space:  global
        .offset:         80
        .size:           8
        .value_kind:     global_buffer
      - .offset:         88
        .size:           4
        .value_kind:     by_value
      - .offset:         92
        .size:           1
        .value_kind:     by_value
    .group_segment_fixed_size: 8192
    .kernarg_segment_align: 8
    .kernarg_segment_size: 96
    .language:       OpenCL C
    .language_version:
      - 2
      - 0
    .max_flat_workgroup_size: 256
    .name:           _ZN9rocsparseL22csrmvn_adaptive_kernelIiiddddEEvbT_PKS1_PjPKT0_NS_24const_host_device_scalarIT4_EES3_S7_PKT1_PKT2_SA_PT3_21rocsparse_index_base_b
    .private_segment_fixed_size: 0
    .sgpr_count:     45
    .sgpr_spill_count: 0
    .symbol:         _ZN9rocsparseL22csrmvn_adaptive_kernelIiiddddEEvbT_PKS1_PjPKT0_NS_24const_host_device_scalarIT4_EES3_S7_PKT1_PKT2_SA_PT3_21rocsparse_index_base_b.kd
    .uniform_work_group_size: 1
    .uses_dynamic_stack: false
    .vgpr_count:     22
    .vgpr_spill_count: 0
    .wavefront_size: 32
    .workgroup_processor_mode: 1
  - .args:
      - .offset:         0
        .size:           4
        .value_kind:     by_value
      - .offset:         4
        .size:           4
        .value_kind:     by_value
      - .offset:         8
        .size:           4
        .value_kind:     by_value
      - .offset:         16
        .size:           8
        .value_kind:     by_value
      - .address_space:  global
        .offset:         24
        .size:           8
        .value_kind:     global_buffer
      - .offset:         32
        .size:           1
        .value_kind:     by_value
    .group_segment_fixed_size: 0
    .kernarg_segment_align: 8
    .kernarg_segment_size: 36
    .language:       OpenCL C
    .language_version:
      - 2
      - 0
    .max_flat_workgroup_size: 256
    .name:           _ZN9rocsparseL22partial_scale_y_kernelIiddEEvT_S1_S1_NS_24const_host_device_scalarIT1_EEPT0_b
    .private_segment_fixed_size: 0
    .sgpr_count:     18
    .sgpr_spill_count: 0
    .symbol:         _ZN9rocsparseL22partial_scale_y_kernelIiddEEvT_S1_S1_NS_24const_host_device_scalarIT1_EEPT0_b.kd
    .uniform_work_group_size: 1
    .uses_dynamic_stack: false
    .vgpr_count:     7
    .vgpr_spill_count: 0
    .wavefront_size: 32
    .workgroup_processor_mode: 1
  - .args:
      - .offset:         0
        .size:           1
        .value_kind:     by_value
      - .offset:         4
        .size:           4
        .value_kind:     by_value
      - .offset:         8
        .size:           4
        .value_kind:     by_value
      - .actual_access:  read_only
        .address_space:  global
        .offset:         16
        .size:           8
        .value_kind:     global_buffer
      - .offset:         24
        .size:           8
        .value_kind:     by_value
      - .actual_access:  read_only
        .address_space:  global
        .offset:         32
        .size:           8
        .value_kind:     global_buffer
      - .actual_access:  read_only
        .address_space:  global
        .offset:         40
        .size:           8
        .value_kind:     global_buffer
      - .actual_access:  read_only
        .address_space:  global
        .offset:         48
        .size:           8
        .value_kind:     global_buffer
      - .actual_access:  read_only
        .address_space:  global
        .offset:         56
        .size:           8
        .value_kind:     global_buffer
      - .offset:         64
        .size:           8
        .value_kind:     by_value
      - .address_space:  global
        .offset:         72
        .size:           8
        .value_kind:     global_buffer
      - .offset:         80
        .size:           4
        .value_kind:     by_value
      - .offset:         84
        .size:           1
        .value_kind:     by_value
      - .offset:         88
        .size:           4
        .value_kind:     hidden_block_count_x
      - .offset:         92
        .size:           4
        .value_kind:     hidden_block_count_y
      - .offset:         96
        .size:           4
        .value_kind:     hidden_block_count_z
      - .offset:         100
        .size:           2
        .value_kind:     hidden_group_size_x
      - .offset:         102
        .size:           2
        .value_kind:     hidden_group_size_y
      - .offset:         104
        .size:           2
        .value_kind:     hidden_group_size_z
      - .offset:         106
        .size:           2
        .value_kind:     hidden_remainder_x
      - .offset:         108
        .size:           2
        .value_kind:     hidden_remainder_y
      - .offset:         110
        .size:           2
        .value_kind:     hidden_remainder_z
      - .offset:         128
        .size:           8
        .value_kind:     hidden_global_offset_x
      - .offset:         136
        .size:           8
        .value_kind:     hidden_global_offset_y
      - .offset:         144
        .size:           8
        .value_kind:     hidden_global_offset_z
      - .offset:         152
        .size:           2
        .value_kind:     hidden_grid_dims
      - .offset:         208
        .size:           4
        .value_kind:     hidden_dynamic_lds_size
    .group_segment_fixed_size: 8192
    .kernarg_segment_align: 8
    .kernarg_segment_size: 344
    .language:       OpenCL C
    .language_version:
      - 2
      - 0
    .max_flat_workgroup_size: 256
    .name:           _ZN9rocsparseL27csrmvn_symm_adaptive_kernelIiiddddEEvbT_S1_PKS1_NS_24const_host_device_scalarIT4_EES3_PKT0_PKT1_PKT2_S6_PT3_21rocsparse_index_base_b
    .private_segment_fixed_size: 0
    .sgpr_count:     33
    .sgpr_spill_count: 0
    .symbol:         _ZN9rocsparseL27csrmvn_symm_adaptive_kernelIiiddddEEvbT_S1_PKS1_NS_24const_host_device_scalarIT4_EES3_PKT0_PKT1_PKT2_S6_PT3_21rocsparse_index_base_b.kd
    .uniform_work_group_size: 1
    .uses_dynamic_stack: false
    .vgpr_count:     22
    .vgpr_spill_count: 0
    .wavefront_size: 32
    .workgroup_processor_mode: 1
  - .args:
      - .offset:         0
        .size:           1
        .value_kind:     by_value
      - .offset:         4
        .size:           4
        .value_kind:     by_value
      - .actual_access:  read_only
        .address_space:  global
        .offset:         8
        .size:           8
        .value_kind:     global_buffer
      - .offset:         16
        .size:           8
        .value_kind:     by_value
      - .actual_access:  read_only
        .address_space:  global
        .offset:         24
        .size:           8
        .value_kind:     global_buffer
      - .actual_access:  read_only
        .address_space:  global
        .offset:         32
        .size:           8
        .value_kind:     global_buffer
      - .actual_access:  read_only
        .address_space:  global
        .offset:         40
        .size:           8
        .value_kind:     global_buffer
      - .actual_access:  read_only
        .address_space:  global
        .offset:         48
        .size:           8
        .value_kind:     global_buffer
      - .offset:         56
        .size:           8
        .value_kind:     by_value
      - .address_space:  global
        .offset:         64
        .size:           8
        .value_kind:     global_buffer
      - .offset:         72
        .size:           4
        .value_kind:     by_value
      - .offset:         76
        .size:           1
        .value_kind:     by_value
    .group_segment_fixed_size: 8192
    .kernarg_segment_align: 8
    .kernarg_segment_size: 80
    .language:       OpenCL C
    .language_version:
      - 2
      - 0
    .max_flat_workgroup_size: 256
    .name:           _ZL33csrmvn_symm_large_adaptive_kernelIiiddddEvbT_PKS0_N9rocsparse24const_host_device_scalarIT4_EES2_PKT0_PKT1_PKT2_S6_PT3_21rocsparse_index_base_b
    .private_segment_fixed_size: 0
    .sgpr_count:     30
    .sgpr_spill_count: 0
    .symbol:         _ZL33csrmvn_symm_large_adaptive_kernelIiiddddEvbT_PKS0_N9rocsparse24const_host_device_scalarIT4_EES2_PKT0_PKT1_PKT2_S6_PT3_21rocsparse_index_base_b.kd
    .uniform_work_group_size: 1
    .uses_dynamic_stack: false
    .vgpr_count:     17
    .vgpr_spill_count: 0
    .wavefront_size: 32
    .workgroup_processor_mode: 1
  - .args:
      - .offset:         0
        .size:           1
        .value_kind:     by_value
      - .offset:         8
        .size:           8
        .value_kind:     by_value
      - .actual_access:  read_only
        .address_space:  global
        .offset:         16
        .size:           8
        .value_kind:     global_buffer
      - .address_space:  global
        .offset:         24
        .size:           8
        .value_kind:     global_buffer
      - .actual_access:  read_only
        .address_space:  global
        .offset:         32
        .size:           8
        .value_kind:     global_buffer
      - .offset:         40
        .size:           8
        .value_kind:     by_value
      - .actual_access:  read_only
        .address_space:  global
        .offset:         48
        .size:           8
        .value_kind:     global_buffer
      - .actual_access:  read_only
        .address_space:  global
        .offset:         56
        .size:           8
        .value_kind:     global_buffer
      - .actual_access:  read_only
        .address_space:  global
        .offset:         64
        .size:           8
        .value_kind:     global_buffer
      - .actual_access:  read_only
        .address_space:  global
        .offset:         72
        .size:           8
        .value_kind:     global_buffer
      - .offset:         80
        .size:           8
        .value_kind:     by_value
      - .address_space:  global
        .offset:         88
        .size:           8
        .value_kind:     global_buffer
      - .offset:         96
        .size:           4
        .value_kind:     by_value
      - .offset:         100
        .size:           1
        .value_kind:     by_value
    .group_segment_fixed_size: 8192
    .kernarg_segment_align: 8
    .kernarg_segment_size: 104
    .language:       OpenCL C
    .language_version:
      - 2
      - 0
    .max_flat_workgroup_size: 256
    .name:           _ZN9rocsparseL22csrmvn_adaptive_kernelIliddddEEvbT_PKS1_PjPKT0_NS_24const_host_device_scalarIT4_EES3_S7_PKT1_PKT2_SA_PT3_21rocsparse_index_base_b
    .private_segment_fixed_size: 0
    .sgpr_count:     52
    .sgpr_spill_count: 0
    .symbol:         _ZN9rocsparseL22csrmvn_adaptive_kernelIliddddEEvbT_PKS1_PjPKT0_NS_24const_host_device_scalarIT4_EES3_S7_PKT1_PKT2_SA_PT3_21rocsparse_index_base_b.kd
    .uniform_work_group_size: 1
    .uses_dynamic_stack: false
    .vgpr_count:     22
    .vgpr_spill_count: 0
    .wavefront_size: 32
    .workgroup_processor_mode: 1
  - .args:
      - .offset:         0
        .size:           1
        .value_kind:     by_value
      - .offset:         8
        .size:           8
        .value_kind:     by_value
      - .offset:         16
        .size:           8
        .value_kind:     by_value
      - .actual_access:  read_only
        .address_space:  global
        .offset:         24
        .size:           8
        .value_kind:     global_buffer
      - .offset:         32
        .size:           8
        .value_kind:     by_value
      - .actual_access:  read_only
        .address_space:  global
        .offset:         40
        .size:           8
        .value_kind:     global_buffer
      - .actual_access:  read_only
        .address_space:  global
        .offset:         48
        .size:           8
        .value_kind:     global_buffer
      - .actual_access:  read_only
        .address_space:  global
        .offset:         56
        .size:           8
        .value_kind:     global_buffer
      - .actual_access:  read_only
        .address_space:  global
        .offset:         64
        .size:           8
        .value_kind:     global_buffer
      - .offset:         72
        .size:           8
        .value_kind:     by_value
      - .address_space:  global
        .offset:         80
        .size:           8
        .value_kind:     global_buffer
      - .offset:         88
        .size:           4
        .value_kind:     by_value
      - .offset:         92
        .size:           1
        .value_kind:     by_value
      - .offset:         96
        .size:           4
        .value_kind:     hidden_block_count_x
      - .offset:         100
        .size:           4
        .value_kind:     hidden_block_count_y
      - .offset:         104
        .size:           4
        .value_kind:     hidden_block_count_z
      - .offset:         108
        .size:           2
        .value_kind:     hidden_group_size_x
      - .offset:         110
        .size:           2
        .value_kind:     hidden_group_size_y
      - .offset:         112
        .size:           2
        .value_kind:     hidden_group_size_z
      - .offset:         114
        .size:           2
        .value_kind:     hidden_remainder_x
      - .offset:         116
        .size:           2
        .value_kind:     hidden_remainder_y
      - .offset:         118
        .size:           2
        .value_kind:     hidden_remainder_z
      - .offset:         136
        .size:           8
        .value_kind:     hidden_global_offset_x
      - .offset:         144
        .size:           8
        .value_kind:     hidden_global_offset_y
      - .offset:         152
        .size:           8
        .value_kind:     hidden_global_offset_z
      - .offset:         160
        .size:           2
        .value_kind:     hidden_grid_dims
      - .offset:         216
        .size:           4
        .value_kind:     hidden_dynamic_lds_size
    .group_segment_fixed_size: 8192
    .kernarg_segment_align: 8
    .kernarg_segment_size: 352
    .language:       OpenCL C
    .language_version:
      - 2
      - 0
    .max_flat_workgroup_size: 256
    .name:           _ZN9rocsparseL27csrmvn_symm_adaptive_kernelIliddddEEvbT_S1_PKS1_NS_24const_host_device_scalarIT4_EES3_PKT0_PKT1_PKT2_S6_PT3_21rocsparse_index_base_b
    .private_segment_fixed_size: 0
    .sgpr_count:     43
    .sgpr_spill_count: 0
    .symbol:         _ZN9rocsparseL27csrmvn_symm_adaptive_kernelIliddddEEvbT_S1_PKS1_NS_24const_host_device_scalarIT4_EES3_PKT0_PKT1_PKT2_S6_PT3_21rocsparse_index_base_b.kd
    .uniform_work_group_size: 1
    .uses_dynamic_stack: false
    .vgpr_count:     27
    .vgpr_spill_count: 0
    .wavefront_size: 32
    .workgroup_processor_mode: 1
  - .args:
      - .offset:         0
        .size:           1
        .value_kind:     by_value
      - .offset:         8
        .size:           8
        .value_kind:     by_value
      - .actual_access:  read_only
        .address_space:  global
        .offset:         16
        .size:           8
        .value_kind:     global_buffer
      - .offset:         24
        .size:           8
        .value_kind:     by_value
      - .actual_access:  read_only
        .address_space:  global
        .offset:         32
        .size:           8
        .value_kind:     global_buffer
      - .actual_access:  read_only
        .address_space:  global
        .offset:         40
        .size:           8
        .value_kind:     global_buffer
      - .actual_access:  read_only
        .address_space:  global
        .offset:         48
        .size:           8
        .value_kind:     global_buffer
      - .actual_access:  read_only
        .address_space:  global
        .offset:         56
        .size:           8
        .value_kind:     global_buffer
      - .offset:         64
        .size:           8
        .value_kind:     by_value
      - .address_space:  global
        .offset:         72
        .size:           8
        .value_kind:     global_buffer
      - .offset:         80
        .size:           4
        .value_kind:     by_value
      - .offset:         84
        .size:           1
        .value_kind:     by_value
    .group_segment_fixed_size: 8192
    .kernarg_segment_align: 8
    .kernarg_segment_size: 88
    .language:       OpenCL C
    .language_version:
      - 2
      - 0
    .max_flat_workgroup_size: 256
    .name:           _ZL33csrmvn_symm_large_adaptive_kernelIliddddEvbT_PKS0_N9rocsparse24const_host_device_scalarIT4_EES2_PKT0_PKT1_PKT2_S6_PT3_21rocsparse_index_base_b
    .private_segment_fixed_size: 0
    .sgpr_count:     38
    .sgpr_spill_count: 0
    .symbol:         _ZL33csrmvn_symm_large_adaptive_kernelIliddddEvbT_PKS0_N9rocsparse24const_host_device_scalarIT4_EES2_PKT0_PKT1_PKT2_S6_PT3_21rocsparse_index_base_b.kd
    .uniform_work_group_size: 1
    .uses_dynamic_stack: false
    .vgpr_count:     18
    .vgpr_spill_count: 0
    .wavefront_size: 32
    .workgroup_processor_mode: 1
  - .args:
      - .offset:         0
        .size:           1
        .value_kind:     by_value
      - .offset:         8
        .size:           8
        .value_kind:     by_value
      - .actual_access:  read_only
        .address_space:  global
        .offset:         16
        .size:           8
        .value_kind:     global_buffer
      - .address_space:  global
        .offset:         24
        .size:           8
        .value_kind:     global_buffer
      - .actual_access:  read_only
        .address_space:  global
        .offset:         32
        .size:           8
        .value_kind:     global_buffer
      - .offset:         40
        .size:           8
        .value_kind:     by_value
      - .actual_access:  read_only
        .address_space:  global
        .offset:         48
        .size:           8
        .value_kind:     global_buffer
      - .actual_access:  read_only
        .address_space:  global
        .offset:         56
        .size:           8
        .value_kind:     global_buffer
      - .actual_access:  read_only
        .address_space:  global
        .offset:         64
        .size:           8
        .value_kind:     global_buffer
      - .actual_access:  read_only
        .address_space:  global
        .offset:         72
        .size:           8
        .value_kind:     global_buffer
      - .offset:         80
        .size:           8
        .value_kind:     by_value
      - .address_space:  global
        .offset:         88
        .size:           8
        .value_kind:     global_buffer
      - .offset:         96
        .size:           4
        .value_kind:     by_value
      - .offset:         100
        .size:           1
        .value_kind:     by_value
    .group_segment_fixed_size: 8192
    .kernarg_segment_align: 8
    .kernarg_segment_size: 104
    .language:       OpenCL C
    .language_version:
      - 2
      - 0
    .max_flat_workgroup_size: 256
    .name:           _ZN9rocsparseL22csrmvn_adaptive_kernelIllddddEEvbT_PKS1_PjPKT0_NS_24const_host_device_scalarIT4_EES3_S7_PKT1_PKT2_SA_PT3_21rocsparse_index_base_b
    .private_segment_fixed_size: 0
    .sgpr_count:     52
    .sgpr_spill_count: 0
    .symbol:         _ZN9rocsparseL22csrmvn_adaptive_kernelIllddddEEvbT_PKS1_PjPKT0_NS_24const_host_device_scalarIT4_EES3_S7_PKT1_PKT2_SA_PT3_21rocsparse_index_base_b.kd
    .uniform_work_group_size: 1
    .uses_dynamic_stack: false
    .vgpr_count:     22
    .vgpr_spill_count: 0
    .wavefront_size: 32
    .workgroup_processor_mode: 1
  - .args:
      - .offset:         0
        .size:           8
        .value_kind:     by_value
      - .offset:         8
        .size:           8
        .value_kind:     by_value
      - .offset:         16
        .size:           8
        .value_kind:     by_value
      - .offset:         24
        .size:           8
        .value_kind:     by_value
      - .address_space:  global
        .offset:         32
        .size:           8
        .value_kind:     global_buffer
      - .offset:         40
        .size:           1
        .value_kind:     by_value
    .group_segment_fixed_size: 0
    .kernarg_segment_align: 8
    .kernarg_segment_size: 44
    .language:       OpenCL C
    .language_version:
      - 2
      - 0
    .max_flat_workgroup_size: 256
    .name:           _ZN9rocsparseL22partial_scale_y_kernelIlddEEvT_S1_S1_NS_24const_host_device_scalarIT1_EEPT0_b
    .private_segment_fixed_size: 0
    .sgpr_count:     18
    .sgpr_spill_count: 0
    .symbol:         _ZN9rocsparseL22partial_scale_y_kernelIlddEEvT_S1_S1_NS_24const_host_device_scalarIT1_EEPT0_b.kd
    .uniform_work_group_size: 1
    .uses_dynamic_stack: false
    .vgpr_count:     7
    .vgpr_spill_count: 0
    .wavefront_size: 32
    .workgroup_processor_mode: 1
  - .args:
      - .offset:         0
        .size:           1
        .value_kind:     by_value
      - .offset:         8
        .size:           8
        .value_kind:     by_value
      - .offset:         16
        .size:           8
        .value_kind:     by_value
      - .actual_access:  read_only
        .address_space:  global
        .offset:         24
        .size:           8
        .value_kind:     global_buffer
      - .offset:         32
        .size:           8
        .value_kind:     by_value
      - .actual_access:  read_only
        .address_space:  global
        .offset:         40
        .size:           8
        .value_kind:     global_buffer
      - .actual_access:  read_only
        .address_space:  global
        .offset:         48
        .size:           8
        .value_kind:     global_buffer
      - .actual_access:  read_only
        .address_space:  global
        .offset:         56
        .size:           8
        .value_kind:     global_buffer
      - .actual_access:  read_only
        .address_space:  global
        .offset:         64
        .size:           8
        .value_kind:     global_buffer
      - .offset:         72
        .size:           8
        .value_kind:     by_value
      - .address_space:  global
        .offset:         80
        .size:           8
        .value_kind:     global_buffer
      - .offset:         88
        .size:           4
        .value_kind:     by_value
      - .offset:         92
        .size:           1
        .value_kind:     by_value
      - .offset:         96
        .size:           4
        .value_kind:     hidden_block_count_x
      - .offset:         100
        .size:           4
        .value_kind:     hidden_block_count_y
      - .offset:         104
        .size:           4
        .value_kind:     hidden_block_count_z
      - .offset:         108
        .size:           2
        .value_kind:     hidden_group_size_x
      - .offset:         110
        .size:           2
        .value_kind:     hidden_group_size_y
      - .offset:         112
        .size:           2
        .value_kind:     hidden_group_size_z
      - .offset:         114
        .size:           2
        .value_kind:     hidden_remainder_x
      - .offset:         116
        .size:           2
        .value_kind:     hidden_remainder_y
      - .offset:         118
        .size:           2
        .value_kind:     hidden_remainder_z
      - .offset:         136
        .size:           8
        .value_kind:     hidden_global_offset_x
      - .offset:         144
        .size:           8
        .value_kind:     hidden_global_offset_y
      - .offset:         152
        .size:           8
        .value_kind:     hidden_global_offset_z
      - .offset:         160
        .size:           2
        .value_kind:     hidden_grid_dims
      - .offset:         216
        .size:           4
        .value_kind:     hidden_dynamic_lds_size
    .group_segment_fixed_size: 8192
    .kernarg_segment_align: 8
    .kernarg_segment_size: 352
    .language:       OpenCL C
    .language_version:
      - 2
      - 0
    .max_flat_workgroup_size: 256
    .name:           _ZN9rocsparseL27csrmvn_symm_adaptive_kernelIllddddEEvbT_S1_PKS1_NS_24const_host_device_scalarIT4_EES3_PKT0_PKT1_PKT2_S6_PT3_21rocsparse_index_base_b
    .private_segment_fixed_size: 0
    .sgpr_count:     43
    .sgpr_spill_count: 0
    .symbol:         _ZN9rocsparseL27csrmvn_symm_adaptive_kernelIllddddEEvbT_S1_PKS1_NS_24const_host_device_scalarIT4_EES3_PKT0_PKT1_PKT2_S6_PT3_21rocsparse_index_base_b.kd
    .uniform_work_group_size: 1
    .uses_dynamic_stack: false
    .vgpr_count:     27
    .vgpr_spill_count: 0
    .wavefront_size: 32
    .workgroup_processor_mode: 1
  - .args:
      - .offset:         0
        .size:           1
        .value_kind:     by_value
      - .offset:         8
        .size:           8
        .value_kind:     by_value
      - .actual_access:  read_only
        .address_space:  global
        .offset:         16
        .size:           8
        .value_kind:     global_buffer
      - .offset:         24
        .size:           8
        .value_kind:     by_value
      - .actual_access:  read_only
        .address_space:  global
        .offset:         32
        .size:           8
        .value_kind:     global_buffer
      - .actual_access:  read_only
        .address_space:  global
        .offset:         40
        .size:           8
        .value_kind:     global_buffer
      - .actual_access:  read_only
        .address_space:  global
        .offset:         48
        .size:           8
        .value_kind:     global_buffer
      - .actual_access:  read_only
        .address_space:  global
        .offset:         56
        .size:           8
        .value_kind:     global_buffer
      - .offset:         64
        .size:           8
        .value_kind:     by_value
      - .address_space:  global
        .offset:         72
        .size:           8
        .value_kind:     global_buffer
      - .offset:         80
        .size:           4
        .value_kind:     by_value
      - .offset:         84
        .size:           1
        .value_kind:     by_value
    .group_segment_fixed_size: 8192
    .kernarg_segment_align: 8
    .kernarg_segment_size: 88
    .language:       OpenCL C
    .language_version:
      - 2
      - 0
    .max_flat_workgroup_size: 256
    .name:           _ZL33csrmvn_symm_large_adaptive_kernelIllddddEvbT_PKS0_N9rocsparse24const_host_device_scalarIT4_EES2_PKT0_PKT1_PKT2_S6_PT3_21rocsparse_index_base_b
    .private_segment_fixed_size: 0
    .sgpr_count:     38
    .sgpr_spill_count: 0
    .symbol:         _ZL33csrmvn_symm_large_adaptive_kernelIllddddEvbT_PKS0_N9rocsparse24const_host_device_scalarIT4_EES2_PKT0_PKT1_PKT2_S6_PT3_21rocsparse_index_base_b.kd
    .uniform_work_group_size: 1
    .uses_dynamic_stack: false
    .vgpr_count:     18
    .vgpr_spill_count: 0
    .wavefront_size: 32
    .workgroup_processor_mode: 1
  - .args:
      - .offset:         0
        .size:           1
        .value_kind:     by_value
      - .offset:         4
        .size:           4
        .value_kind:     by_value
      - .actual_access:  read_only
        .address_space:  global
        .offset:         8
        .size:           8
        .value_kind:     global_buffer
      - .address_space:  global
        .offset:         16
        .size:           8
        .value_kind:     global_buffer
      - .actual_access:  read_only
        .address_space:  global
        .offset:         24
        .size:           8
        .value_kind:     global_buffer
      - .offset:         32
        .size:           8
        .value_kind:     by_value
      - .actual_access:  read_only
        .address_space:  global
        .offset:         40
        .size:           8
        .value_kind:     global_buffer
      - .actual_access:  read_only
        .address_space:  global
        .offset:         48
        .size:           8
        .value_kind:     global_buffer
      - .actual_access:  read_only
        .address_space:  global
        .offset:         56
        .size:           8
        .value_kind:     global_buffer
      - .actual_access:  read_only
        .address_space:  global
        .offset:         64
        .size:           8
        .value_kind:     global_buffer
      - .offset:         72
        .size:           8
        .value_kind:     by_value
      - .address_space:  global
        .offset:         80
        .size:           8
        .value_kind:     global_buffer
      - .offset:         88
        .size:           4
        .value_kind:     by_value
      - .offset:         92
        .size:           1
        .value_kind:     by_value
    .group_segment_fixed_size: 8192
    .kernarg_segment_align: 8
    .kernarg_segment_size: 96
    .language:       OpenCL C
    .language_version:
      - 2
      - 0
    .max_flat_workgroup_size: 256
    .name:           _ZN9rocsparseL22csrmvn_adaptive_kernelIii21rocsparse_complex_numIfES2_S2_S2_EEvbT_PKS3_PjPKT0_NS_24const_host_device_scalarIT4_EES5_S9_PKT1_PKT2_SC_PT3_21rocsparse_index_base_b
    .private_segment_fixed_size: 0
    .sgpr_count:     49
    .sgpr_spill_count: 0
    .symbol:         _ZN9rocsparseL22csrmvn_adaptive_kernelIii21rocsparse_complex_numIfES2_S2_S2_EEvbT_PKS3_PjPKT0_NS_24const_host_device_scalarIT4_EES5_S9_PKT1_PKT2_SC_PT3_21rocsparse_index_base_b.kd
    .uniform_work_group_size: 1
    .uses_dynamic_stack: false
    .vgpr_count:     28
    .vgpr_spill_count: 0
    .wavefront_size: 32
    .workgroup_processor_mode: 1
  - .args:
      - .offset:         0
        .size:           4
        .value_kind:     by_value
      - .offset:         4
        .size:           4
        .value_kind:     by_value
      - .offset:         8
        .size:           4
        .value_kind:     by_value
      - .offset:         16
        .size:           8
        .value_kind:     by_value
      - .address_space:  global
        .offset:         24
        .size:           8
        .value_kind:     global_buffer
      - .offset:         32
        .size:           1
        .value_kind:     by_value
    .group_segment_fixed_size: 0
    .kernarg_segment_align: 8
    .kernarg_segment_size: 36
    .language:       OpenCL C
    .language_version:
      - 2
      - 0
    .max_flat_workgroup_size: 256
    .name:           _ZN9rocsparseL22partial_scale_y_kernelIi21rocsparse_complex_numIfES2_EEvT_S3_S3_NS_24const_host_device_scalarIT1_EEPT0_b
    .private_segment_fixed_size: 0
    .sgpr_count:     18
    .sgpr_spill_count: 0
    .symbol:         _ZN9rocsparseL22partial_scale_y_kernelIi21rocsparse_complex_numIfES2_EEvT_S3_S3_NS_24const_host_device_scalarIT1_EEPT0_b.kd
    .uniform_work_group_size: 1
    .uses_dynamic_stack: false
    .vgpr_count:     8
    .vgpr_spill_count: 0
    .wavefront_size: 32
    .workgroup_processor_mode: 1
  - .args:
      - .offset:         0
        .size:           1
        .value_kind:     by_value
      - .offset:         4
        .size:           4
        .value_kind:     by_value
      - .offset:         8
        .size:           4
        .value_kind:     by_value
      - .actual_access:  read_only
        .address_space:  global
        .offset:         16
        .size:           8
        .value_kind:     global_buffer
      - .offset:         24
        .size:           8
        .value_kind:     by_value
      - .actual_access:  read_only
        .address_space:  global
        .offset:         32
        .size:           8
        .value_kind:     global_buffer
      - .actual_access:  read_only
        .address_space:  global
        .offset:         40
        .size:           8
        .value_kind:     global_buffer
      - .actual_access:  read_only
        .address_space:  global
        .offset:         48
        .size:           8
        .value_kind:     global_buffer
      - .actual_access:  read_only
        .address_space:  global
        .offset:         56
        .size:           8
        .value_kind:     global_buffer
      - .offset:         64
        .size:           8
        .value_kind:     by_value
      - .address_space:  global
        .offset:         72
        .size:           8
        .value_kind:     global_buffer
      - .offset:         80
        .size:           4
        .value_kind:     by_value
      - .offset:         84
        .size:           1
        .value_kind:     by_value
      - .offset:         88
        .size:           4
        .value_kind:     hidden_block_count_x
      - .offset:         92
        .size:           4
        .value_kind:     hidden_block_count_y
      - .offset:         96
        .size:           4
        .value_kind:     hidden_block_count_z
      - .offset:         100
        .size:           2
        .value_kind:     hidden_group_size_x
      - .offset:         102
        .size:           2
        .value_kind:     hidden_group_size_y
      - .offset:         104
        .size:           2
        .value_kind:     hidden_group_size_z
      - .offset:         106
        .size:           2
        .value_kind:     hidden_remainder_x
      - .offset:         108
        .size:           2
        .value_kind:     hidden_remainder_y
      - .offset:         110
        .size:           2
        .value_kind:     hidden_remainder_z
      - .offset:         128
        .size:           8
        .value_kind:     hidden_global_offset_x
      - .offset:         136
        .size:           8
        .value_kind:     hidden_global_offset_y
      - .offset:         144
        .size:           8
        .value_kind:     hidden_global_offset_z
      - .offset:         152
        .size:           2
        .value_kind:     hidden_grid_dims
      - .offset:         208
        .size:           4
        .value_kind:     hidden_dynamic_lds_size
    .group_segment_fixed_size: 8192
    .kernarg_segment_align: 8
    .kernarg_segment_size: 344
    .language:       OpenCL C
    .language_version:
      - 2
      - 0
    .max_flat_workgroup_size: 256
    .name:           _ZN9rocsparseL27csrmvn_symm_adaptive_kernelIii21rocsparse_complex_numIfES2_S2_S2_EEvbT_S3_PKS3_NS_24const_host_device_scalarIT4_EES5_PKT0_PKT1_PKT2_S8_PT3_21rocsparse_index_base_b
    .private_segment_fixed_size: 0
    .sgpr_count:     39
    .sgpr_spill_count: 0
    .symbol:         _ZN9rocsparseL27csrmvn_symm_adaptive_kernelIii21rocsparse_complex_numIfES2_S2_S2_EEvbT_S3_PKS3_NS_24const_host_device_scalarIT4_EES5_PKT0_PKT1_PKT2_S8_PT3_21rocsparse_index_base_b.kd
    .uniform_work_group_size: 1
    .uses_dynamic_stack: false
    .vgpr_count:     23
    .vgpr_spill_count: 0
    .wavefront_size: 32
    .workgroup_processor_mode: 1
  - .args:
      - .offset:         0
        .size:           1
        .value_kind:     by_value
      - .offset:         4
        .size:           4
        .value_kind:     by_value
      - .actual_access:  read_only
        .address_space:  global
        .offset:         8
        .size:           8
        .value_kind:     global_buffer
      - .offset:         16
        .size:           8
        .value_kind:     by_value
      - .actual_access:  read_only
        .address_space:  global
        .offset:         24
        .size:           8
        .value_kind:     global_buffer
      - .actual_access:  read_only
        .address_space:  global
        .offset:         32
        .size:           8
        .value_kind:     global_buffer
      - .actual_access:  read_only
        .address_space:  global
        .offset:         40
        .size:           8
        .value_kind:     global_buffer
      - .actual_access:  read_only
        .address_space:  global
        .offset:         48
        .size:           8
        .value_kind:     global_buffer
      - .offset:         56
        .size:           8
        .value_kind:     by_value
      - .address_space:  global
        .offset:         64
        .size:           8
        .value_kind:     global_buffer
      - .offset:         72
        .size:           4
        .value_kind:     by_value
      - .offset:         76
        .size:           1
        .value_kind:     by_value
    .group_segment_fixed_size: 8192
    .kernarg_segment_align: 8
    .kernarg_segment_size: 80
    .language:       OpenCL C
    .language_version:
      - 2
      - 0
    .max_flat_workgroup_size: 256
    .name:           _ZL33csrmvn_symm_large_adaptive_kernelIii21rocsparse_complex_numIfES1_S1_S1_EvbT_PKS2_N9rocsparse24const_host_device_scalarIT4_EES4_PKT0_PKT1_PKT2_S8_PT3_21rocsparse_index_base_b
    .private_segment_fixed_size: 0
    .sgpr_count:     33
    .sgpr_spill_count: 0
    .symbol:         _ZL33csrmvn_symm_large_adaptive_kernelIii21rocsparse_complex_numIfES1_S1_S1_EvbT_PKS2_N9rocsparse24const_host_device_scalarIT4_EES4_PKT0_PKT1_PKT2_S8_PT3_21rocsparse_index_base_b.kd
    .uniform_work_group_size: 1
    .uses_dynamic_stack: false
    .vgpr_count:     16
    .vgpr_spill_count: 0
    .wavefront_size: 32
    .workgroup_processor_mode: 1
  - .args:
      - .offset:         0
        .size:           1
        .value_kind:     by_value
      - .offset:         8
        .size:           8
        .value_kind:     by_value
      - .actual_access:  read_only
        .address_space:  global
        .offset:         16
        .size:           8
        .value_kind:     global_buffer
      - .address_space:  global
        .offset:         24
        .size:           8
        .value_kind:     global_buffer
      - .actual_access:  read_only
        .address_space:  global
        .offset:         32
        .size:           8
        .value_kind:     global_buffer
      - .offset:         40
        .size:           8
        .value_kind:     by_value
      - .actual_access:  read_only
        .address_space:  global
        .offset:         48
        .size:           8
        .value_kind:     global_buffer
      - .actual_access:  read_only
        .address_space:  global
        .offset:         56
        .size:           8
        .value_kind:     global_buffer
      - .actual_access:  read_only
        .address_space:  global
        .offset:         64
        .size:           8
        .value_kind:     global_buffer
      - .actual_access:  read_only
        .address_space:  global
        .offset:         72
        .size:           8
        .value_kind:     global_buffer
      - .offset:         80
        .size:           8
        .value_kind:     by_value
      - .address_space:  global
        .offset:         88
        .size:           8
        .value_kind:     global_buffer
      - .offset:         96
        .size:           4
        .value_kind:     by_value
      - .offset:         100
        .size:           1
        .value_kind:     by_value
    .group_segment_fixed_size: 8192
    .kernarg_segment_align: 8
    .kernarg_segment_size: 104
    .language:       OpenCL C
    .language_version:
      - 2
      - 0
    .max_flat_workgroup_size: 256
    .name:           _ZN9rocsparseL22csrmvn_adaptive_kernelIli21rocsparse_complex_numIfES2_S2_S2_EEvbT_PKS3_PjPKT0_NS_24const_host_device_scalarIT4_EES5_S9_PKT1_PKT2_SC_PT3_21rocsparse_index_base_b
    .private_segment_fixed_size: 0
    .sgpr_count:     56
    .sgpr_spill_count: 0
    .symbol:         _ZN9rocsparseL22csrmvn_adaptive_kernelIli21rocsparse_complex_numIfES2_S2_S2_EEvbT_PKS3_PjPKT0_NS_24const_host_device_scalarIT4_EES5_S9_PKT1_PKT2_SC_PT3_21rocsparse_index_base_b.kd
    .uniform_work_group_size: 1
    .uses_dynamic_stack: false
    .vgpr_count:     28
    .vgpr_spill_count: 0
    .wavefront_size: 32
    .workgroup_processor_mode: 1
  - .args:
      - .offset:         0
        .size:           1
        .value_kind:     by_value
      - .offset:         8
        .size:           8
        .value_kind:     by_value
      - .offset:         16
        .size:           8
        .value_kind:     by_value
      - .actual_access:  read_only
        .address_space:  global
        .offset:         24
        .size:           8
        .value_kind:     global_buffer
      - .offset:         32
        .size:           8
        .value_kind:     by_value
      - .actual_access:  read_only
        .address_space:  global
        .offset:         40
        .size:           8
        .value_kind:     global_buffer
      - .actual_access:  read_only
        .address_space:  global
        .offset:         48
        .size:           8
        .value_kind:     global_buffer
      - .actual_access:  read_only
        .address_space:  global
        .offset:         56
        .size:           8
        .value_kind:     global_buffer
      - .actual_access:  read_only
        .address_space:  global
        .offset:         64
        .size:           8
        .value_kind:     global_buffer
      - .offset:         72
        .size:           8
        .value_kind:     by_value
      - .address_space:  global
        .offset:         80
        .size:           8
        .value_kind:     global_buffer
      - .offset:         88
        .size:           4
        .value_kind:     by_value
      - .offset:         92
        .size:           1
        .value_kind:     by_value
      - .offset:         96
        .size:           4
        .value_kind:     hidden_block_count_x
      - .offset:         100
        .size:           4
        .value_kind:     hidden_block_count_y
      - .offset:         104
        .size:           4
        .value_kind:     hidden_block_count_z
      - .offset:         108
        .size:           2
        .value_kind:     hidden_group_size_x
      - .offset:         110
        .size:           2
        .value_kind:     hidden_group_size_y
      - .offset:         112
        .size:           2
        .value_kind:     hidden_group_size_z
      - .offset:         114
        .size:           2
        .value_kind:     hidden_remainder_x
      - .offset:         116
        .size:           2
        .value_kind:     hidden_remainder_y
      - .offset:         118
        .size:           2
        .value_kind:     hidden_remainder_z
      - .offset:         136
        .size:           8
        .value_kind:     hidden_global_offset_x
      - .offset:         144
        .size:           8
        .value_kind:     hidden_global_offset_y
      - .offset:         152
        .size:           8
        .value_kind:     hidden_global_offset_z
      - .offset:         160
        .size:           2
        .value_kind:     hidden_grid_dims
      - .offset:         216
        .size:           4
        .value_kind:     hidden_dynamic_lds_size
    .group_segment_fixed_size: 8192
    .kernarg_segment_align: 8
    .kernarg_segment_size: 352
    .language:       OpenCL C
    .language_version:
      - 2
      - 0
    .max_flat_workgroup_size: 256
    .name:           _ZN9rocsparseL27csrmvn_symm_adaptive_kernelIli21rocsparse_complex_numIfES2_S2_S2_EEvbT_S3_PKS3_NS_24const_host_device_scalarIT4_EES5_PKT0_PKT1_PKT2_S8_PT3_21rocsparse_index_base_b
    .private_segment_fixed_size: 0
    .sgpr_count:     46
    .sgpr_spill_count: 0
    .symbol:         _ZN9rocsparseL27csrmvn_symm_adaptive_kernelIli21rocsparse_complex_numIfES2_S2_S2_EEvbT_S3_PKS3_NS_24const_host_device_scalarIT4_EES5_PKT0_PKT1_PKT2_S8_PT3_21rocsparse_index_base_b.kd
    .uniform_work_group_size: 1
    .uses_dynamic_stack: false
    .vgpr_count:     27
    .vgpr_spill_count: 0
    .wavefront_size: 32
    .workgroup_processor_mode: 1
  - .args:
      - .offset:         0
        .size:           1
        .value_kind:     by_value
      - .offset:         8
        .size:           8
        .value_kind:     by_value
      - .actual_access:  read_only
        .address_space:  global
        .offset:         16
        .size:           8
        .value_kind:     global_buffer
      - .offset:         24
        .size:           8
        .value_kind:     by_value
      - .actual_access:  read_only
        .address_space:  global
        .offset:         32
        .size:           8
        .value_kind:     global_buffer
      - .actual_access:  read_only
        .address_space:  global
        .offset:         40
        .size:           8
        .value_kind:     global_buffer
      - .actual_access:  read_only
        .address_space:  global
        .offset:         48
        .size:           8
        .value_kind:     global_buffer
      - .actual_access:  read_only
        .address_space:  global
        .offset:         56
        .size:           8
        .value_kind:     global_buffer
      - .offset:         64
        .size:           8
        .value_kind:     by_value
      - .address_space:  global
        .offset:         72
        .size:           8
        .value_kind:     global_buffer
      - .offset:         80
        .size:           4
        .value_kind:     by_value
      - .offset:         84
        .size:           1
        .value_kind:     by_value
    .group_segment_fixed_size: 8192
    .kernarg_segment_align: 8
    .kernarg_segment_size: 88
    .language:       OpenCL C
    .language_version:
      - 2
      - 0
    .max_flat_workgroup_size: 256
    .name:           _ZL33csrmvn_symm_large_adaptive_kernelIli21rocsparse_complex_numIfES1_S1_S1_EvbT_PKS2_N9rocsparse24const_host_device_scalarIT4_EES4_PKT0_PKT1_PKT2_S8_PT3_21rocsparse_index_base_b
    .private_segment_fixed_size: 0
    .sgpr_count:     42
    .sgpr_spill_count: 0
    .symbol:         _ZL33csrmvn_symm_large_adaptive_kernelIli21rocsparse_complex_numIfES1_S1_S1_EvbT_PKS2_N9rocsparse24const_host_device_scalarIT4_EES4_PKT0_PKT1_PKT2_S8_PT3_21rocsparse_index_base_b.kd
    .uniform_work_group_size: 1
    .uses_dynamic_stack: false
    .vgpr_count:     18
    .vgpr_spill_count: 0
    .wavefront_size: 32
    .workgroup_processor_mode: 1
  - .args:
      - .offset:         0
        .size:           1
        .value_kind:     by_value
      - .offset:         8
        .size:           8
        .value_kind:     by_value
      - .actual_access:  read_only
        .address_space:  global
        .offset:         16
        .size:           8
        .value_kind:     global_buffer
      - .address_space:  global
        .offset:         24
        .size:           8
        .value_kind:     global_buffer
      - .actual_access:  read_only
        .address_space:  global
        .offset:         32
        .size:           8
        .value_kind:     global_buffer
      - .offset:         40
        .size:           8
        .value_kind:     by_value
      - .actual_access:  read_only
        .address_space:  global
        .offset:         48
        .size:           8
        .value_kind:     global_buffer
      - .actual_access:  read_only
        .address_space:  global
        .offset:         56
        .size:           8
        .value_kind:     global_buffer
      - .actual_access:  read_only
        .address_space:  global
        .offset:         64
        .size:           8
        .value_kind:     global_buffer
      - .actual_access:  read_only
        .address_space:  global
        .offset:         72
        .size:           8
        .value_kind:     global_buffer
      - .offset:         80
        .size:           8
        .value_kind:     by_value
      - .address_space:  global
        .offset:         88
        .size:           8
        .value_kind:     global_buffer
      - .offset:         96
        .size:           4
        .value_kind:     by_value
      - .offset:         100
        .size:           1
        .value_kind:     by_value
    .group_segment_fixed_size: 8192
    .kernarg_segment_align: 8
    .kernarg_segment_size: 104
    .language:       OpenCL C
    .language_version:
      - 2
      - 0
    .max_flat_workgroup_size: 256
    .name:           _ZN9rocsparseL22csrmvn_adaptive_kernelIll21rocsparse_complex_numIfES2_S2_S2_EEvbT_PKS3_PjPKT0_NS_24const_host_device_scalarIT4_EES5_S9_PKT1_PKT2_SC_PT3_21rocsparse_index_base_b
    .private_segment_fixed_size: 0
    .sgpr_count:     56
    .sgpr_spill_count: 0
    .symbol:         _ZN9rocsparseL22csrmvn_adaptive_kernelIll21rocsparse_complex_numIfES2_S2_S2_EEvbT_PKS3_PjPKT0_NS_24const_host_device_scalarIT4_EES5_S9_PKT1_PKT2_SC_PT3_21rocsparse_index_base_b.kd
    .uniform_work_group_size: 1
    .uses_dynamic_stack: false
    .vgpr_count:     27
    .vgpr_spill_count: 0
    .wavefront_size: 32
    .workgroup_processor_mode: 1
  - .args:
      - .offset:         0
        .size:           8
        .value_kind:     by_value
      - .offset:         8
        .size:           8
        .value_kind:     by_value
      - .offset:         16
        .size:           8
        .value_kind:     by_value
      - .offset:         24
        .size:           8
        .value_kind:     by_value
      - .address_space:  global
        .offset:         32
        .size:           8
        .value_kind:     global_buffer
      - .offset:         40
        .size:           1
        .value_kind:     by_value
    .group_segment_fixed_size: 0
    .kernarg_segment_align: 8
    .kernarg_segment_size: 44
    .language:       OpenCL C
    .language_version:
      - 2
      - 0
    .max_flat_workgroup_size: 256
    .name:           _ZN9rocsparseL22partial_scale_y_kernelIl21rocsparse_complex_numIfES2_EEvT_S3_S3_NS_24const_host_device_scalarIT1_EEPT0_b
    .private_segment_fixed_size: 0
    .sgpr_count:     18
    .sgpr_spill_count: 0
    .symbol:         _ZN9rocsparseL22partial_scale_y_kernelIl21rocsparse_complex_numIfES2_EEvT_S3_S3_NS_24const_host_device_scalarIT1_EEPT0_b.kd
    .uniform_work_group_size: 1
    .uses_dynamic_stack: false
    .vgpr_count:     8
    .vgpr_spill_count: 0
    .wavefront_size: 32
    .workgroup_processor_mode: 1
  - .args:
      - .offset:         0
        .size:           1
        .value_kind:     by_value
      - .offset:         8
        .size:           8
        .value_kind:     by_value
      - .offset:         16
        .size:           8
        .value_kind:     by_value
      - .actual_access:  read_only
        .address_space:  global
        .offset:         24
        .size:           8
        .value_kind:     global_buffer
      - .offset:         32
        .size:           8
        .value_kind:     by_value
      - .actual_access:  read_only
        .address_space:  global
        .offset:         40
        .size:           8
        .value_kind:     global_buffer
      - .actual_access:  read_only
        .address_space:  global
        .offset:         48
        .size:           8
        .value_kind:     global_buffer
      - .actual_access:  read_only
        .address_space:  global
        .offset:         56
        .size:           8
        .value_kind:     global_buffer
      - .actual_access:  read_only
        .address_space:  global
        .offset:         64
        .size:           8
        .value_kind:     global_buffer
      - .offset:         72
        .size:           8
        .value_kind:     by_value
      - .address_space:  global
        .offset:         80
        .size:           8
        .value_kind:     global_buffer
      - .offset:         88
        .size:           4
        .value_kind:     by_value
      - .offset:         92
        .size:           1
        .value_kind:     by_value
      - .offset:         96
        .size:           4
        .value_kind:     hidden_block_count_x
      - .offset:         100
        .size:           4
        .value_kind:     hidden_block_count_y
      - .offset:         104
        .size:           4
        .value_kind:     hidden_block_count_z
      - .offset:         108
        .size:           2
        .value_kind:     hidden_group_size_x
      - .offset:         110
        .size:           2
        .value_kind:     hidden_group_size_y
      - .offset:         112
        .size:           2
        .value_kind:     hidden_group_size_z
      - .offset:         114
        .size:           2
        .value_kind:     hidden_remainder_x
      - .offset:         116
        .size:           2
        .value_kind:     hidden_remainder_y
      - .offset:         118
        .size:           2
        .value_kind:     hidden_remainder_z
      - .offset:         136
        .size:           8
        .value_kind:     hidden_global_offset_x
      - .offset:         144
        .size:           8
        .value_kind:     hidden_global_offset_y
      - .offset:         152
        .size:           8
        .value_kind:     hidden_global_offset_z
      - .offset:         160
        .size:           2
        .value_kind:     hidden_grid_dims
      - .offset:         216
        .size:           4
        .value_kind:     hidden_dynamic_lds_size
    .group_segment_fixed_size: 8192
    .kernarg_segment_align: 8
    .kernarg_segment_size: 352
    .language:       OpenCL C
    .language_version:
      - 2
      - 0
    .max_flat_workgroup_size: 256
    .name:           _ZN9rocsparseL27csrmvn_symm_adaptive_kernelIll21rocsparse_complex_numIfES2_S2_S2_EEvbT_S3_PKS3_NS_24const_host_device_scalarIT4_EES5_PKT0_PKT1_PKT2_S8_PT3_21rocsparse_index_base_b
    .private_segment_fixed_size: 0
    .sgpr_count:     46
    .sgpr_spill_count: 0
    .symbol:         _ZN9rocsparseL27csrmvn_symm_adaptive_kernelIll21rocsparse_complex_numIfES2_S2_S2_EEvbT_S3_PKS3_NS_24const_host_device_scalarIT4_EES5_PKT0_PKT1_PKT2_S8_PT3_21rocsparse_index_base_b.kd
    .uniform_work_group_size: 1
    .uses_dynamic_stack: false
    .vgpr_count:     27
    .vgpr_spill_count: 0
    .wavefront_size: 32
    .workgroup_processor_mode: 1
  - .args:
      - .offset:         0
        .size:           1
        .value_kind:     by_value
      - .offset:         8
        .size:           8
        .value_kind:     by_value
      - .actual_access:  read_only
        .address_space:  global
        .offset:         16
        .size:           8
        .value_kind:     global_buffer
      - .offset:         24
        .size:           8
        .value_kind:     by_value
      - .actual_access:  read_only
        .address_space:  global
        .offset:         32
        .size:           8
        .value_kind:     global_buffer
      - .actual_access:  read_only
        .address_space:  global
        .offset:         40
        .size:           8
        .value_kind:     global_buffer
      - .actual_access:  read_only
        .address_space:  global
        .offset:         48
        .size:           8
        .value_kind:     global_buffer
      - .actual_access:  read_only
        .address_space:  global
        .offset:         56
        .size:           8
        .value_kind:     global_buffer
      - .offset:         64
        .size:           8
        .value_kind:     by_value
      - .address_space:  global
        .offset:         72
        .size:           8
        .value_kind:     global_buffer
      - .offset:         80
        .size:           4
        .value_kind:     by_value
      - .offset:         84
        .size:           1
        .value_kind:     by_value
    .group_segment_fixed_size: 8192
    .kernarg_segment_align: 8
    .kernarg_segment_size: 88
    .language:       OpenCL C
    .language_version:
      - 2
      - 0
    .max_flat_workgroup_size: 256
    .name:           _ZL33csrmvn_symm_large_adaptive_kernelIll21rocsparse_complex_numIfES1_S1_S1_EvbT_PKS2_N9rocsparse24const_host_device_scalarIT4_EES4_PKT0_PKT1_PKT2_S8_PT3_21rocsparse_index_base_b
    .private_segment_fixed_size: 0
    .sgpr_count:     42
    .sgpr_spill_count: 0
    .symbol:         _ZL33csrmvn_symm_large_adaptive_kernelIll21rocsparse_complex_numIfES1_S1_S1_EvbT_PKS2_N9rocsparse24const_host_device_scalarIT4_EES4_PKT0_PKT1_PKT2_S8_PT3_21rocsparse_index_base_b.kd
    .uniform_work_group_size: 1
    .uses_dynamic_stack: false
    .vgpr_count:     18
    .vgpr_spill_count: 0
    .wavefront_size: 32
    .workgroup_processor_mode: 1
  - .args:
      - .offset:         0
        .size:           1
        .value_kind:     by_value
      - .offset:         4
        .size:           4
        .value_kind:     by_value
      - .actual_access:  read_only
        .address_space:  global
        .offset:         8
        .size:           8
        .value_kind:     global_buffer
      - .address_space:  global
        .offset:         16
        .size:           8
        .value_kind:     global_buffer
      - .actual_access:  read_only
        .address_space:  global
        .offset:         24
        .size:           8
        .value_kind:     global_buffer
      - .offset:         32
        .size:           16
        .value_kind:     by_value
      - .actual_access:  read_only
        .address_space:  global
        .offset:         48
        .size:           8
        .value_kind:     global_buffer
      - .actual_access:  read_only
        .address_space:  global
        .offset:         56
        .size:           8
        .value_kind:     global_buffer
      - .actual_access:  read_only
        .address_space:  global
        .offset:         64
        .size:           8
        .value_kind:     global_buffer
      - .actual_access:  read_only
        .address_space:  global
        .offset:         72
        .size:           8
        .value_kind:     global_buffer
      - .offset:         80
        .size:           16
        .value_kind:     by_value
      - .address_space:  global
        .offset:         96
        .size:           8
        .value_kind:     global_buffer
      - .offset:         104
        .size:           4
        .value_kind:     by_value
      - .offset:         108
        .size:           1
        .value_kind:     by_value
    .group_segment_fixed_size: 16384
    .kernarg_segment_align: 8
    .kernarg_segment_size: 112
    .language:       OpenCL C
    .language_version:
      - 2
      - 0
    .max_flat_workgroup_size: 256
    .name:           _ZN9rocsparseL22csrmvn_adaptive_kernelIii21rocsparse_complex_numIdES2_S2_S2_EEvbT_PKS3_PjPKT0_NS_24const_host_device_scalarIT4_EES5_S9_PKT1_PKT2_SC_PT3_21rocsparse_index_base_b
    .private_segment_fixed_size: 24
    .sgpr_count:     49
    .sgpr_spill_count: 0
    .symbol:         _ZN9rocsparseL22csrmvn_adaptive_kernelIii21rocsparse_complex_numIdES2_S2_S2_EEvbT_PKS3_PjPKT0_NS_24const_host_device_scalarIT4_EES5_S9_PKT1_PKT2_SC_PT3_21rocsparse_index_base_b.kd
    .uniform_work_group_size: 1
    .uses_dynamic_stack: false
    .vgpr_count:     50
    .vgpr_spill_count: 0
    .wavefront_size: 32
    .workgroup_processor_mode: 1
  - .args:
      - .offset:         0
        .size:           4
        .value_kind:     by_value
      - .offset:         4
        .size:           4
        .value_kind:     by_value
      - .offset:         8
        .size:           4
        .value_kind:     by_value
      - .offset:         16
        .size:           16
        .value_kind:     by_value
      - .address_space:  global
        .offset:         32
        .size:           8
        .value_kind:     global_buffer
      - .offset:         40
        .size:           1
        .value_kind:     by_value
    .group_segment_fixed_size: 2048
    .kernarg_segment_align: 8
    .kernarg_segment_size: 44
    .language:       OpenCL C
    .language_version:
      - 2
      - 0
    .max_flat_workgroup_size: 256
    .name:           _ZN9rocsparseL22partial_scale_y_kernelIi21rocsparse_complex_numIdES2_EEvT_S3_S3_NS_24const_host_device_scalarIT1_EEPT0_b
    .private_segment_fixed_size: 0
    .sgpr_count:     18
    .sgpr_spill_count: 0
    .symbol:         _ZN9rocsparseL22partial_scale_y_kernelIi21rocsparse_complex_numIdES2_EEvT_S3_S3_NS_24const_host_device_scalarIT1_EEPT0_b.kd
    .uniform_work_group_size: 1
    .uses_dynamic_stack: false
    .vgpr_count:     12
    .vgpr_spill_count: 0
    .wavefront_size: 32
    .workgroup_processor_mode: 1
  - .args:
      - .offset:         0
        .size:           1
        .value_kind:     by_value
      - .offset:         4
        .size:           4
        .value_kind:     by_value
      - .offset:         8
        .size:           4
        .value_kind:     by_value
      - .actual_access:  read_only
        .address_space:  global
        .offset:         16
        .size:           8
        .value_kind:     global_buffer
      - .offset:         24
        .size:           16
        .value_kind:     by_value
      - .actual_access:  read_only
        .address_space:  global
        .offset:         40
        .size:           8
        .value_kind:     global_buffer
      - .actual_access:  read_only
        .address_space:  global
        .offset:         48
        .size:           8
        .value_kind:     global_buffer
      - .actual_access:  read_only
        .address_space:  global
        .offset:         56
        .size:           8
        .value_kind:     global_buffer
      - .actual_access:  read_only
        .address_space:  global
        .offset:         64
        .size:           8
        .value_kind:     global_buffer
      - .offset:         72
        .size:           16
        .value_kind:     by_value
      - .address_space:  global
        .offset:         88
        .size:           8
        .value_kind:     global_buffer
      - .offset:         96
        .size:           4
        .value_kind:     by_value
      - .offset:         100
        .size:           1
        .value_kind:     by_value
      - .offset:         104
        .size:           4
        .value_kind:     hidden_block_count_x
      - .offset:         108
        .size:           4
        .value_kind:     hidden_block_count_y
      - .offset:         112
        .size:           4
        .value_kind:     hidden_block_count_z
      - .offset:         116
        .size:           2
        .value_kind:     hidden_group_size_x
      - .offset:         118
        .size:           2
        .value_kind:     hidden_group_size_y
      - .offset:         120
        .size:           2
        .value_kind:     hidden_group_size_z
      - .offset:         122
        .size:           2
        .value_kind:     hidden_remainder_x
      - .offset:         124
        .size:           2
        .value_kind:     hidden_remainder_y
      - .offset:         126
        .size:           2
        .value_kind:     hidden_remainder_z
      - .offset:         144
        .size:           8
        .value_kind:     hidden_global_offset_x
      - .offset:         152
        .size:           8
        .value_kind:     hidden_global_offset_y
      - .offset:         160
        .size:           8
        .value_kind:     hidden_global_offset_z
      - .offset:         168
        .size:           2
        .value_kind:     hidden_grid_dims
      - .offset:         224
        .size:           4
        .value_kind:     hidden_dynamic_lds_size
    .group_segment_fixed_size: 16384
    .kernarg_segment_align: 8
    .kernarg_segment_size: 360
    .language:       OpenCL C
    .language_version:
      - 2
      - 0
    .max_flat_workgroup_size: 256
    .name:           _ZN9rocsparseL27csrmvn_symm_adaptive_kernelIii21rocsparse_complex_numIdES2_S2_S2_EEvbT_S3_PKS3_NS_24const_host_device_scalarIT4_EES5_PKT0_PKT1_PKT2_S8_PT3_21rocsparse_index_base_b
    .private_segment_fixed_size: 24
    .sgpr_count:     40
    .sgpr_spill_count: 0
    .symbol:         _ZN9rocsparseL27csrmvn_symm_adaptive_kernelIii21rocsparse_complex_numIdES2_S2_S2_EEvbT_S3_PKS3_NS_24const_host_device_scalarIT4_EES5_PKT0_PKT1_PKT2_S8_PT3_21rocsparse_index_base_b.kd
    .uniform_work_group_size: 1
    .uses_dynamic_stack: false
    .vgpr_count:     38
    .vgpr_spill_count: 0
    .wavefront_size: 32
    .workgroup_processor_mode: 1
  - .args:
      - .offset:         0
        .size:           1
        .value_kind:     by_value
      - .offset:         4
        .size:           4
        .value_kind:     by_value
      - .actual_access:  read_only
        .address_space:  global
        .offset:         8
        .size:           8
        .value_kind:     global_buffer
      - .offset:         16
        .size:           16
        .value_kind:     by_value
      - .actual_access:  read_only
        .address_space:  global
        .offset:         32
        .size:           8
        .value_kind:     global_buffer
      - .actual_access:  read_only
        .address_space:  global
        .offset:         40
        .size:           8
        .value_kind:     global_buffer
      - .actual_access:  read_only
        .address_space:  global
        .offset:         48
        .size:           8
        .value_kind:     global_buffer
      - .actual_access:  read_only
        .address_space:  global
        .offset:         56
        .size:           8
        .value_kind:     global_buffer
      - .offset:         64
        .size:           16
        .value_kind:     by_value
      - .address_space:  global
        .offset:         80
        .size:           8
        .value_kind:     global_buffer
      - .offset:         88
        .size:           4
        .value_kind:     by_value
      - .offset:         92
        .size:           1
        .value_kind:     by_value
    .group_segment_fixed_size: 16384
    .kernarg_segment_align: 8
    .kernarg_segment_size: 96
    .language:       OpenCL C
    .language_version:
      - 2
      - 0
    .max_flat_workgroup_size: 256
    .name:           _ZL33csrmvn_symm_large_adaptive_kernelIii21rocsparse_complex_numIdES1_S1_S1_EvbT_PKS2_N9rocsparse24const_host_device_scalarIT4_EES4_PKT0_PKT1_PKT2_S8_PT3_21rocsparse_index_base_b
    .private_segment_fixed_size: 24
    .sgpr_count:     34
    .sgpr_spill_count: 0
    .symbol:         _ZL33csrmvn_symm_large_adaptive_kernelIii21rocsparse_complex_numIdES1_S1_S1_EvbT_PKS2_N9rocsparse24const_host_device_scalarIT4_EES4_PKT0_PKT1_PKT2_S8_PT3_21rocsparse_index_base_b.kd
    .uniform_work_group_size: 1
    .uses_dynamic_stack: false
    .vgpr_count:     25
    .vgpr_spill_count: 0
    .wavefront_size: 32
    .workgroup_processor_mode: 1
  - .args:
      - .offset:         0
        .size:           1
        .value_kind:     by_value
      - .offset:         8
        .size:           8
        .value_kind:     by_value
      - .actual_access:  read_only
        .address_space:  global
        .offset:         16
        .size:           8
        .value_kind:     global_buffer
      - .address_space:  global
        .offset:         24
        .size:           8
        .value_kind:     global_buffer
      - .actual_access:  read_only
        .address_space:  global
        .offset:         32
        .size:           8
        .value_kind:     global_buffer
      - .offset:         40
        .size:           16
        .value_kind:     by_value
      - .actual_access:  read_only
        .address_space:  global
        .offset:         56
        .size:           8
        .value_kind:     global_buffer
      - .actual_access:  read_only
        .address_space:  global
        .offset:         64
        .size:           8
        .value_kind:     global_buffer
      - .actual_access:  read_only
        .address_space:  global
        .offset:         72
        .size:           8
        .value_kind:     global_buffer
      - .actual_access:  read_only
        .address_space:  global
        .offset:         80
        .size:           8
        .value_kind:     global_buffer
      - .offset:         88
        .size:           16
        .value_kind:     by_value
      - .address_space:  global
        .offset:         104
        .size:           8
        .value_kind:     global_buffer
      - .offset:         112
        .size:           4
        .value_kind:     by_value
      - .offset:         116
        .size:           1
        .value_kind:     by_value
    .group_segment_fixed_size: 16384
    .kernarg_segment_align: 8
    .kernarg_segment_size: 120
    .language:       OpenCL C
    .language_version:
      - 2
      - 0
    .max_flat_workgroup_size: 256
    .name:           _ZN9rocsparseL22csrmvn_adaptive_kernelIli21rocsparse_complex_numIdES2_S2_S2_EEvbT_PKS3_PjPKT0_NS_24const_host_device_scalarIT4_EES5_S9_PKT1_PKT2_SC_PT3_21rocsparse_index_base_b
    .private_segment_fixed_size: 24
    .sgpr_count:     52
    .sgpr_spill_count: 0
    .symbol:         _ZN9rocsparseL22csrmvn_adaptive_kernelIli21rocsparse_complex_numIdES2_S2_S2_EEvbT_PKS3_PjPKT0_NS_24const_host_device_scalarIT4_EES5_S9_PKT1_PKT2_SC_PT3_21rocsparse_index_base_b.kd
    .uniform_work_group_size: 1
    .uses_dynamic_stack: false
    .vgpr_count:     50
    .vgpr_spill_count: 0
    .wavefront_size: 32
    .workgroup_processor_mode: 1
  - .args:
      - .offset:         0
        .size:           1
        .value_kind:     by_value
      - .offset:         8
        .size:           8
        .value_kind:     by_value
      - .offset:         16
        .size:           8
        .value_kind:     by_value
      - .actual_access:  read_only
        .address_space:  global
        .offset:         24
        .size:           8
        .value_kind:     global_buffer
      - .offset:         32
        .size:           16
        .value_kind:     by_value
      - .actual_access:  read_only
        .address_space:  global
        .offset:         48
        .size:           8
        .value_kind:     global_buffer
      - .actual_access:  read_only
        .address_space:  global
        .offset:         56
        .size:           8
        .value_kind:     global_buffer
      - .actual_access:  read_only
        .address_space:  global
        .offset:         64
        .size:           8
        .value_kind:     global_buffer
      - .actual_access:  read_only
        .address_space:  global
        .offset:         72
        .size:           8
        .value_kind:     global_buffer
      - .offset:         80
        .size:           16
        .value_kind:     by_value
      - .address_space:  global
        .offset:         96
        .size:           8
        .value_kind:     global_buffer
      - .offset:         104
        .size:           4
        .value_kind:     by_value
      - .offset:         108
        .size:           1
        .value_kind:     by_value
      - .offset:         112
        .size:           4
        .value_kind:     hidden_block_count_x
      - .offset:         116
        .size:           4
        .value_kind:     hidden_block_count_y
      - .offset:         120
        .size:           4
        .value_kind:     hidden_block_count_z
      - .offset:         124
        .size:           2
        .value_kind:     hidden_group_size_x
      - .offset:         126
        .size:           2
        .value_kind:     hidden_group_size_y
      - .offset:         128
        .size:           2
        .value_kind:     hidden_group_size_z
      - .offset:         130
        .size:           2
        .value_kind:     hidden_remainder_x
      - .offset:         132
        .size:           2
        .value_kind:     hidden_remainder_y
      - .offset:         134
        .size:           2
        .value_kind:     hidden_remainder_z
      - .offset:         152
        .size:           8
        .value_kind:     hidden_global_offset_x
      - .offset:         160
        .size:           8
        .value_kind:     hidden_global_offset_y
      - .offset:         168
        .size:           8
        .value_kind:     hidden_global_offset_z
      - .offset:         176
        .size:           2
        .value_kind:     hidden_grid_dims
      - .offset:         232
        .size:           4
        .value_kind:     hidden_dynamic_lds_size
    .group_segment_fixed_size: 16384
    .kernarg_segment_align: 8
    .kernarg_segment_size: 368
    .language:       OpenCL C
    .language_version:
      - 2
      - 0
    .max_flat_workgroup_size: 256
    .name:           _ZN9rocsparseL27csrmvn_symm_adaptive_kernelIli21rocsparse_complex_numIdES2_S2_S2_EEvbT_S3_PKS3_NS_24const_host_device_scalarIT4_EES5_PKT0_PKT1_PKT2_S8_PT3_21rocsparse_index_base_b
    .private_segment_fixed_size: 24
    .sgpr_count:     45
    .sgpr_spill_count: 0
    .symbol:         _ZN9rocsparseL27csrmvn_symm_adaptive_kernelIli21rocsparse_complex_numIdES2_S2_S2_EEvbT_S3_PKS3_NS_24const_host_device_scalarIT4_EES5_PKT0_PKT1_PKT2_S8_PT3_21rocsparse_index_base_b.kd
    .uniform_work_group_size: 1
    .uses_dynamic_stack: false
    .vgpr_count:     41
    .vgpr_spill_count: 0
    .wavefront_size: 32
    .workgroup_processor_mode: 1
  - .args:
      - .offset:         0
        .size:           1
        .value_kind:     by_value
      - .offset:         8
        .size:           8
        .value_kind:     by_value
      - .actual_access:  read_only
        .address_space:  global
        .offset:         16
        .size:           8
        .value_kind:     global_buffer
      - .offset:         24
        .size:           16
        .value_kind:     by_value
      - .actual_access:  read_only
        .address_space:  global
        .offset:         40
        .size:           8
        .value_kind:     global_buffer
      - .actual_access:  read_only
        .address_space:  global
        .offset:         48
        .size:           8
        .value_kind:     global_buffer
      - .actual_access:  read_only
        .address_space:  global
        .offset:         56
        .size:           8
        .value_kind:     global_buffer
      - .actual_access:  read_only
        .address_space:  global
        .offset:         64
        .size:           8
        .value_kind:     global_buffer
      - .offset:         72
        .size:           16
        .value_kind:     by_value
      - .address_space:  global
        .offset:         88
        .size:           8
        .value_kind:     global_buffer
      - .offset:         96
        .size:           4
        .value_kind:     by_value
      - .offset:         100
        .size:           1
        .value_kind:     by_value
    .group_segment_fixed_size: 16384
    .kernarg_segment_align: 8
    .kernarg_segment_size: 104
    .language:       OpenCL C
    .language_version:
      - 2
      - 0
    .max_flat_workgroup_size: 256
    .name:           _ZL33csrmvn_symm_large_adaptive_kernelIli21rocsparse_complex_numIdES1_S1_S1_EvbT_PKS2_N9rocsparse24const_host_device_scalarIT4_EES4_PKT0_PKT1_PKT2_S8_PT3_21rocsparse_index_base_b
    .private_segment_fixed_size: 24
    .sgpr_count:     41
    .sgpr_spill_count: 0
    .symbol:         _ZL33csrmvn_symm_large_adaptive_kernelIli21rocsparse_complex_numIdES1_S1_S1_EvbT_PKS2_N9rocsparse24const_host_device_scalarIT4_EES4_PKT0_PKT1_PKT2_S8_PT3_21rocsparse_index_base_b.kd
    .uniform_work_group_size: 1
    .uses_dynamic_stack: false
    .vgpr_count:     27
    .vgpr_spill_count: 0
    .wavefront_size: 32
    .workgroup_processor_mode: 1
  - .args:
      - .offset:         0
        .size:           1
        .value_kind:     by_value
      - .offset:         8
        .size:           8
        .value_kind:     by_value
      - .actual_access:  read_only
        .address_space:  global
        .offset:         16
        .size:           8
        .value_kind:     global_buffer
      - .address_space:  global
        .offset:         24
        .size:           8
        .value_kind:     global_buffer
      - .actual_access:  read_only
        .address_space:  global
        .offset:         32
        .size:           8
        .value_kind:     global_buffer
      - .offset:         40
        .size:           16
        .value_kind:     by_value
      - .actual_access:  read_only
        .address_space:  global
        .offset:         56
        .size:           8
        .value_kind:     global_buffer
      - .actual_access:  read_only
        .address_space:  global
        .offset:         64
        .size:           8
        .value_kind:     global_buffer
      - .actual_access:  read_only
        .address_space:  global
        .offset:         72
        .size:           8
        .value_kind:     global_buffer
      - .actual_access:  read_only
        .address_space:  global
        .offset:         80
        .size:           8
        .value_kind:     global_buffer
      - .offset:         88
        .size:           16
        .value_kind:     by_value
      - .address_space:  global
        .offset:         104
        .size:           8
        .value_kind:     global_buffer
      - .offset:         112
        .size:           4
        .value_kind:     by_value
      - .offset:         116
        .size:           1
        .value_kind:     by_value
    .group_segment_fixed_size: 16384
    .kernarg_segment_align: 8
    .kernarg_segment_size: 120
    .language:       OpenCL C
    .language_version:
      - 2
      - 0
    .max_flat_workgroup_size: 256
    .name:           _ZN9rocsparseL22csrmvn_adaptive_kernelIll21rocsparse_complex_numIdES2_S2_S2_EEvbT_PKS3_PjPKT0_NS_24const_host_device_scalarIT4_EES5_S9_PKT1_PKT2_SC_PT3_21rocsparse_index_base_b
    .private_segment_fixed_size: 24
    .sgpr_count:     52
    .sgpr_spill_count: 0
    .symbol:         _ZN9rocsparseL22csrmvn_adaptive_kernelIll21rocsparse_complex_numIdES2_S2_S2_EEvbT_PKS3_PjPKT0_NS_24const_host_device_scalarIT4_EES5_S9_PKT1_PKT2_SC_PT3_21rocsparse_index_base_b.kd
    .uniform_work_group_size: 1
    .uses_dynamic_stack: false
    .vgpr_count:     50
    .vgpr_spill_count: 0
    .wavefront_size: 32
    .workgroup_processor_mode: 1
  - .args:
      - .offset:         0
        .size:           8
        .value_kind:     by_value
      - .offset:         8
        .size:           8
        .value_kind:     by_value
      - .offset:         16
        .size:           8
        .value_kind:     by_value
      - .offset:         24
        .size:           16
        .value_kind:     by_value
      - .address_space:  global
        .offset:         40
        .size:           8
        .value_kind:     global_buffer
      - .offset:         48
        .size:           1
        .value_kind:     by_value
    .group_segment_fixed_size: 2048
    .kernarg_segment_align: 8
    .kernarg_segment_size: 52
    .language:       OpenCL C
    .language_version:
      - 2
      - 0
    .max_flat_workgroup_size: 256
    .name:           _ZN9rocsparseL22partial_scale_y_kernelIl21rocsparse_complex_numIdES2_EEvT_S3_S3_NS_24const_host_device_scalarIT1_EEPT0_b
    .private_segment_fixed_size: 0
    .sgpr_count:     18
    .sgpr_spill_count: 0
    .symbol:         _ZN9rocsparseL22partial_scale_y_kernelIl21rocsparse_complex_numIdES2_EEvT_S3_S3_NS_24const_host_device_scalarIT1_EEPT0_b.kd
    .uniform_work_group_size: 1
    .uses_dynamic_stack: false
    .vgpr_count:     12
    .vgpr_spill_count: 0
    .wavefront_size: 32
    .workgroup_processor_mode: 1
  - .args:
      - .offset:         0
        .size:           1
        .value_kind:     by_value
      - .offset:         8
        .size:           8
        .value_kind:     by_value
      - .offset:         16
        .size:           8
        .value_kind:     by_value
      - .actual_access:  read_only
        .address_space:  global
        .offset:         24
        .size:           8
        .value_kind:     global_buffer
      - .offset:         32
        .size:           16
        .value_kind:     by_value
      - .actual_access:  read_only
        .address_space:  global
        .offset:         48
        .size:           8
        .value_kind:     global_buffer
      - .actual_access:  read_only
        .address_space:  global
        .offset:         56
        .size:           8
        .value_kind:     global_buffer
      - .actual_access:  read_only
        .address_space:  global
        .offset:         64
        .size:           8
        .value_kind:     global_buffer
      - .actual_access:  read_only
        .address_space:  global
        .offset:         72
        .size:           8
        .value_kind:     global_buffer
      - .offset:         80
        .size:           16
        .value_kind:     by_value
      - .address_space:  global
        .offset:         96
        .size:           8
        .value_kind:     global_buffer
      - .offset:         104
        .size:           4
        .value_kind:     by_value
      - .offset:         108
        .size:           1
        .value_kind:     by_value
      - .offset:         112
        .size:           4
        .value_kind:     hidden_block_count_x
      - .offset:         116
        .size:           4
        .value_kind:     hidden_block_count_y
      - .offset:         120
        .size:           4
        .value_kind:     hidden_block_count_z
      - .offset:         124
        .size:           2
        .value_kind:     hidden_group_size_x
      - .offset:         126
        .size:           2
        .value_kind:     hidden_group_size_y
      - .offset:         128
        .size:           2
        .value_kind:     hidden_group_size_z
      - .offset:         130
        .size:           2
        .value_kind:     hidden_remainder_x
      - .offset:         132
        .size:           2
        .value_kind:     hidden_remainder_y
      - .offset:         134
        .size:           2
        .value_kind:     hidden_remainder_z
      - .offset:         152
        .size:           8
        .value_kind:     hidden_global_offset_x
      - .offset:         160
        .size:           8
        .value_kind:     hidden_global_offset_y
      - .offset:         168
        .size:           8
        .value_kind:     hidden_global_offset_z
      - .offset:         176
        .size:           2
        .value_kind:     hidden_grid_dims
      - .offset:         232
        .size:           4
        .value_kind:     hidden_dynamic_lds_size
    .group_segment_fixed_size: 16384
    .kernarg_segment_align: 8
    .kernarg_segment_size: 368
    .language:       OpenCL C
    .language_version:
      - 2
      - 0
    .max_flat_workgroup_size: 256
    .name:           _ZN9rocsparseL27csrmvn_symm_adaptive_kernelIll21rocsparse_complex_numIdES2_S2_S2_EEvbT_S3_PKS3_NS_24const_host_device_scalarIT4_EES5_PKT0_PKT1_PKT2_S8_PT3_21rocsparse_index_base_b
    .private_segment_fixed_size: 24
    .sgpr_count:     45
    .sgpr_spill_count: 0
    .symbol:         _ZN9rocsparseL27csrmvn_symm_adaptive_kernelIll21rocsparse_complex_numIdES2_S2_S2_EEvbT_S3_PKS3_NS_24const_host_device_scalarIT4_EES5_PKT0_PKT1_PKT2_S8_PT3_21rocsparse_index_base_b.kd
    .uniform_work_group_size: 1
    .uses_dynamic_stack: false
    .vgpr_count:     41
    .vgpr_spill_count: 0
    .wavefront_size: 32
    .workgroup_processor_mode: 1
  - .args:
      - .offset:         0
        .size:           1
        .value_kind:     by_value
      - .offset:         8
        .size:           8
        .value_kind:     by_value
      - .actual_access:  read_only
        .address_space:  global
        .offset:         16
        .size:           8
        .value_kind:     global_buffer
      - .offset:         24
        .size:           16
        .value_kind:     by_value
      - .actual_access:  read_only
        .address_space:  global
        .offset:         40
        .size:           8
        .value_kind:     global_buffer
      - .actual_access:  read_only
        .address_space:  global
        .offset:         48
        .size:           8
        .value_kind:     global_buffer
      - .actual_access:  read_only
        .address_space:  global
        .offset:         56
        .size:           8
        .value_kind:     global_buffer
      - .actual_access:  read_only
        .address_space:  global
        .offset:         64
        .size:           8
        .value_kind:     global_buffer
      - .offset:         72
        .size:           16
        .value_kind:     by_value
      - .address_space:  global
        .offset:         88
        .size:           8
        .value_kind:     global_buffer
      - .offset:         96
        .size:           4
        .value_kind:     by_value
      - .offset:         100
        .size:           1
        .value_kind:     by_value
    .group_segment_fixed_size: 16384
    .kernarg_segment_align: 8
    .kernarg_segment_size: 104
    .language:       OpenCL C
    .language_version:
      - 2
      - 0
    .max_flat_workgroup_size: 256
    .name:           _ZL33csrmvn_symm_large_adaptive_kernelIll21rocsparse_complex_numIdES1_S1_S1_EvbT_PKS2_N9rocsparse24const_host_device_scalarIT4_EES4_PKT0_PKT1_PKT2_S8_PT3_21rocsparse_index_base_b
    .private_segment_fixed_size: 24
    .sgpr_count:     41
    .sgpr_spill_count: 0
    .symbol:         _ZL33csrmvn_symm_large_adaptive_kernelIll21rocsparse_complex_numIdES1_S1_S1_EvbT_PKS2_N9rocsparse24const_host_device_scalarIT4_EES4_PKT0_PKT1_PKT2_S8_PT3_21rocsparse_index_base_b.kd
    .uniform_work_group_size: 1
    .uses_dynamic_stack: false
    .vgpr_count:     27
    .vgpr_spill_count: 0
    .wavefront_size: 32
    .workgroup_processor_mode: 1
  - .args:
      - .offset:         0
        .size:           1
        .value_kind:     by_value
      - .offset:         4
        .size:           4
        .value_kind:     by_value
      - .actual_access:  read_only
        .address_space:  global
        .offset:         8
        .size:           8
        .value_kind:     global_buffer
      - .address_space:  global
        .offset:         16
        .size:           8
        .value_kind:     global_buffer
      - .actual_access:  read_only
        .address_space:  global
        .offset:         24
        .size:           8
        .value_kind:     global_buffer
      - .offset:         32
        .size:           8
        .value_kind:     by_value
      - .actual_access:  read_only
        .address_space:  global
        .offset:         40
        .size:           8
        .value_kind:     global_buffer
      - .actual_access:  read_only
        .address_space:  global
        .offset:         48
        .size:           8
        .value_kind:     global_buffer
      - .actual_access:  read_only
        .address_space:  global
        .offset:         56
        .size:           8
        .value_kind:     global_buffer
      - .actual_access:  read_only
        .address_space:  global
        .offset:         64
        .size:           8
        .value_kind:     global_buffer
      - .offset:         72
        .size:           8
        .value_kind:     by_value
      - .address_space:  global
        .offset:         80
        .size:           8
        .value_kind:     global_buffer
      - .offset:         88
        .size:           4
        .value_kind:     by_value
      - .offset:         92
        .size:           1
        .value_kind:     by_value
    .group_segment_fixed_size: 4096
    .kernarg_segment_align: 8
    .kernarg_segment_size: 96
    .language:       OpenCL C
    .language_version:
      - 2
      - 0
    .max_flat_workgroup_size: 256
    .name:           _ZN9rocsparseL22csrmvn_adaptive_kernelIiiaaiiEEvbT_PKS1_PjPKT0_NS_24const_host_device_scalarIT4_EES3_S7_PKT1_PKT2_SA_PT3_21rocsparse_index_base_b
    .private_segment_fixed_size: 0
    .sgpr_count:     48
    .sgpr_spill_count: 0
    .symbol:         _ZN9rocsparseL22csrmvn_adaptive_kernelIiiaaiiEEvbT_PKS1_PjPKT0_NS_24const_host_device_scalarIT4_EES3_S7_PKT1_PKT2_SA_PT3_21rocsparse_index_base_b.kd
    .uniform_work_group_size: 1
    .uses_dynamic_stack: false
    .vgpr_count:     16
    .vgpr_spill_count: 0
    .wavefront_size: 32
    .workgroup_processor_mode: 1
  - .args:
      - .offset:         0
        .size:           4
        .value_kind:     by_value
      - .offset:         4
        .size:           4
        .value_kind:     by_value
      - .offset:         8
        .size:           4
        .value_kind:     by_value
      - .offset:         16
        .size:           8
        .value_kind:     by_value
      - .address_space:  global
        .offset:         24
        .size:           8
        .value_kind:     global_buffer
      - .offset:         32
        .size:           1
        .value_kind:     by_value
    .group_segment_fixed_size: 0
    .kernarg_segment_align: 8
    .kernarg_segment_size: 36
    .language:       OpenCL C
    .language_version:
      - 2
      - 0
    .max_flat_workgroup_size: 256
    .name:           _ZN9rocsparseL22partial_scale_y_kernelIiiiEEvT_S1_S1_NS_24const_host_device_scalarIT1_EEPT0_b
    .private_segment_fixed_size: 0
    .sgpr_count:     18
    .sgpr_spill_count: 0
    .symbol:         _ZN9rocsparseL22partial_scale_y_kernelIiiiEEvT_S1_S1_NS_24const_host_device_scalarIT1_EEPT0_b.kd
    .uniform_work_group_size: 1
    .uses_dynamic_stack: false
    .vgpr_count:     3
    .vgpr_spill_count: 0
    .wavefront_size: 32
    .workgroup_processor_mode: 1
  - .args:
      - .offset:         0
        .size:           1
        .value_kind:     by_value
      - .offset:         4
        .size:           4
        .value_kind:     by_value
      - .offset:         8
        .size:           4
        .value_kind:     by_value
      - .actual_access:  read_only
        .address_space:  global
        .offset:         16
        .size:           8
        .value_kind:     global_buffer
      - .offset:         24
        .size:           8
        .value_kind:     by_value
      - .actual_access:  read_only
        .address_space:  global
        .offset:         32
        .size:           8
        .value_kind:     global_buffer
      - .actual_access:  read_only
        .address_space:  global
        .offset:         40
        .size:           8
        .value_kind:     global_buffer
      - .actual_access:  read_only
        .address_space:  global
        .offset:         48
        .size:           8
        .value_kind:     global_buffer
      - .actual_access:  read_only
        .address_space:  global
        .offset:         56
        .size:           8
        .value_kind:     global_buffer
      - .offset:         64
        .size:           8
        .value_kind:     by_value
      - .address_space:  global
        .offset:         72
        .size:           8
        .value_kind:     global_buffer
      - .offset:         80
        .size:           4
        .value_kind:     by_value
      - .offset:         84
        .size:           1
        .value_kind:     by_value
      - .offset:         88
        .size:           4
        .value_kind:     hidden_block_count_x
      - .offset:         92
        .size:           4
        .value_kind:     hidden_block_count_y
      - .offset:         96
        .size:           4
        .value_kind:     hidden_block_count_z
      - .offset:         100
        .size:           2
        .value_kind:     hidden_group_size_x
      - .offset:         102
        .size:           2
        .value_kind:     hidden_group_size_y
      - .offset:         104
        .size:           2
        .value_kind:     hidden_group_size_z
      - .offset:         106
        .size:           2
        .value_kind:     hidden_remainder_x
      - .offset:         108
        .size:           2
        .value_kind:     hidden_remainder_y
      - .offset:         110
        .size:           2
        .value_kind:     hidden_remainder_z
      - .offset:         128
        .size:           8
        .value_kind:     hidden_global_offset_x
      - .offset:         136
        .size:           8
        .value_kind:     hidden_global_offset_y
      - .offset:         144
        .size:           8
        .value_kind:     hidden_global_offset_z
      - .offset:         152
        .size:           2
        .value_kind:     hidden_grid_dims
      - .offset:         208
        .size:           4
        .value_kind:     hidden_dynamic_lds_size
    .group_segment_fixed_size: 4096
    .kernarg_segment_align: 8
    .kernarg_segment_size: 344
    .language:       OpenCL C
    .language_version:
      - 2
      - 0
    .max_flat_workgroup_size: 256
    .name:           _ZN9rocsparseL27csrmvn_symm_adaptive_kernelIiiaaiiEEvbT_S1_PKS1_NS_24const_host_device_scalarIT4_EES3_PKT0_PKT1_PKT2_S6_PT3_21rocsparse_index_base_b
    .private_segment_fixed_size: 0
    .sgpr_count:     36
    .sgpr_spill_count: 0
    .symbol:         _ZN9rocsparseL27csrmvn_symm_adaptive_kernelIiiaaiiEEvbT_S1_PKS1_NS_24const_host_device_scalarIT4_EES3_PKT0_PKT1_PKT2_S6_PT3_21rocsparse_index_base_b.kd
    .uniform_work_group_size: 1
    .uses_dynamic_stack: false
    .vgpr_count:     19
    .vgpr_spill_count: 0
    .wavefront_size: 32
    .workgroup_processor_mode: 1
  - .args:
      - .offset:         0
        .size:           1
        .value_kind:     by_value
      - .offset:         4
        .size:           4
        .value_kind:     by_value
      - .actual_access:  read_only
        .address_space:  global
        .offset:         8
        .size:           8
        .value_kind:     global_buffer
      - .offset:         16
        .size:           8
        .value_kind:     by_value
      - .actual_access:  read_only
        .address_space:  global
        .offset:         24
        .size:           8
        .value_kind:     global_buffer
      - .actual_access:  read_only
        .address_space:  global
        .offset:         32
        .size:           8
        .value_kind:     global_buffer
      - .actual_access:  read_only
        .address_space:  global
        .offset:         40
        .size:           8
        .value_kind:     global_buffer
      - .actual_access:  read_only
        .address_space:  global
        .offset:         48
        .size:           8
        .value_kind:     global_buffer
      - .offset:         56
        .size:           8
        .value_kind:     by_value
      - .address_space:  global
        .offset:         64
        .size:           8
        .value_kind:     global_buffer
      - .offset:         72
        .size:           4
        .value_kind:     by_value
      - .offset:         76
        .size:           1
        .value_kind:     by_value
    .group_segment_fixed_size: 4096
    .kernarg_segment_align: 8
    .kernarg_segment_size: 80
    .language:       OpenCL C
    .language_version:
      - 2
      - 0
    .max_flat_workgroup_size: 256
    .name:           _ZL33csrmvn_symm_large_adaptive_kernelIiiaaiiEvbT_PKS0_N9rocsparse24const_host_device_scalarIT4_EES2_PKT0_PKT1_PKT2_S6_PT3_21rocsparse_index_base_b
    .private_segment_fixed_size: 0
    .sgpr_count:     32
    .sgpr_spill_count: 0
    .symbol:         _ZL33csrmvn_symm_large_adaptive_kernelIiiaaiiEvbT_PKS0_N9rocsparse24const_host_device_scalarIT4_EES2_PKT0_PKT1_PKT2_S6_PT3_21rocsparse_index_base_b.kd
    .uniform_work_group_size: 1
    .uses_dynamic_stack: false
    .vgpr_count:     12
    .vgpr_spill_count: 0
    .wavefront_size: 32
    .workgroup_processor_mode: 1
  - .args:
      - .offset:         0
        .size:           1
        .value_kind:     by_value
      - .offset:         8
        .size:           8
        .value_kind:     by_value
      - .actual_access:  read_only
        .address_space:  global
        .offset:         16
        .size:           8
        .value_kind:     global_buffer
      - .address_space:  global
        .offset:         24
        .size:           8
        .value_kind:     global_buffer
      - .actual_access:  read_only
        .address_space:  global
        .offset:         32
        .size:           8
        .value_kind:     global_buffer
      - .offset:         40
        .size:           8
        .value_kind:     by_value
      - .actual_access:  read_only
        .address_space:  global
        .offset:         48
        .size:           8
        .value_kind:     global_buffer
      - .actual_access:  read_only
        .address_space:  global
        .offset:         56
        .size:           8
        .value_kind:     global_buffer
      - .actual_access:  read_only
        .address_space:  global
        .offset:         64
        .size:           8
        .value_kind:     global_buffer
      - .actual_access:  read_only
        .address_space:  global
        .offset:         72
        .size:           8
        .value_kind:     global_buffer
      - .offset:         80
        .size:           8
        .value_kind:     by_value
      - .address_space:  global
        .offset:         88
        .size:           8
        .value_kind:     global_buffer
      - .offset:         96
        .size:           4
        .value_kind:     by_value
      - .offset:         100
        .size:           1
        .value_kind:     by_value
    .group_segment_fixed_size: 4096
    .kernarg_segment_align: 8
    .kernarg_segment_size: 104
    .language:       OpenCL C
    .language_version:
      - 2
      - 0
    .max_flat_workgroup_size: 256
    .name:           _ZN9rocsparseL22csrmvn_adaptive_kernelIliaaiiEEvbT_PKS1_PjPKT0_NS_24const_host_device_scalarIT4_EES3_S7_PKT1_PKT2_SA_PT3_21rocsparse_index_base_b
    .private_segment_fixed_size: 0
    .sgpr_count:     50
    .sgpr_spill_count: 0
    .symbol:         _ZN9rocsparseL22csrmvn_adaptive_kernelIliaaiiEEvbT_PKS1_PjPKT0_NS_24const_host_device_scalarIT4_EES3_S7_PKT1_PKT2_SA_PT3_21rocsparse_index_base_b.kd
    .uniform_work_group_size: 1
    .uses_dynamic_stack: false
    .vgpr_count:     16
    .vgpr_spill_count: 0
    .wavefront_size: 32
    .workgroup_processor_mode: 1
  - .args:
      - .offset:         0
        .size:           1
        .value_kind:     by_value
      - .offset:         8
        .size:           8
        .value_kind:     by_value
      - .offset:         16
        .size:           8
        .value_kind:     by_value
      - .actual_access:  read_only
        .address_space:  global
        .offset:         24
        .size:           8
        .value_kind:     global_buffer
      - .offset:         32
        .size:           8
        .value_kind:     by_value
      - .actual_access:  read_only
        .address_space:  global
        .offset:         40
        .size:           8
        .value_kind:     global_buffer
      - .actual_access:  read_only
        .address_space:  global
        .offset:         48
        .size:           8
        .value_kind:     global_buffer
      - .actual_access:  read_only
        .address_space:  global
        .offset:         56
        .size:           8
        .value_kind:     global_buffer
      - .actual_access:  read_only
        .address_space:  global
        .offset:         64
        .size:           8
        .value_kind:     global_buffer
      - .offset:         72
        .size:           8
        .value_kind:     by_value
      - .address_space:  global
        .offset:         80
        .size:           8
        .value_kind:     global_buffer
      - .offset:         88
        .size:           4
        .value_kind:     by_value
      - .offset:         92
        .size:           1
        .value_kind:     by_value
      - .offset:         96
        .size:           4
        .value_kind:     hidden_block_count_x
      - .offset:         100
        .size:           4
        .value_kind:     hidden_block_count_y
      - .offset:         104
        .size:           4
        .value_kind:     hidden_block_count_z
      - .offset:         108
        .size:           2
        .value_kind:     hidden_group_size_x
      - .offset:         110
        .size:           2
        .value_kind:     hidden_group_size_y
      - .offset:         112
        .size:           2
        .value_kind:     hidden_group_size_z
      - .offset:         114
        .size:           2
        .value_kind:     hidden_remainder_x
      - .offset:         116
        .size:           2
        .value_kind:     hidden_remainder_y
      - .offset:         118
        .size:           2
        .value_kind:     hidden_remainder_z
      - .offset:         136
        .size:           8
        .value_kind:     hidden_global_offset_x
      - .offset:         144
        .size:           8
        .value_kind:     hidden_global_offset_y
      - .offset:         152
        .size:           8
        .value_kind:     hidden_global_offset_z
      - .offset:         160
        .size:           2
        .value_kind:     hidden_grid_dims
      - .offset:         216
        .size:           4
        .value_kind:     hidden_dynamic_lds_size
    .group_segment_fixed_size: 4096
    .kernarg_segment_align: 8
    .kernarg_segment_size: 352
    .language:       OpenCL C
    .language_version:
      - 2
      - 0
    .max_flat_workgroup_size: 256
    .name:           _ZN9rocsparseL27csrmvn_symm_adaptive_kernelIliaaiiEEvbT_S1_PKS1_NS_24const_host_device_scalarIT4_EES3_PKT0_PKT1_PKT2_S6_PT3_21rocsparse_index_base_b
    .private_segment_fixed_size: 0
    .sgpr_count:     43
    .sgpr_spill_count: 0
    .symbol:         _ZN9rocsparseL27csrmvn_symm_adaptive_kernelIliaaiiEEvbT_S1_PKS1_NS_24const_host_device_scalarIT4_EES3_PKT0_PKT1_PKT2_S6_PT3_21rocsparse_index_base_b.kd
    .uniform_work_group_size: 1
    .uses_dynamic_stack: false
    .vgpr_count:     24
    .vgpr_spill_count: 0
    .wavefront_size: 32
    .workgroup_processor_mode: 1
  - .args:
      - .offset:         0
        .size:           1
        .value_kind:     by_value
      - .offset:         8
        .size:           8
        .value_kind:     by_value
      - .actual_access:  read_only
        .address_space:  global
        .offset:         16
        .size:           8
        .value_kind:     global_buffer
      - .offset:         24
        .size:           8
        .value_kind:     by_value
      - .actual_access:  read_only
        .address_space:  global
        .offset:         32
        .size:           8
        .value_kind:     global_buffer
      - .actual_access:  read_only
        .address_space:  global
        .offset:         40
        .size:           8
        .value_kind:     global_buffer
      - .actual_access:  read_only
        .address_space:  global
        .offset:         48
        .size:           8
        .value_kind:     global_buffer
      - .actual_access:  read_only
        .address_space:  global
        .offset:         56
        .size:           8
        .value_kind:     global_buffer
      - .offset:         64
        .size:           8
        .value_kind:     by_value
      - .address_space:  global
        .offset:         72
        .size:           8
        .value_kind:     global_buffer
      - .offset:         80
        .size:           4
        .value_kind:     by_value
      - .offset:         84
        .size:           1
        .value_kind:     by_value
    .group_segment_fixed_size: 4096
    .kernarg_segment_align: 8
    .kernarg_segment_size: 88
    .language:       OpenCL C
    .language_version:
      - 2
      - 0
    .max_flat_workgroup_size: 256
    .name:           _ZL33csrmvn_symm_large_adaptive_kernelIliaaiiEvbT_PKS0_N9rocsparse24const_host_device_scalarIT4_EES2_PKT0_PKT1_PKT2_S6_PT3_21rocsparse_index_base_b
    .private_segment_fixed_size: 0
    .sgpr_count:     38
    .sgpr_spill_count: 0
    .symbol:         _ZL33csrmvn_symm_large_adaptive_kernelIliaaiiEvbT_PKS0_N9rocsparse24const_host_device_scalarIT4_EES2_PKT0_PKT1_PKT2_S6_PT3_21rocsparse_index_base_b.kd
    .uniform_work_group_size: 1
    .uses_dynamic_stack: false
    .vgpr_count:     13
    .vgpr_spill_count: 0
    .wavefront_size: 32
    .workgroup_processor_mode: 1
  - .args:
      - .offset:         0
        .size:           1
        .value_kind:     by_value
      - .offset:         8
        .size:           8
        .value_kind:     by_value
      - .actual_access:  read_only
        .address_space:  global
        .offset:         16
        .size:           8
        .value_kind:     global_buffer
      - .address_space:  global
        .offset:         24
        .size:           8
        .value_kind:     global_buffer
      - .actual_access:  read_only
        .address_space:  global
        .offset:         32
        .size:           8
        .value_kind:     global_buffer
      - .offset:         40
        .size:           8
        .value_kind:     by_value
      - .actual_access:  read_only
        .address_space:  global
        .offset:         48
        .size:           8
        .value_kind:     global_buffer
      - .actual_access:  read_only
        .address_space:  global
        .offset:         56
        .size:           8
        .value_kind:     global_buffer
      - .actual_access:  read_only
        .address_space:  global
        .offset:         64
        .size:           8
        .value_kind:     global_buffer
      - .actual_access:  read_only
        .address_space:  global
        .offset:         72
        .size:           8
        .value_kind:     global_buffer
      - .offset:         80
        .size:           8
        .value_kind:     by_value
      - .address_space:  global
        .offset:         88
        .size:           8
        .value_kind:     global_buffer
      - .offset:         96
        .size:           4
        .value_kind:     by_value
      - .offset:         100
        .size:           1
        .value_kind:     by_value
    .group_segment_fixed_size: 4096
    .kernarg_segment_align: 8
    .kernarg_segment_size: 104
    .language:       OpenCL C
    .language_version:
      - 2
      - 0
    .max_flat_workgroup_size: 256
    .name:           _ZN9rocsparseL22csrmvn_adaptive_kernelIllaaiiEEvbT_PKS1_PjPKT0_NS_24const_host_device_scalarIT4_EES3_S7_PKT1_PKT2_SA_PT3_21rocsparse_index_base_b
    .private_segment_fixed_size: 0
    .sgpr_count:     50
    .sgpr_spill_count: 0
    .symbol:         _ZN9rocsparseL22csrmvn_adaptive_kernelIllaaiiEEvbT_PKS1_PjPKT0_NS_24const_host_device_scalarIT4_EES3_S7_PKT1_PKT2_SA_PT3_21rocsparse_index_base_b.kd
    .uniform_work_group_size: 1
    .uses_dynamic_stack: false
    .vgpr_count:     16
    .vgpr_spill_count: 0
    .wavefront_size: 32
    .workgroup_processor_mode: 1
  - .args:
      - .offset:         0
        .size:           8
        .value_kind:     by_value
      - .offset:         8
        .size:           8
        .value_kind:     by_value
      - .offset:         16
        .size:           8
        .value_kind:     by_value
      - .offset:         24
        .size:           8
        .value_kind:     by_value
      - .address_space:  global
        .offset:         32
        .size:           8
        .value_kind:     global_buffer
      - .offset:         40
        .size:           1
        .value_kind:     by_value
    .group_segment_fixed_size: 0
    .kernarg_segment_align: 8
    .kernarg_segment_size: 44
    .language:       OpenCL C
    .language_version:
      - 2
      - 0
    .max_flat_workgroup_size: 256
    .name:           _ZN9rocsparseL22partial_scale_y_kernelIliiEEvT_S1_S1_NS_24const_host_device_scalarIT1_EEPT0_b
    .private_segment_fixed_size: 0
    .sgpr_count:     18
    .sgpr_spill_count: 0
    .symbol:         _ZN9rocsparseL22partial_scale_y_kernelIliiEEvT_S1_S1_NS_24const_host_device_scalarIT1_EEPT0_b.kd
    .uniform_work_group_size: 1
    .uses_dynamic_stack: false
    .vgpr_count:     4
    .vgpr_spill_count: 0
    .wavefront_size: 32
    .workgroup_processor_mode: 1
  - .args:
      - .offset:         0
        .size:           1
        .value_kind:     by_value
      - .offset:         8
        .size:           8
        .value_kind:     by_value
      - .offset:         16
        .size:           8
        .value_kind:     by_value
      - .actual_access:  read_only
        .address_space:  global
        .offset:         24
        .size:           8
        .value_kind:     global_buffer
      - .offset:         32
        .size:           8
        .value_kind:     by_value
      - .actual_access:  read_only
        .address_space:  global
        .offset:         40
        .size:           8
        .value_kind:     global_buffer
      - .actual_access:  read_only
        .address_space:  global
        .offset:         48
        .size:           8
        .value_kind:     global_buffer
      - .actual_access:  read_only
        .address_space:  global
        .offset:         56
        .size:           8
        .value_kind:     global_buffer
      - .actual_access:  read_only
        .address_space:  global
        .offset:         64
        .size:           8
        .value_kind:     global_buffer
      - .offset:         72
        .size:           8
        .value_kind:     by_value
      - .address_space:  global
        .offset:         80
        .size:           8
        .value_kind:     global_buffer
      - .offset:         88
        .size:           4
        .value_kind:     by_value
      - .offset:         92
        .size:           1
        .value_kind:     by_value
      - .offset:         96
        .size:           4
        .value_kind:     hidden_block_count_x
      - .offset:         100
        .size:           4
        .value_kind:     hidden_block_count_y
      - .offset:         104
        .size:           4
        .value_kind:     hidden_block_count_z
      - .offset:         108
        .size:           2
        .value_kind:     hidden_group_size_x
      - .offset:         110
        .size:           2
        .value_kind:     hidden_group_size_y
      - .offset:         112
        .size:           2
        .value_kind:     hidden_group_size_z
      - .offset:         114
        .size:           2
        .value_kind:     hidden_remainder_x
      - .offset:         116
        .size:           2
        .value_kind:     hidden_remainder_y
      - .offset:         118
        .size:           2
        .value_kind:     hidden_remainder_z
      - .offset:         136
        .size:           8
        .value_kind:     hidden_global_offset_x
      - .offset:         144
        .size:           8
        .value_kind:     hidden_global_offset_y
      - .offset:         152
        .size:           8
        .value_kind:     hidden_global_offset_z
      - .offset:         160
        .size:           2
        .value_kind:     hidden_grid_dims
      - .offset:         216
        .size:           4
        .value_kind:     hidden_dynamic_lds_size
    .group_segment_fixed_size: 4096
    .kernarg_segment_align: 8
    .kernarg_segment_size: 352
    .language:       OpenCL C
    .language_version:
      - 2
      - 0
    .max_flat_workgroup_size: 256
    .name:           _ZN9rocsparseL27csrmvn_symm_adaptive_kernelIllaaiiEEvbT_S1_PKS1_NS_24const_host_device_scalarIT4_EES3_PKT0_PKT1_PKT2_S6_PT3_21rocsparse_index_base_b
    .private_segment_fixed_size: 0
    .sgpr_count:     43
    .sgpr_spill_count: 0
    .symbol:         _ZN9rocsparseL27csrmvn_symm_adaptive_kernelIllaaiiEEvbT_S1_PKS1_NS_24const_host_device_scalarIT4_EES3_PKT0_PKT1_PKT2_S6_PT3_21rocsparse_index_base_b.kd
    .uniform_work_group_size: 1
    .uses_dynamic_stack: false
    .vgpr_count:     24
    .vgpr_spill_count: 0
    .wavefront_size: 32
    .workgroup_processor_mode: 1
  - .args:
      - .offset:         0
        .size:           1
        .value_kind:     by_value
      - .offset:         8
        .size:           8
        .value_kind:     by_value
      - .actual_access:  read_only
        .address_space:  global
        .offset:         16
        .size:           8
        .value_kind:     global_buffer
      - .offset:         24
        .size:           8
        .value_kind:     by_value
      - .actual_access:  read_only
        .address_space:  global
        .offset:         32
        .size:           8
        .value_kind:     global_buffer
      - .actual_access:  read_only
        .address_space:  global
        .offset:         40
        .size:           8
        .value_kind:     global_buffer
      - .actual_access:  read_only
        .address_space:  global
        .offset:         48
        .size:           8
        .value_kind:     global_buffer
      - .actual_access:  read_only
        .address_space:  global
        .offset:         56
        .size:           8
        .value_kind:     global_buffer
      - .offset:         64
        .size:           8
        .value_kind:     by_value
      - .address_space:  global
        .offset:         72
        .size:           8
        .value_kind:     global_buffer
      - .offset:         80
        .size:           4
        .value_kind:     by_value
      - .offset:         84
        .size:           1
        .value_kind:     by_value
    .group_segment_fixed_size: 4096
    .kernarg_segment_align: 8
    .kernarg_segment_size: 88
    .language:       OpenCL C
    .language_version:
      - 2
      - 0
    .max_flat_workgroup_size: 256
    .name:           _ZL33csrmvn_symm_large_adaptive_kernelIllaaiiEvbT_PKS0_N9rocsparse24const_host_device_scalarIT4_EES2_PKT0_PKT1_PKT2_S6_PT3_21rocsparse_index_base_b
    .private_segment_fixed_size: 0
    .sgpr_count:     38
    .sgpr_spill_count: 0
    .symbol:         _ZL33csrmvn_symm_large_adaptive_kernelIllaaiiEvbT_PKS0_N9rocsparse24const_host_device_scalarIT4_EES2_PKT0_PKT1_PKT2_S6_PT3_21rocsparse_index_base_b.kd
    .uniform_work_group_size: 1
    .uses_dynamic_stack: false
    .vgpr_count:     13
    .vgpr_spill_count: 0
    .wavefront_size: 32
    .workgroup_processor_mode: 1
  - .args:
      - .offset:         0
        .size:           1
        .value_kind:     by_value
      - .offset:         4
        .size:           4
        .value_kind:     by_value
      - .actual_access:  read_only
        .address_space:  global
        .offset:         8
        .size:           8
        .value_kind:     global_buffer
      - .address_space:  global
        .offset:         16
        .size:           8
        .value_kind:     global_buffer
      - .actual_access:  read_only
        .address_space:  global
        .offset:         24
        .size:           8
        .value_kind:     global_buffer
      - .offset:         32
        .size:           8
        .value_kind:     by_value
      - .actual_access:  read_only
        .address_space:  global
        .offset:         40
        .size:           8
        .value_kind:     global_buffer
      - .actual_access:  read_only
        .address_space:  global
        .offset:         48
        .size:           8
        .value_kind:     global_buffer
      - .actual_access:  read_only
        .address_space:  global
        .offset:         56
        .size:           8
        .value_kind:     global_buffer
      - .actual_access:  read_only
        .address_space:  global
        .offset:         64
        .size:           8
        .value_kind:     global_buffer
      - .offset:         72
        .size:           8
        .value_kind:     by_value
      - .address_space:  global
        .offset:         80
        .size:           8
        .value_kind:     global_buffer
      - .offset:         88
        .size:           4
        .value_kind:     by_value
      - .offset:         92
        .size:           1
        .value_kind:     by_value
    .group_segment_fixed_size: 4096
    .kernarg_segment_align: 8
    .kernarg_segment_size: 96
    .language:       OpenCL C
    .language_version:
      - 2
      - 0
    .max_flat_workgroup_size: 256
    .name:           _ZN9rocsparseL22csrmvn_adaptive_kernelIiiaaffEEvbT_PKS1_PjPKT0_NS_24const_host_device_scalarIT4_EES3_S7_PKT1_PKT2_SA_PT3_21rocsparse_index_base_b
    .private_segment_fixed_size: 0
    .sgpr_count:     48
    .sgpr_spill_count: 0
    .symbol:         _ZN9rocsparseL22csrmvn_adaptive_kernelIiiaaffEEvbT_PKS1_PjPKT0_NS_24const_host_device_scalarIT4_EES3_S7_PKT1_PKT2_SA_PT3_21rocsparse_index_base_b.kd
    .uniform_work_group_size: 1
    .uses_dynamic_stack: false
    .vgpr_count:     16
    .vgpr_spill_count: 0
    .wavefront_size: 32
    .workgroup_processor_mode: 1
  - .args:
      - .offset:         0
        .size:           1
        .value_kind:     by_value
      - .offset:         4
        .size:           4
        .value_kind:     by_value
      - .offset:         8
        .size:           4
        .value_kind:     by_value
      - .actual_access:  read_only
        .address_space:  global
        .offset:         16
        .size:           8
        .value_kind:     global_buffer
      - .offset:         24
        .size:           8
        .value_kind:     by_value
      - .actual_access:  read_only
        .address_space:  global
        .offset:         32
        .size:           8
        .value_kind:     global_buffer
      - .actual_access:  read_only
        .address_space:  global
        .offset:         40
        .size:           8
        .value_kind:     global_buffer
      - .actual_access:  read_only
        .address_space:  global
        .offset:         48
        .size:           8
        .value_kind:     global_buffer
      - .actual_access:  read_only
        .address_space:  global
        .offset:         56
        .size:           8
        .value_kind:     global_buffer
      - .offset:         64
        .size:           8
        .value_kind:     by_value
      - .address_space:  global
        .offset:         72
        .size:           8
        .value_kind:     global_buffer
      - .offset:         80
        .size:           4
        .value_kind:     by_value
      - .offset:         84
        .size:           1
        .value_kind:     by_value
      - .offset:         88
        .size:           4
        .value_kind:     hidden_block_count_x
      - .offset:         92
        .size:           4
        .value_kind:     hidden_block_count_y
      - .offset:         96
        .size:           4
        .value_kind:     hidden_block_count_z
      - .offset:         100
        .size:           2
        .value_kind:     hidden_group_size_x
      - .offset:         102
        .size:           2
        .value_kind:     hidden_group_size_y
      - .offset:         104
        .size:           2
        .value_kind:     hidden_group_size_z
      - .offset:         106
        .size:           2
        .value_kind:     hidden_remainder_x
      - .offset:         108
        .size:           2
        .value_kind:     hidden_remainder_y
      - .offset:         110
        .size:           2
        .value_kind:     hidden_remainder_z
      - .offset:         128
        .size:           8
        .value_kind:     hidden_global_offset_x
      - .offset:         136
        .size:           8
        .value_kind:     hidden_global_offset_y
      - .offset:         144
        .size:           8
        .value_kind:     hidden_global_offset_z
      - .offset:         152
        .size:           2
        .value_kind:     hidden_grid_dims
      - .offset:         208
        .size:           4
        .value_kind:     hidden_dynamic_lds_size
    .group_segment_fixed_size: 4096
    .kernarg_segment_align: 8
    .kernarg_segment_size: 344
    .language:       OpenCL C
    .language_version:
      - 2
      - 0
    .max_flat_workgroup_size: 256
    .name:           _ZN9rocsparseL27csrmvn_symm_adaptive_kernelIiiaaffEEvbT_S1_PKS1_NS_24const_host_device_scalarIT4_EES3_PKT0_PKT1_PKT2_S6_PT3_21rocsparse_index_base_b
    .private_segment_fixed_size: 0
    .sgpr_count:     36
    .sgpr_spill_count: 0
    .symbol:         _ZN9rocsparseL27csrmvn_symm_adaptive_kernelIiiaaffEEvbT_S1_PKS1_NS_24const_host_device_scalarIT4_EES3_PKT0_PKT1_PKT2_S6_PT3_21rocsparse_index_base_b.kd
    .uniform_work_group_size: 1
    .uses_dynamic_stack: false
    .vgpr_count:     18
    .vgpr_spill_count: 0
    .wavefront_size: 32
    .workgroup_processor_mode: 1
  - .args:
      - .offset:         0
        .size:           1
        .value_kind:     by_value
      - .offset:         4
        .size:           4
        .value_kind:     by_value
      - .actual_access:  read_only
        .address_space:  global
        .offset:         8
        .size:           8
        .value_kind:     global_buffer
      - .offset:         16
        .size:           8
        .value_kind:     by_value
      - .actual_access:  read_only
        .address_space:  global
        .offset:         24
        .size:           8
        .value_kind:     global_buffer
      - .actual_access:  read_only
        .address_space:  global
        .offset:         32
        .size:           8
        .value_kind:     global_buffer
      - .actual_access:  read_only
        .address_space:  global
        .offset:         40
        .size:           8
        .value_kind:     global_buffer
      - .actual_access:  read_only
        .address_space:  global
        .offset:         48
        .size:           8
        .value_kind:     global_buffer
      - .offset:         56
        .size:           8
        .value_kind:     by_value
      - .address_space:  global
        .offset:         64
        .size:           8
        .value_kind:     global_buffer
      - .offset:         72
        .size:           4
        .value_kind:     by_value
      - .offset:         76
        .size:           1
        .value_kind:     by_value
    .group_segment_fixed_size: 4096
    .kernarg_segment_align: 8
    .kernarg_segment_size: 80
    .language:       OpenCL C
    .language_version:
      - 2
      - 0
    .max_flat_workgroup_size: 256
    .name:           _ZL33csrmvn_symm_large_adaptive_kernelIiiaaffEvbT_PKS0_N9rocsparse24const_host_device_scalarIT4_EES2_PKT0_PKT1_PKT2_S6_PT3_21rocsparse_index_base_b
    .private_segment_fixed_size: 0
    .sgpr_count:     32
    .sgpr_spill_count: 0
    .symbol:         _ZL33csrmvn_symm_large_adaptive_kernelIiiaaffEvbT_PKS0_N9rocsparse24const_host_device_scalarIT4_EES2_PKT0_PKT1_PKT2_S6_PT3_21rocsparse_index_base_b.kd
    .uniform_work_group_size: 1
    .uses_dynamic_stack: false
    .vgpr_count:     12
    .vgpr_spill_count: 0
    .wavefront_size: 32
    .workgroup_processor_mode: 1
  - .args:
      - .offset:         0
        .size:           1
        .value_kind:     by_value
      - .offset:         8
        .size:           8
        .value_kind:     by_value
      - .actual_access:  read_only
        .address_space:  global
        .offset:         16
        .size:           8
        .value_kind:     global_buffer
      - .address_space:  global
        .offset:         24
        .size:           8
        .value_kind:     global_buffer
      - .actual_access:  read_only
        .address_space:  global
        .offset:         32
        .size:           8
        .value_kind:     global_buffer
      - .offset:         40
        .size:           8
        .value_kind:     by_value
      - .actual_access:  read_only
        .address_space:  global
        .offset:         48
        .size:           8
        .value_kind:     global_buffer
      - .actual_access:  read_only
        .address_space:  global
        .offset:         56
        .size:           8
        .value_kind:     global_buffer
      - .actual_access:  read_only
        .address_space:  global
        .offset:         64
        .size:           8
        .value_kind:     global_buffer
      - .actual_access:  read_only
        .address_space:  global
        .offset:         72
        .size:           8
        .value_kind:     global_buffer
      - .offset:         80
        .size:           8
        .value_kind:     by_value
      - .address_space:  global
        .offset:         88
        .size:           8
        .value_kind:     global_buffer
      - .offset:         96
        .size:           4
        .value_kind:     by_value
      - .offset:         100
        .size:           1
        .value_kind:     by_value
    .group_segment_fixed_size: 4096
    .kernarg_segment_align: 8
    .kernarg_segment_size: 104
    .language:       OpenCL C
    .language_version:
      - 2
      - 0
    .max_flat_workgroup_size: 256
    .name:           _ZN9rocsparseL22csrmvn_adaptive_kernelIliaaffEEvbT_PKS1_PjPKT0_NS_24const_host_device_scalarIT4_EES3_S7_PKT1_PKT2_SA_PT3_21rocsparse_index_base_b
    .private_segment_fixed_size: 0
    .sgpr_count:     52
    .sgpr_spill_count: 0
    .symbol:         _ZN9rocsparseL22csrmvn_adaptive_kernelIliaaffEEvbT_PKS1_PjPKT0_NS_24const_host_device_scalarIT4_EES3_S7_PKT1_PKT2_SA_PT3_21rocsparse_index_base_b.kd
    .uniform_work_group_size: 1
    .uses_dynamic_stack: false
    .vgpr_count:     16
    .vgpr_spill_count: 0
    .wavefront_size: 32
    .workgroup_processor_mode: 1
  - .args:
      - .offset:         0
        .size:           1
        .value_kind:     by_value
      - .offset:         8
        .size:           8
        .value_kind:     by_value
      - .offset:         16
        .size:           8
        .value_kind:     by_value
      - .actual_access:  read_only
        .address_space:  global
        .offset:         24
        .size:           8
        .value_kind:     global_buffer
      - .offset:         32
        .size:           8
        .value_kind:     by_value
      - .actual_access:  read_only
        .address_space:  global
        .offset:         40
        .size:           8
        .value_kind:     global_buffer
      - .actual_access:  read_only
        .address_space:  global
        .offset:         48
        .size:           8
        .value_kind:     global_buffer
      - .actual_access:  read_only
        .address_space:  global
        .offset:         56
        .size:           8
        .value_kind:     global_buffer
      - .actual_access:  read_only
        .address_space:  global
        .offset:         64
        .size:           8
        .value_kind:     global_buffer
      - .offset:         72
        .size:           8
        .value_kind:     by_value
      - .address_space:  global
        .offset:         80
        .size:           8
        .value_kind:     global_buffer
      - .offset:         88
        .size:           4
        .value_kind:     by_value
      - .offset:         92
        .size:           1
        .value_kind:     by_value
      - .offset:         96
        .size:           4
        .value_kind:     hidden_block_count_x
      - .offset:         100
        .size:           4
        .value_kind:     hidden_block_count_y
      - .offset:         104
        .size:           4
        .value_kind:     hidden_block_count_z
      - .offset:         108
        .size:           2
        .value_kind:     hidden_group_size_x
      - .offset:         110
        .size:           2
        .value_kind:     hidden_group_size_y
      - .offset:         112
        .size:           2
        .value_kind:     hidden_group_size_z
      - .offset:         114
        .size:           2
        .value_kind:     hidden_remainder_x
      - .offset:         116
        .size:           2
        .value_kind:     hidden_remainder_y
      - .offset:         118
        .size:           2
        .value_kind:     hidden_remainder_z
      - .offset:         136
        .size:           8
        .value_kind:     hidden_global_offset_x
      - .offset:         144
        .size:           8
        .value_kind:     hidden_global_offset_y
      - .offset:         152
        .size:           8
        .value_kind:     hidden_global_offset_z
      - .offset:         160
        .size:           2
        .value_kind:     hidden_grid_dims
      - .offset:         216
        .size:           4
        .value_kind:     hidden_dynamic_lds_size
    .group_segment_fixed_size: 4096
    .kernarg_segment_align: 8
    .kernarg_segment_size: 352
    .language:       OpenCL C
    .language_version:
      - 2
      - 0
    .max_flat_workgroup_size: 256
    .name:           _ZN9rocsparseL27csrmvn_symm_adaptive_kernelIliaaffEEvbT_S1_PKS1_NS_24const_host_device_scalarIT4_EES3_PKT0_PKT1_PKT2_S6_PT3_21rocsparse_index_base_b
    .private_segment_fixed_size: 0
    .sgpr_count:     43
    .sgpr_spill_count: 0
    .symbol:         _ZN9rocsparseL27csrmvn_symm_adaptive_kernelIliaaffEEvbT_S1_PKS1_NS_24const_host_device_scalarIT4_EES3_PKT0_PKT1_PKT2_S6_PT3_21rocsparse_index_base_b.kd
    .uniform_work_group_size: 1
    .uses_dynamic_stack: false
    .vgpr_count:     24
    .vgpr_spill_count: 0
    .wavefront_size: 32
    .workgroup_processor_mode: 1
  - .args:
      - .offset:         0
        .size:           1
        .value_kind:     by_value
      - .offset:         8
        .size:           8
        .value_kind:     by_value
      - .actual_access:  read_only
        .address_space:  global
        .offset:         16
        .size:           8
        .value_kind:     global_buffer
      - .offset:         24
        .size:           8
        .value_kind:     by_value
      - .actual_access:  read_only
        .address_space:  global
        .offset:         32
        .size:           8
        .value_kind:     global_buffer
      - .actual_access:  read_only
        .address_space:  global
        .offset:         40
        .size:           8
        .value_kind:     global_buffer
      - .actual_access:  read_only
        .address_space:  global
        .offset:         48
        .size:           8
        .value_kind:     global_buffer
      - .actual_access:  read_only
        .address_space:  global
        .offset:         56
        .size:           8
        .value_kind:     global_buffer
      - .offset:         64
        .size:           8
        .value_kind:     by_value
      - .address_space:  global
        .offset:         72
        .size:           8
        .value_kind:     global_buffer
      - .offset:         80
        .size:           4
        .value_kind:     by_value
      - .offset:         84
        .size:           1
        .value_kind:     by_value
    .group_segment_fixed_size: 4096
    .kernarg_segment_align: 8
    .kernarg_segment_size: 88
    .language:       OpenCL C
    .language_version:
      - 2
      - 0
    .max_flat_workgroup_size: 256
    .name:           _ZL33csrmvn_symm_large_adaptive_kernelIliaaffEvbT_PKS0_N9rocsparse24const_host_device_scalarIT4_EES2_PKT0_PKT1_PKT2_S6_PT3_21rocsparse_index_base_b
    .private_segment_fixed_size: 0
    .sgpr_count:     38
    .sgpr_spill_count: 0
    .symbol:         _ZL33csrmvn_symm_large_adaptive_kernelIliaaffEvbT_PKS0_N9rocsparse24const_host_device_scalarIT4_EES2_PKT0_PKT1_PKT2_S6_PT3_21rocsparse_index_base_b.kd
    .uniform_work_group_size: 1
    .uses_dynamic_stack: false
    .vgpr_count:     13
    .vgpr_spill_count: 0
    .wavefront_size: 32
    .workgroup_processor_mode: 1
  - .args:
      - .offset:         0
        .size:           1
        .value_kind:     by_value
      - .offset:         8
        .size:           8
        .value_kind:     by_value
      - .actual_access:  read_only
        .address_space:  global
        .offset:         16
        .size:           8
        .value_kind:     global_buffer
      - .address_space:  global
        .offset:         24
        .size:           8
        .value_kind:     global_buffer
      - .actual_access:  read_only
        .address_space:  global
        .offset:         32
        .size:           8
        .value_kind:     global_buffer
      - .offset:         40
        .size:           8
        .value_kind:     by_value
      - .actual_access:  read_only
        .address_space:  global
        .offset:         48
        .size:           8
        .value_kind:     global_buffer
      - .actual_access:  read_only
        .address_space:  global
        .offset:         56
        .size:           8
        .value_kind:     global_buffer
      - .actual_access:  read_only
        .address_space:  global
        .offset:         64
        .size:           8
        .value_kind:     global_buffer
      - .actual_access:  read_only
        .address_space:  global
        .offset:         72
        .size:           8
        .value_kind:     global_buffer
      - .offset:         80
        .size:           8
        .value_kind:     by_value
      - .address_space:  global
        .offset:         88
        .size:           8
        .value_kind:     global_buffer
      - .offset:         96
        .size:           4
        .value_kind:     by_value
      - .offset:         100
        .size:           1
        .value_kind:     by_value
    .group_segment_fixed_size: 4096
    .kernarg_segment_align: 8
    .kernarg_segment_size: 104
    .language:       OpenCL C
    .language_version:
      - 2
      - 0
    .max_flat_workgroup_size: 256
    .name:           _ZN9rocsparseL22csrmvn_adaptive_kernelIllaaffEEvbT_PKS1_PjPKT0_NS_24const_host_device_scalarIT4_EES3_S7_PKT1_PKT2_SA_PT3_21rocsparse_index_base_b
    .private_segment_fixed_size: 0
    .sgpr_count:     52
    .sgpr_spill_count: 0
    .symbol:         _ZN9rocsparseL22csrmvn_adaptive_kernelIllaaffEEvbT_PKS1_PjPKT0_NS_24const_host_device_scalarIT4_EES3_S7_PKT1_PKT2_SA_PT3_21rocsparse_index_base_b.kd
    .uniform_work_group_size: 1
    .uses_dynamic_stack: false
    .vgpr_count:     16
    .vgpr_spill_count: 0
    .wavefront_size: 32
    .workgroup_processor_mode: 1
  - .args:
      - .offset:         0
        .size:           1
        .value_kind:     by_value
      - .offset:         8
        .size:           8
        .value_kind:     by_value
      - .offset:         16
        .size:           8
        .value_kind:     by_value
      - .actual_access:  read_only
        .address_space:  global
        .offset:         24
        .size:           8
        .value_kind:     global_buffer
      - .offset:         32
        .size:           8
        .value_kind:     by_value
      - .actual_access:  read_only
        .address_space:  global
        .offset:         40
        .size:           8
        .value_kind:     global_buffer
      - .actual_access:  read_only
        .address_space:  global
        .offset:         48
        .size:           8
        .value_kind:     global_buffer
      - .actual_access:  read_only
        .address_space:  global
        .offset:         56
        .size:           8
        .value_kind:     global_buffer
      - .actual_access:  read_only
        .address_space:  global
        .offset:         64
        .size:           8
        .value_kind:     global_buffer
      - .offset:         72
        .size:           8
        .value_kind:     by_value
      - .address_space:  global
        .offset:         80
        .size:           8
        .value_kind:     global_buffer
      - .offset:         88
        .size:           4
        .value_kind:     by_value
      - .offset:         92
        .size:           1
        .value_kind:     by_value
      - .offset:         96
        .size:           4
        .value_kind:     hidden_block_count_x
      - .offset:         100
        .size:           4
        .value_kind:     hidden_block_count_y
      - .offset:         104
        .size:           4
        .value_kind:     hidden_block_count_z
      - .offset:         108
        .size:           2
        .value_kind:     hidden_group_size_x
      - .offset:         110
        .size:           2
        .value_kind:     hidden_group_size_y
      - .offset:         112
        .size:           2
        .value_kind:     hidden_group_size_z
      - .offset:         114
        .size:           2
        .value_kind:     hidden_remainder_x
      - .offset:         116
        .size:           2
        .value_kind:     hidden_remainder_y
      - .offset:         118
        .size:           2
        .value_kind:     hidden_remainder_z
      - .offset:         136
        .size:           8
        .value_kind:     hidden_global_offset_x
      - .offset:         144
        .size:           8
        .value_kind:     hidden_global_offset_y
      - .offset:         152
        .size:           8
        .value_kind:     hidden_global_offset_z
      - .offset:         160
        .size:           2
        .value_kind:     hidden_grid_dims
      - .offset:         216
        .size:           4
        .value_kind:     hidden_dynamic_lds_size
    .group_segment_fixed_size: 4096
    .kernarg_segment_align: 8
    .kernarg_segment_size: 352
    .language:       OpenCL C
    .language_version:
      - 2
      - 0
    .max_flat_workgroup_size: 256
    .name:           _ZN9rocsparseL27csrmvn_symm_adaptive_kernelIllaaffEEvbT_S1_PKS1_NS_24const_host_device_scalarIT4_EES3_PKT0_PKT1_PKT2_S6_PT3_21rocsparse_index_base_b
    .private_segment_fixed_size: 0
    .sgpr_count:     43
    .sgpr_spill_count: 0
    .symbol:         _ZN9rocsparseL27csrmvn_symm_adaptive_kernelIllaaffEEvbT_S1_PKS1_NS_24const_host_device_scalarIT4_EES3_PKT0_PKT1_PKT2_S6_PT3_21rocsparse_index_base_b.kd
    .uniform_work_group_size: 1
    .uses_dynamic_stack: false
    .vgpr_count:     24
    .vgpr_spill_count: 0
    .wavefront_size: 32
    .workgroup_processor_mode: 1
  - .args:
      - .offset:         0
        .size:           1
        .value_kind:     by_value
      - .offset:         8
        .size:           8
        .value_kind:     by_value
      - .actual_access:  read_only
        .address_space:  global
        .offset:         16
        .size:           8
        .value_kind:     global_buffer
      - .offset:         24
        .size:           8
        .value_kind:     by_value
      - .actual_access:  read_only
        .address_space:  global
        .offset:         32
        .size:           8
        .value_kind:     global_buffer
      - .actual_access:  read_only
        .address_space:  global
        .offset:         40
        .size:           8
        .value_kind:     global_buffer
      - .actual_access:  read_only
        .address_space:  global
        .offset:         48
        .size:           8
        .value_kind:     global_buffer
      - .actual_access:  read_only
        .address_space:  global
        .offset:         56
        .size:           8
        .value_kind:     global_buffer
      - .offset:         64
        .size:           8
        .value_kind:     by_value
      - .address_space:  global
        .offset:         72
        .size:           8
        .value_kind:     global_buffer
      - .offset:         80
        .size:           4
        .value_kind:     by_value
      - .offset:         84
        .size:           1
        .value_kind:     by_value
    .group_segment_fixed_size: 4096
    .kernarg_segment_align: 8
    .kernarg_segment_size: 88
    .language:       OpenCL C
    .language_version:
      - 2
      - 0
    .max_flat_workgroup_size: 256
    .name:           _ZL33csrmvn_symm_large_adaptive_kernelIllaaffEvbT_PKS0_N9rocsparse24const_host_device_scalarIT4_EES2_PKT0_PKT1_PKT2_S6_PT3_21rocsparse_index_base_b
    .private_segment_fixed_size: 0
    .sgpr_count:     38
    .sgpr_spill_count: 0
    .symbol:         _ZL33csrmvn_symm_large_adaptive_kernelIllaaffEvbT_PKS0_N9rocsparse24const_host_device_scalarIT4_EES2_PKT0_PKT1_PKT2_S6_PT3_21rocsparse_index_base_b.kd
    .uniform_work_group_size: 1
    .uses_dynamic_stack: false
    .vgpr_count:     13
    .vgpr_spill_count: 0
    .wavefront_size: 32
    .workgroup_processor_mode: 1
  - .args:
      - .offset:         0
        .size:           1
        .value_kind:     by_value
      - .offset:         4
        .size:           4
        .value_kind:     by_value
      - .actual_access:  read_only
        .address_space:  global
        .offset:         8
        .size:           8
        .value_kind:     global_buffer
      - .address_space:  global
        .offset:         16
        .size:           8
        .value_kind:     global_buffer
      - .actual_access:  read_only
        .address_space:  global
        .offset:         24
        .size:           8
        .value_kind:     global_buffer
      - .offset:         32
        .size:           8
        .value_kind:     by_value
      - .actual_access:  read_only
        .address_space:  global
        .offset:         40
        .size:           8
        .value_kind:     global_buffer
      - .actual_access:  read_only
        .address_space:  global
        .offset:         48
        .size:           8
        .value_kind:     global_buffer
      - .actual_access:  read_only
        .address_space:  global
        .offset:         56
        .size:           8
        .value_kind:     global_buffer
      - .actual_access:  read_only
        .address_space:  global
        .offset:         64
        .size:           8
        .value_kind:     global_buffer
      - .offset:         72
        .size:           8
        .value_kind:     by_value
      - .address_space:  global
        .offset:         80
        .size:           8
        .value_kind:     global_buffer
      - .offset:         88
        .size:           4
        .value_kind:     by_value
      - .offset:         92
        .size:           1
        .value_kind:     by_value
    .group_segment_fixed_size: 4096
    .kernarg_segment_align: 8
    .kernarg_segment_size: 96
    .language:       OpenCL C
    .language_version:
      - 2
      - 0
    .max_flat_workgroup_size: 256
    .name:           _ZN9rocsparseL22csrmvn_adaptive_kernelIiiDF16_DF16_ffEEvbT_PKS1_PjPKT0_NS_24const_host_device_scalarIT4_EES3_S7_PKT1_PKT2_SA_PT3_21rocsparse_index_base_b
    .private_segment_fixed_size: 0
    .sgpr_count:     48
    .sgpr_spill_count: 0
    .symbol:         _ZN9rocsparseL22csrmvn_adaptive_kernelIiiDF16_DF16_ffEEvbT_PKS1_PjPKT0_NS_24const_host_device_scalarIT4_EES3_S7_PKT1_PKT2_SA_PT3_21rocsparse_index_base_b.kd
    .uniform_work_group_size: 1
    .uses_dynamic_stack: false
    .vgpr_count:     16
    .vgpr_spill_count: 0
    .wavefront_size: 32
    .workgroup_processor_mode: 1
  - .args:
      - .offset:         0
        .size:           1
        .value_kind:     by_value
      - .offset:         4
        .size:           4
        .value_kind:     by_value
      - .offset:         8
        .size:           4
        .value_kind:     by_value
      - .actual_access:  read_only
        .address_space:  global
        .offset:         16
        .size:           8
        .value_kind:     global_buffer
      - .offset:         24
        .size:           8
        .value_kind:     by_value
      - .actual_access:  read_only
        .address_space:  global
        .offset:         32
        .size:           8
        .value_kind:     global_buffer
      - .actual_access:  read_only
        .address_space:  global
        .offset:         40
        .size:           8
        .value_kind:     global_buffer
      - .actual_access:  read_only
        .address_space:  global
        .offset:         48
        .size:           8
        .value_kind:     global_buffer
      - .actual_access:  read_only
        .address_space:  global
        .offset:         56
        .size:           8
        .value_kind:     global_buffer
      - .offset:         64
        .size:           8
        .value_kind:     by_value
      - .address_space:  global
        .offset:         72
        .size:           8
        .value_kind:     global_buffer
      - .offset:         80
        .size:           4
        .value_kind:     by_value
      - .offset:         84
        .size:           1
        .value_kind:     by_value
      - .offset:         88
        .size:           4
        .value_kind:     hidden_block_count_x
      - .offset:         92
        .size:           4
        .value_kind:     hidden_block_count_y
      - .offset:         96
        .size:           4
        .value_kind:     hidden_block_count_z
      - .offset:         100
        .size:           2
        .value_kind:     hidden_group_size_x
      - .offset:         102
        .size:           2
        .value_kind:     hidden_group_size_y
      - .offset:         104
        .size:           2
        .value_kind:     hidden_group_size_z
      - .offset:         106
        .size:           2
        .value_kind:     hidden_remainder_x
      - .offset:         108
        .size:           2
        .value_kind:     hidden_remainder_y
      - .offset:         110
        .size:           2
        .value_kind:     hidden_remainder_z
      - .offset:         128
        .size:           8
        .value_kind:     hidden_global_offset_x
      - .offset:         136
        .size:           8
        .value_kind:     hidden_global_offset_y
      - .offset:         144
        .size:           8
        .value_kind:     hidden_global_offset_z
      - .offset:         152
        .size:           2
        .value_kind:     hidden_grid_dims
      - .offset:         208
        .size:           4
        .value_kind:     hidden_dynamic_lds_size
    .group_segment_fixed_size: 4096
    .kernarg_segment_align: 8
    .kernarg_segment_size: 344
    .language:       OpenCL C
    .language_version:
      - 2
      - 0
    .max_flat_workgroup_size: 256
    .name:           _ZN9rocsparseL27csrmvn_symm_adaptive_kernelIiiDF16_DF16_ffEEvbT_S1_PKS1_NS_24const_host_device_scalarIT4_EES3_PKT0_PKT1_PKT2_S6_PT3_21rocsparse_index_base_b
    .private_segment_fixed_size: 0
    .sgpr_count:     36
    .sgpr_spill_count: 0
    .symbol:         _ZN9rocsparseL27csrmvn_symm_adaptive_kernelIiiDF16_DF16_ffEEvbT_S1_PKS1_NS_24const_host_device_scalarIT4_EES3_PKT0_PKT1_PKT2_S6_PT3_21rocsparse_index_base_b.kd
    .uniform_work_group_size: 1
    .uses_dynamic_stack: false
    .vgpr_count:     18
    .vgpr_spill_count: 0
    .wavefront_size: 32
    .workgroup_processor_mode: 1
  - .args:
      - .offset:         0
        .size:           1
        .value_kind:     by_value
      - .offset:         4
        .size:           4
        .value_kind:     by_value
      - .actual_access:  read_only
        .address_space:  global
        .offset:         8
        .size:           8
        .value_kind:     global_buffer
      - .offset:         16
        .size:           8
        .value_kind:     by_value
      - .actual_access:  read_only
        .address_space:  global
        .offset:         24
        .size:           8
        .value_kind:     global_buffer
      - .actual_access:  read_only
        .address_space:  global
        .offset:         32
        .size:           8
        .value_kind:     global_buffer
      - .actual_access:  read_only
        .address_space:  global
        .offset:         40
        .size:           8
        .value_kind:     global_buffer
      - .actual_access:  read_only
        .address_space:  global
        .offset:         48
        .size:           8
        .value_kind:     global_buffer
      - .offset:         56
        .size:           8
        .value_kind:     by_value
      - .address_space:  global
        .offset:         64
        .size:           8
        .value_kind:     global_buffer
      - .offset:         72
        .size:           4
        .value_kind:     by_value
      - .offset:         76
        .size:           1
        .value_kind:     by_value
    .group_segment_fixed_size: 4096
    .kernarg_segment_align: 8
    .kernarg_segment_size: 80
    .language:       OpenCL C
    .language_version:
      - 2
      - 0
    .max_flat_workgroup_size: 256
    .name:           _ZL33csrmvn_symm_large_adaptive_kernelIiiDF16_DF16_ffEvbT_PKS0_N9rocsparse24const_host_device_scalarIT4_EES2_PKT0_PKT1_PKT2_S6_PT3_21rocsparse_index_base_b
    .private_segment_fixed_size: 0
    .sgpr_count:     32
    .sgpr_spill_count: 0
    .symbol:         _ZL33csrmvn_symm_large_adaptive_kernelIiiDF16_DF16_ffEvbT_PKS0_N9rocsparse24const_host_device_scalarIT4_EES2_PKT0_PKT1_PKT2_S6_PT3_21rocsparse_index_base_b.kd
    .uniform_work_group_size: 1
    .uses_dynamic_stack: false
    .vgpr_count:     12
    .vgpr_spill_count: 0
    .wavefront_size: 32
    .workgroup_processor_mode: 1
  - .args:
      - .offset:         0
        .size:           1
        .value_kind:     by_value
      - .offset:         8
        .size:           8
        .value_kind:     by_value
      - .actual_access:  read_only
        .address_space:  global
        .offset:         16
        .size:           8
        .value_kind:     global_buffer
      - .address_space:  global
        .offset:         24
        .size:           8
        .value_kind:     global_buffer
      - .actual_access:  read_only
        .address_space:  global
        .offset:         32
        .size:           8
        .value_kind:     global_buffer
      - .offset:         40
        .size:           8
        .value_kind:     by_value
      - .actual_access:  read_only
        .address_space:  global
        .offset:         48
        .size:           8
        .value_kind:     global_buffer
      - .actual_access:  read_only
        .address_space:  global
        .offset:         56
        .size:           8
        .value_kind:     global_buffer
      - .actual_access:  read_only
        .address_space:  global
        .offset:         64
        .size:           8
        .value_kind:     global_buffer
      - .actual_access:  read_only
        .address_space:  global
        .offset:         72
        .size:           8
        .value_kind:     global_buffer
      - .offset:         80
        .size:           8
        .value_kind:     by_value
      - .address_space:  global
        .offset:         88
        .size:           8
        .value_kind:     global_buffer
      - .offset:         96
        .size:           4
        .value_kind:     by_value
      - .offset:         100
        .size:           1
        .value_kind:     by_value
    .group_segment_fixed_size: 4096
    .kernarg_segment_align: 8
    .kernarg_segment_size: 104
    .language:       OpenCL C
    .language_version:
      - 2
      - 0
    .max_flat_workgroup_size: 256
    .name:           _ZN9rocsparseL22csrmvn_adaptive_kernelIliDF16_DF16_ffEEvbT_PKS1_PjPKT0_NS_24const_host_device_scalarIT4_EES3_S7_PKT1_PKT2_SA_PT3_21rocsparse_index_base_b
    .private_segment_fixed_size: 0
    .sgpr_count:     52
    .sgpr_spill_count: 0
    .symbol:         _ZN9rocsparseL22csrmvn_adaptive_kernelIliDF16_DF16_ffEEvbT_PKS1_PjPKT0_NS_24const_host_device_scalarIT4_EES3_S7_PKT1_PKT2_SA_PT3_21rocsparse_index_base_b.kd
    .uniform_work_group_size: 1
    .uses_dynamic_stack: false
    .vgpr_count:     16
    .vgpr_spill_count: 0
    .wavefront_size: 32
    .workgroup_processor_mode: 1
  - .args:
      - .offset:         0
        .size:           1
        .value_kind:     by_value
      - .offset:         8
        .size:           8
        .value_kind:     by_value
      - .offset:         16
        .size:           8
        .value_kind:     by_value
      - .actual_access:  read_only
        .address_space:  global
        .offset:         24
        .size:           8
        .value_kind:     global_buffer
      - .offset:         32
        .size:           8
        .value_kind:     by_value
      - .actual_access:  read_only
        .address_space:  global
        .offset:         40
        .size:           8
        .value_kind:     global_buffer
      - .actual_access:  read_only
        .address_space:  global
        .offset:         48
        .size:           8
        .value_kind:     global_buffer
      - .actual_access:  read_only
        .address_space:  global
        .offset:         56
        .size:           8
        .value_kind:     global_buffer
      - .actual_access:  read_only
        .address_space:  global
        .offset:         64
        .size:           8
        .value_kind:     global_buffer
      - .offset:         72
        .size:           8
        .value_kind:     by_value
      - .address_space:  global
        .offset:         80
        .size:           8
        .value_kind:     global_buffer
      - .offset:         88
        .size:           4
        .value_kind:     by_value
      - .offset:         92
        .size:           1
        .value_kind:     by_value
      - .offset:         96
        .size:           4
        .value_kind:     hidden_block_count_x
      - .offset:         100
        .size:           4
        .value_kind:     hidden_block_count_y
      - .offset:         104
        .size:           4
        .value_kind:     hidden_block_count_z
      - .offset:         108
        .size:           2
        .value_kind:     hidden_group_size_x
      - .offset:         110
        .size:           2
        .value_kind:     hidden_group_size_y
      - .offset:         112
        .size:           2
        .value_kind:     hidden_group_size_z
      - .offset:         114
        .size:           2
        .value_kind:     hidden_remainder_x
      - .offset:         116
        .size:           2
        .value_kind:     hidden_remainder_y
      - .offset:         118
        .size:           2
        .value_kind:     hidden_remainder_z
      - .offset:         136
        .size:           8
        .value_kind:     hidden_global_offset_x
      - .offset:         144
        .size:           8
        .value_kind:     hidden_global_offset_y
      - .offset:         152
        .size:           8
        .value_kind:     hidden_global_offset_z
      - .offset:         160
        .size:           2
        .value_kind:     hidden_grid_dims
      - .offset:         216
        .size:           4
        .value_kind:     hidden_dynamic_lds_size
    .group_segment_fixed_size: 4096
    .kernarg_segment_align: 8
    .kernarg_segment_size: 352
    .language:       OpenCL C
    .language_version:
      - 2
      - 0
    .max_flat_workgroup_size: 256
    .name:           _ZN9rocsparseL27csrmvn_symm_adaptive_kernelIliDF16_DF16_ffEEvbT_S1_PKS1_NS_24const_host_device_scalarIT4_EES3_PKT0_PKT1_PKT2_S6_PT3_21rocsparse_index_base_b
    .private_segment_fixed_size: 0
    .sgpr_count:     43
    .sgpr_spill_count: 0
    .symbol:         _ZN9rocsparseL27csrmvn_symm_adaptive_kernelIliDF16_DF16_ffEEvbT_S1_PKS1_NS_24const_host_device_scalarIT4_EES3_PKT0_PKT1_PKT2_S6_PT3_21rocsparse_index_base_b.kd
    .uniform_work_group_size: 1
    .uses_dynamic_stack: false
    .vgpr_count:     24
    .vgpr_spill_count: 0
    .wavefront_size: 32
    .workgroup_processor_mode: 1
  - .args:
      - .offset:         0
        .size:           1
        .value_kind:     by_value
      - .offset:         8
        .size:           8
        .value_kind:     by_value
      - .actual_access:  read_only
        .address_space:  global
        .offset:         16
        .size:           8
        .value_kind:     global_buffer
      - .offset:         24
        .size:           8
        .value_kind:     by_value
      - .actual_access:  read_only
        .address_space:  global
        .offset:         32
        .size:           8
        .value_kind:     global_buffer
      - .actual_access:  read_only
        .address_space:  global
        .offset:         40
        .size:           8
        .value_kind:     global_buffer
      - .actual_access:  read_only
        .address_space:  global
        .offset:         48
        .size:           8
        .value_kind:     global_buffer
      - .actual_access:  read_only
        .address_space:  global
        .offset:         56
        .size:           8
        .value_kind:     global_buffer
      - .offset:         64
        .size:           8
        .value_kind:     by_value
      - .address_space:  global
        .offset:         72
        .size:           8
        .value_kind:     global_buffer
      - .offset:         80
        .size:           4
        .value_kind:     by_value
      - .offset:         84
        .size:           1
        .value_kind:     by_value
    .group_segment_fixed_size: 4096
    .kernarg_segment_align: 8
    .kernarg_segment_size: 88
    .language:       OpenCL C
    .language_version:
      - 2
      - 0
    .max_flat_workgroup_size: 256
    .name:           _ZL33csrmvn_symm_large_adaptive_kernelIliDF16_DF16_ffEvbT_PKS0_N9rocsparse24const_host_device_scalarIT4_EES2_PKT0_PKT1_PKT2_S6_PT3_21rocsparse_index_base_b
    .private_segment_fixed_size: 0
    .sgpr_count:     38
    .sgpr_spill_count: 0
    .symbol:         _ZL33csrmvn_symm_large_adaptive_kernelIliDF16_DF16_ffEvbT_PKS0_N9rocsparse24const_host_device_scalarIT4_EES2_PKT0_PKT1_PKT2_S6_PT3_21rocsparse_index_base_b.kd
    .uniform_work_group_size: 1
    .uses_dynamic_stack: false
    .vgpr_count:     14
    .vgpr_spill_count: 0
    .wavefront_size: 32
    .workgroup_processor_mode: 1
  - .args:
      - .offset:         0
        .size:           1
        .value_kind:     by_value
      - .offset:         8
        .size:           8
        .value_kind:     by_value
      - .actual_access:  read_only
        .address_space:  global
        .offset:         16
        .size:           8
        .value_kind:     global_buffer
      - .address_space:  global
        .offset:         24
        .size:           8
        .value_kind:     global_buffer
      - .actual_access:  read_only
        .address_space:  global
        .offset:         32
        .size:           8
        .value_kind:     global_buffer
      - .offset:         40
        .size:           8
        .value_kind:     by_value
      - .actual_access:  read_only
        .address_space:  global
        .offset:         48
        .size:           8
        .value_kind:     global_buffer
      - .actual_access:  read_only
        .address_space:  global
        .offset:         56
        .size:           8
        .value_kind:     global_buffer
      - .actual_access:  read_only
        .address_space:  global
        .offset:         64
        .size:           8
        .value_kind:     global_buffer
      - .actual_access:  read_only
        .address_space:  global
        .offset:         72
        .size:           8
        .value_kind:     global_buffer
      - .offset:         80
        .size:           8
        .value_kind:     by_value
      - .address_space:  global
        .offset:         88
        .size:           8
        .value_kind:     global_buffer
      - .offset:         96
        .size:           4
        .value_kind:     by_value
      - .offset:         100
        .size:           1
        .value_kind:     by_value
    .group_segment_fixed_size: 4096
    .kernarg_segment_align: 8
    .kernarg_segment_size: 104
    .language:       OpenCL C
    .language_version:
      - 2
      - 0
    .max_flat_workgroup_size: 256
    .name:           _ZN9rocsparseL22csrmvn_adaptive_kernelIllDF16_DF16_ffEEvbT_PKS1_PjPKT0_NS_24const_host_device_scalarIT4_EES3_S7_PKT1_PKT2_SA_PT3_21rocsparse_index_base_b
    .private_segment_fixed_size: 0
    .sgpr_count:     52
    .sgpr_spill_count: 0
    .symbol:         _ZN9rocsparseL22csrmvn_adaptive_kernelIllDF16_DF16_ffEEvbT_PKS1_PjPKT0_NS_24const_host_device_scalarIT4_EES3_S7_PKT1_PKT2_SA_PT3_21rocsparse_index_base_b.kd
    .uniform_work_group_size: 1
    .uses_dynamic_stack: false
    .vgpr_count:     16
    .vgpr_spill_count: 0
    .wavefront_size: 32
    .workgroup_processor_mode: 1
  - .args:
      - .offset:         0
        .size:           1
        .value_kind:     by_value
      - .offset:         8
        .size:           8
        .value_kind:     by_value
      - .offset:         16
        .size:           8
        .value_kind:     by_value
      - .actual_access:  read_only
        .address_space:  global
        .offset:         24
        .size:           8
        .value_kind:     global_buffer
      - .offset:         32
        .size:           8
        .value_kind:     by_value
      - .actual_access:  read_only
        .address_space:  global
        .offset:         40
        .size:           8
        .value_kind:     global_buffer
      - .actual_access:  read_only
        .address_space:  global
        .offset:         48
        .size:           8
        .value_kind:     global_buffer
      - .actual_access:  read_only
        .address_space:  global
        .offset:         56
        .size:           8
        .value_kind:     global_buffer
      - .actual_access:  read_only
        .address_space:  global
        .offset:         64
        .size:           8
        .value_kind:     global_buffer
      - .offset:         72
        .size:           8
        .value_kind:     by_value
      - .address_space:  global
        .offset:         80
        .size:           8
        .value_kind:     global_buffer
      - .offset:         88
        .size:           4
        .value_kind:     by_value
      - .offset:         92
        .size:           1
        .value_kind:     by_value
      - .offset:         96
        .size:           4
        .value_kind:     hidden_block_count_x
      - .offset:         100
        .size:           4
        .value_kind:     hidden_block_count_y
      - .offset:         104
        .size:           4
        .value_kind:     hidden_block_count_z
      - .offset:         108
        .size:           2
        .value_kind:     hidden_group_size_x
      - .offset:         110
        .size:           2
        .value_kind:     hidden_group_size_y
      - .offset:         112
        .size:           2
        .value_kind:     hidden_group_size_z
      - .offset:         114
        .size:           2
        .value_kind:     hidden_remainder_x
      - .offset:         116
        .size:           2
        .value_kind:     hidden_remainder_y
      - .offset:         118
        .size:           2
        .value_kind:     hidden_remainder_z
      - .offset:         136
        .size:           8
        .value_kind:     hidden_global_offset_x
      - .offset:         144
        .size:           8
        .value_kind:     hidden_global_offset_y
      - .offset:         152
        .size:           8
        .value_kind:     hidden_global_offset_z
      - .offset:         160
        .size:           2
        .value_kind:     hidden_grid_dims
      - .offset:         216
        .size:           4
        .value_kind:     hidden_dynamic_lds_size
    .group_segment_fixed_size: 4096
    .kernarg_segment_align: 8
    .kernarg_segment_size: 352
    .language:       OpenCL C
    .language_version:
      - 2
      - 0
    .max_flat_workgroup_size: 256
    .name:           _ZN9rocsparseL27csrmvn_symm_adaptive_kernelIllDF16_DF16_ffEEvbT_S1_PKS1_NS_24const_host_device_scalarIT4_EES3_PKT0_PKT1_PKT2_S6_PT3_21rocsparse_index_base_b
    .private_segment_fixed_size: 0
    .sgpr_count:     43
    .sgpr_spill_count: 0
    .symbol:         _ZN9rocsparseL27csrmvn_symm_adaptive_kernelIllDF16_DF16_ffEEvbT_S1_PKS1_NS_24const_host_device_scalarIT4_EES3_PKT0_PKT1_PKT2_S6_PT3_21rocsparse_index_base_b.kd
    .uniform_work_group_size: 1
    .uses_dynamic_stack: false
    .vgpr_count:     24
    .vgpr_spill_count: 0
    .wavefront_size: 32
    .workgroup_processor_mode: 1
  - .args:
      - .offset:         0
        .size:           1
        .value_kind:     by_value
      - .offset:         8
        .size:           8
        .value_kind:     by_value
      - .actual_access:  read_only
        .address_space:  global
        .offset:         16
        .size:           8
        .value_kind:     global_buffer
      - .offset:         24
        .size:           8
        .value_kind:     by_value
      - .actual_access:  read_only
        .address_space:  global
        .offset:         32
        .size:           8
        .value_kind:     global_buffer
      - .actual_access:  read_only
        .address_space:  global
        .offset:         40
        .size:           8
        .value_kind:     global_buffer
      - .actual_access:  read_only
        .address_space:  global
        .offset:         48
        .size:           8
        .value_kind:     global_buffer
      - .actual_access:  read_only
        .address_space:  global
        .offset:         56
        .size:           8
        .value_kind:     global_buffer
      - .offset:         64
        .size:           8
        .value_kind:     by_value
      - .address_space:  global
        .offset:         72
        .size:           8
        .value_kind:     global_buffer
      - .offset:         80
        .size:           4
        .value_kind:     by_value
      - .offset:         84
        .size:           1
        .value_kind:     by_value
    .group_segment_fixed_size: 4096
    .kernarg_segment_align: 8
    .kernarg_segment_size: 88
    .language:       OpenCL C
    .language_version:
      - 2
      - 0
    .max_flat_workgroup_size: 256
    .name:           _ZL33csrmvn_symm_large_adaptive_kernelIllDF16_DF16_ffEvbT_PKS0_N9rocsparse24const_host_device_scalarIT4_EES2_PKT0_PKT1_PKT2_S6_PT3_21rocsparse_index_base_b
    .private_segment_fixed_size: 0
    .sgpr_count:     38
    .sgpr_spill_count: 0
    .symbol:         _ZL33csrmvn_symm_large_adaptive_kernelIllDF16_DF16_ffEvbT_PKS0_N9rocsparse24const_host_device_scalarIT4_EES2_PKT0_PKT1_PKT2_S6_PT3_21rocsparse_index_base_b.kd
    .uniform_work_group_size: 1
    .uses_dynamic_stack: false
    .vgpr_count:     14
    .vgpr_spill_count: 0
    .wavefront_size: 32
    .workgroup_processor_mode: 1
  - .args:
      - .offset:         0
        .size:           1
        .value_kind:     by_value
      - .offset:         4
        .size:           4
        .value_kind:     by_value
      - .actual_access:  read_only
        .address_space:  global
        .offset:         8
        .size:           8
        .value_kind:     global_buffer
      - .address_space:  global
        .offset:         16
        .size:           8
        .value_kind:     global_buffer
      - .actual_access:  read_only
        .address_space:  global
        .offset:         24
        .size:           8
        .value_kind:     global_buffer
      - .offset:         32
        .size:           8
        .value_kind:     by_value
      - .actual_access:  read_only
        .address_space:  global
        .offset:         40
        .size:           8
        .value_kind:     global_buffer
      - .actual_access:  read_only
        .address_space:  global
        .offset:         48
        .size:           8
        .value_kind:     global_buffer
      - .actual_access:  read_only
        .address_space:  global
        .offset:         56
        .size:           8
        .value_kind:     global_buffer
      - .actual_access:  read_only
        .address_space:  global
        .offset:         64
        .size:           8
        .value_kind:     global_buffer
      - .offset:         72
        .size:           8
        .value_kind:     by_value
      - .address_space:  global
        .offset:         80
        .size:           8
        .value_kind:     global_buffer
      - .offset:         88
        .size:           4
        .value_kind:     by_value
      - .offset:         92
        .size:           1
        .value_kind:     by_value
    .group_segment_fixed_size: 4096
    .kernarg_segment_align: 8
    .kernarg_segment_size: 96
    .language:       OpenCL C
    .language_version:
      - 2
      - 0
    .max_flat_workgroup_size: 256
    .name:           _ZN9rocsparseL22csrmvn_adaptive_kernelIii18rocsparse_bfloat16S1_ffEEvbT_PKS2_PjPKT0_NS_24const_host_device_scalarIT4_EES4_S8_PKT1_PKT2_SB_PT3_21rocsparse_index_base_b
    .private_segment_fixed_size: 0
    .sgpr_count:     48
    .sgpr_spill_count: 0
    .symbol:         _ZN9rocsparseL22csrmvn_adaptive_kernelIii18rocsparse_bfloat16S1_ffEEvbT_PKS2_PjPKT0_NS_24const_host_device_scalarIT4_EES4_S8_PKT1_PKT2_SB_PT3_21rocsparse_index_base_b.kd
    .uniform_work_group_size: 1
    .uses_dynamic_stack: false
    .vgpr_count:     16
    .vgpr_spill_count: 0
    .wavefront_size: 32
    .workgroup_processor_mode: 1
  - .args:
      - .offset:         0
        .size:           1
        .value_kind:     by_value
      - .offset:         4
        .size:           4
        .value_kind:     by_value
      - .offset:         8
        .size:           4
        .value_kind:     by_value
      - .actual_access:  read_only
        .address_space:  global
        .offset:         16
        .size:           8
        .value_kind:     global_buffer
      - .offset:         24
        .size:           8
        .value_kind:     by_value
      - .actual_access:  read_only
        .address_space:  global
        .offset:         32
        .size:           8
        .value_kind:     global_buffer
      - .actual_access:  read_only
        .address_space:  global
        .offset:         40
        .size:           8
        .value_kind:     global_buffer
      - .actual_access:  read_only
        .address_space:  global
        .offset:         48
        .size:           8
        .value_kind:     global_buffer
      - .actual_access:  read_only
        .address_space:  global
        .offset:         56
        .size:           8
        .value_kind:     global_buffer
      - .offset:         64
        .size:           8
        .value_kind:     by_value
      - .address_space:  global
        .offset:         72
        .size:           8
        .value_kind:     global_buffer
      - .offset:         80
        .size:           4
        .value_kind:     by_value
      - .offset:         84
        .size:           1
        .value_kind:     by_value
      - .offset:         88
        .size:           4
        .value_kind:     hidden_block_count_x
      - .offset:         92
        .size:           4
        .value_kind:     hidden_block_count_y
      - .offset:         96
        .size:           4
        .value_kind:     hidden_block_count_z
      - .offset:         100
        .size:           2
        .value_kind:     hidden_group_size_x
      - .offset:         102
        .size:           2
        .value_kind:     hidden_group_size_y
      - .offset:         104
        .size:           2
        .value_kind:     hidden_group_size_z
      - .offset:         106
        .size:           2
        .value_kind:     hidden_remainder_x
      - .offset:         108
        .size:           2
        .value_kind:     hidden_remainder_y
      - .offset:         110
        .size:           2
        .value_kind:     hidden_remainder_z
      - .offset:         128
        .size:           8
        .value_kind:     hidden_global_offset_x
      - .offset:         136
        .size:           8
        .value_kind:     hidden_global_offset_y
      - .offset:         144
        .size:           8
        .value_kind:     hidden_global_offset_z
      - .offset:         152
        .size:           2
        .value_kind:     hidden_grid_dims
      - .offset:         208
        .size:           4
        .value_kind:     hidden_dynamic_lds_size
    .group_segment_fixed_size: 4096
    .kernarg_segment_align: 8
    .kernarg_segment_size: 344
    .language:       OpenCL C
    .language_version:
      - 2
      - 0
    .max_flat_workgroup_size: 256
    .name:           _ZN9rocsparseL27csrmvn_symm_adaptive_kernelIii18rocsparse_bfloat16S1_ffEEvbT_S2_PKS2_NS_24const_host_device_scalarIT4_EES4_PKT0_PKT1_PKT2_S7_PT3_21rocsparse_index_base_b
    .private_segment_fixed_size: 0
    .sgpr_count:     36
    .sgpr_spill_count: 0
    .symbol:         _ZN9rocsparseL27csrmvn_symm_adaptive_kernelIii18rocsparse_bfloat16S1_ffEEvbT_S2_PKS2_NS_24const_host_device_scalarIT4_EES4_PKT0_PKT1_PKT2_S7_PT3_21rocsparse_index_base_b.kd
    .uniform_work_group_size: 1
    .uses_dynamic_stack: false
    .vgpr_count:     18
    .vgpr_spill_count: 0
    .wavefront_size: 32
    .workgroup_processor_mode: 1
  - .args:
      - .offset:         0
        .size:           1
        .value_kind:     by_value
      - .offset:         4
        .size:           4
        .value_kind:     by_value
      - .actual_access:  read_only
        .address_space:  global
        .offset:         8
        .size:           8
        .value_kind:     global_buffer
      - .offset:         16
        .size:           8
        .value_kind:     by_value
      - .actual_access:  read_only
        .address_space:  global
        .offset:         24
        .size:           8
        .value_kind:     global_buffer
      - .actual_access:  read_only
        .address_space:  global
        .offset:         32
        .size:           8
        .value_kind:     global_buffer
      - .actual_access:  read_only
        .address_space:  global
        .offset:         40
        .size:           8
        .value_kind:     global_buffer
      - .actual_access:  read_only
        .address_space:  global
        .offset:         48
        .size:           8
        .value_kind:     global_buffer
      - .offset:         56
        .size:           8
        .value_kind:     by_value
      - .address_space:  global
        .offset:         64
        .size:           8
        .value_kind:     global_buffer
      - .offset:         72
        .size:           4
        .value_kind:     by_value
      - .offset:         76
        .size:           1
        .value_kind:     by_value
    .group_segment_fixed_size: 4096
    .kernarg_segment_align: 8
    .kernarg_segment_size: 80
    .language:       OpenCL C
    .language_version:
      - 2
      - 0
    .max_flat_workgroup_size: 256
    .name:           _ZL33csrmvn_symm_large_adaptive_kernelIii18rocsparse_bfloat16S0_ffEvbT_PKS1_N9rocsparse24const_host_device_scalarIT4_EES3_PKT0_PKT1_PKT2_S7_PT3_21rocsparse_index_base_b
    .private_segment_fixed_size: 0
    .sgpr_count:     32
    .sgpr_spill_count: 0
    .symbol:         _ZL33csrmvn_symm_large_adaptive_kernelIii18rocsparse_bfloat16S0_ffEvbT_PKS1_N9rocsparse24const_host_device_scalarIT4_EES3_PKT0_PKT1_PKT2_S7_PT3_21rocsparse_index_base_b.kd
    .uniform_work_group_size: 1
    .uses_dynamic_stack: false
    .vgpr_count:     12
    .vgpr_spill_count: 0
    .wavefront_size: 32
    .workgroup_processor_mode: 1
  - .args:
      - .offset:         0
        .size:           1
        .value_kind:     by_value
      - .offset:         8
        .size:           8
        .value_kind:     by_value
      - .actual_access:  read_only
        .address_space:  global
        .offset:         16
        .size:           8
        .value_kind:     global_buffer
      - .address_space:  global
        .offset:         24
        .size:           8
        .value_kind:     global_buffer
      - .actual_access:  read_only
        .address_space:  global
        .offset:         32
        .size:           8
        .value_kind:     global_buffer
      - .offset:         40
        .size:           8
        .value_kind:     by_value
      - .actual_access:  read_only
        .address_space:  global
        .offset:         48
        .size:           8
        .value_kind:     global_buffer
      - .actual_access:  read_only
        .address_space:  global
        .offset:         56
        .size:           8
        .value_kind:     global_buffer
      - .actual_access:  read_only
        .address_space:  global
        .offset:         64
        .size:           8
        .value_kind:     global_buffer
      - .actual_access:  read_only
        .address_space:  global
        .offset:         72
        .size:           8
        .value_kind:     global_buffer
      - .offset:         80
        .size:           8
        .value_kind:     by_value
      - .address_space:  global
        .offset:         88
        .size:           8
        .value_kind:     global_buffer
      - .offset:         96
        .size:           4
        .value_kind:     by_value
      - .offset:         100
        .size:           1
        .value_kind:     by_value
    .group_segment_fixed_size: 4096
    .kernarg_segment_align: 8
    .kernarg_segment_size: 104
    .language:       OpenCL C
    .language_version:
      - 2
      - 0
    .max_flat_workgroup_size: 256
    .name:           _ZN9rocsparseL22csrmvn_adaptive_kernelIli18rocsparse_bfloat16S1_ffEEvbT_PKS2_PjPKT0_NS_24const_host_device_scalarIT4_EES4_S8_PKT1_PKT2_SB_PT3_21rocsparse_index_base_b
    .private_segment_fixed_size: 0
    .sgpr_count:     52
    .sgpr_spill_count: 0
    .symbol:         _ZN9rocsparseL22csrmvn_adaptive_kernelIli18rocsparse_bfloat16S1_ffEEvbT_PKS2_PjPKT0_NS_24const_host_device_scalarIT4_EES4_S8_PKT1_PKT2_SB_PT3_21rocsparse_index_base_b.kd
    .uniform_work_group_size: 1
    .uses_dynamic_stack: false
    .vgpr_count:     16
    .vgpr_spill_count: 0
    .wavefront_size: 32
    .workgroup_processor_mode: 1
  - .args:
      - .offset:         0
        .size:           1
        .value_kind:     by_value
      - .offset:         8
        .size:           8
        .value_kind:     by_value
      - .offset:         16
        .size:           8
        .value_kind:     by_value
      - .actual_access:  read_only
        .address_space:  global
        .offset:         24
        .size:           8
        .value_kind:     global_buffer
      - .offset:         32
        .size:           8
        .value_kind:     by_value
      - .actual_access:  read_only
        .address_space:  global
        .offset:         40
        .size:           8
        .value_kind:     global_buffer
      - .actual_access:  read_only
        .address_space:  global
        .offset:         48
        .size:           8
        .value_kind:     global_buffer
      - .actual_access:  read_only
        .address_space:  global
        .offset:         56
        .size:           8
        .value_kind:     global_buffer
      - .actual_access:  read_only
        .address_space:  global
        .offset:         64
        .size:           8
        .value_kind:     global_buffer
      - .offset:         72
        .size:           8
        .value_kind:     by_value
      - .address_space:  global
        .offset:         80
        .size:           8
        .value_kind:     global_buffer
      - .offset:         88
        .size:           4
        .value_kind:     by_value
      - .offset:         92
        .size:           1
        .value_kind:     by_value
      - .offset:         96
        .size:           4
        .value_kind:     hidden_block_count_x
      - .offset:         100
        .size:           4
        .value_kind:     hidden_block_count_y
      - .offset:         104
        .size:           4
        .value_kind:     hidden_block_count_z
      - .offset:         108
        .size:           2
        .value_kind:     hidden_group_size_x
      - .offset:         110
        .size:           2
        .value_kind:     hidden_group_size_y
      - .offset:         112
        .size:           2
        .value_kind:     hidden_group_size_z
      - .offset:         114
        .size:           2
        .value_kind:     hidden_remainder_x
      - .offset:         116
        .size:           2
        .value_kind:     hidden_remainder_y
      - .offset:         118
        .size:           2
        .value_kind:     hidden_remainder_z
      - .offset:         136
        .size:           8
        .value_kind:     hidden_global_offset_x
      - .offset:         144
        .size:           8
        .value_kind:     hidden_global_offset_y
      - .offset:         152
        .size:           8
        .value_kind:     hidden_global_offset_z
      - .offset:         160
        .size:           2
        .value_kind:     hidden_grid_dims
      - .offset:         216
        .size:           4
        .value_kind:     hidden_dynamic_lds_size
    .group_segment_fixed_size: 4096
    .kernarg_segment_align: 8
    .kernarg_segment_size: 352
    .language:       OpenCL C
    .language_version:
      - 2
      - 0
    .max_flat_workgroup_size: 256
    .name:           _ZN9rocsparseL27csrmvn_symm_adaptive_kernelIli18rocsparse_bfloat16S1_ffEEvbT_S2_PKS2_NS_24const_host_device_scalarIT4_EES4_PKT0_PKT1_PKT2_S7_PT3_21rocsparse_index_base_b
    .private_segment_fixed_size: 0
    .sgpr_count:     43
    .sgpr_spill_count: 0
    .symbol:         _ZN9rocsparseL27csrmvn_symm_adaptive_kernelIli18rocsparse_bfloat16S1_ffEEvbT_S2_PKS2_NS_24const_host_device_scalarIT4_EES4_PKT0_PKT1_PKT2_S7_PT3_21rocsparse_index_base_b.kd
    .uniform_work_group_size: 1
    .uses_dynamic_stack: false
    .vgpr_count:     24
    .vgpr_spill_count: 0
    .wavefront_size: 32
    .workgroup_processor_mode: 1
  - .args:
      - .offset:         0
        .size:           1
        .value_kind:     by_value
      - .offset:         8
        .size:           8
        .value_kind:     by_value
      - .actual_access:  read_only
        .address_space:  global
        .offset:         16
        .size:           8
        .value_kind:     global_buffer
      - .offset:         24
        .size:           8
        .value_kind:     by_value
      - .actual_access:  read_only
        .address_space:  global
        .offset:         32
        .size:           8
        .value_kind:     global_buffer
      - .actual_access:  read_only
        .address_space:  global
        .offset:         40
        .size:           8
        .value_kind:     global_buffer
      - .actual_access:  read_only
        .address_space:  global
        .offset:         48
        .size:           8
        .value_kind:     global_buffer
      - .actual_access:  read_only
        .address_space:  global
        .offset:         56
        .size:           8
        .value_kind:     global_buffer
      - .offset:         64
        .size:           8
        .value_kind:     by_value
      - .address_space:  global
        .offset:         72
        .size:           8
        .value_kind:     global_buffer
      - .offset:         80
        .size:           4
        .value_kind:     by_value
      - .offset:         84
        .size:           1
        .value_kind:     by_value
    .group_segment_fixed_size: 4096
    .kernarg_segment_align: 8
    .kernarg_segment_size: 88
    .language:       OpenCL C
    .language_version:
      - 2
      - 0
    .max_flat_workgroup_size: 256
    .name:           _ZL33csrmvn_symm_large_adaptive_kernelIli18rocsparse_bfloat16S0_ffEvbT_PKS1_N9rocsparse24const_host_device_scalarIT4_EES3_PKT0_PKT1_PKT2_S7_PT3_21rocsparse_index_base_b
    .private_segment_fixed_size: 0
    .sgpr_count:     38
    .sgpr_spill_count: 0
    .symbol:         _ZL33csrmvn_symm_large_adaptive_kernelIli18rocsparse_bfloat16S0_ffEvbT_PKS1_N9rocsparse24const_host_device_scalarIT4_EES3_PKT0_PKT1_PKT2_S7_PT3_21rocsparse_index_base_b.kd
    .uniform_work_group_size: 1
    .uses_dynamic_stack: false
    .vgpr_count:     14
    .vgpr_spill_count: 0
    .wavefront_size: 32
    .workgroup_processor_mode: 1
  - .args:
      - .offset:         0
        .size:           1
        .value_kind:     by_value
      - .offset:         8
        .size:           8
        .value_kind:     by_value
      - .actual_access:  read_only
        .address_space:  global
        .offset:         16
        .size:           8
        .value_kind:     global_buffer
      - .address_space:  global
        .offset:         24
        .size:           8
        .value_kind:     global_buffer
      - .actual_access:  read_only
        .address_space:  global
        .offset:         32
        .size:           8
        .value_kind:     global_buffer
      - .offset:         40
        .size:           8
        .value_kind:     by_value
      - .actual_access:  read_only
        .address_space:  global
        .offset:         48
        .size:           8
        .value_kind:     global_buffer
      - .actual_access:  read_only
        .address_space:  global
        .offset:         56
        .size:           8
        .value_kind:     global_buffer
      - .actual_access:  read_only
        .address_space:  global
        .offset:         64
        .size:           8
        .value_kind:     global_buffer
      - .actual_access:  read_only
        .address_space:  global
        .offset:         72
        .size:           8
        .value_kind:     global_buffer
      - .offset:         80
        .size:           8
        .value_kind:     by_value
      - .address_space:  global
        .offset:         88
        .size:           8
        .value_kind:     global_buffer
      - .offset:         96
        .size:           4
        .value_kind:     by_value
      - .offset:         100
        .size:           1
        .value_kind:     by_value
    .group_segment_fixed_size: 4096
    .kernarg_segment_align: 8
    .kernarg_segment_size: 104
    .language:       OpenCL C
    .language_version:
      - 2
      - 0
    .max_flat_workgroup_size: 256
    .name:           _ZN9rocsparseL22csrmvn_adaptive_kernelIll18rocsparse_bfloat16S1_ffEEvbT_PKS2_PjPKT0_NS_24const_host_device_scalarIT4_EES4_S8_PKT1_PKT2_SB_PT3_21rocsparse_index_base_b
    .private_segment_fixed_size: 0
    .sgpr_count:     52
    .sgpr_spill_count: 0
    .symbol:         _ZN9rocsparseL22csrmvn_adaptive_kernelIll18rocsparse_bfloat16S1_ffEEvbT_PKS2_PjPKT0_NS_24const_host_device_scalarIT4_EES4_S8_PKT1_PKT2_SB_PT3_21rocsparse_index_base_b.kd
    .uniform_work_group_size: 1
    .uses_dynamic_stack: false
    .vgpr_count:     16
    .vgpr_spill_count: 0
    .wavefront_size: 32
    .workgroup_processor_mode: 1
  - .args:
      - .offset:         0
        .size:           1
        .value_kind:     by_value
      - .offset:         8
        .size:           8
        .value_kind:     by_value
      - .offset:         16
        .size:           8
        .value_kind:     by_value
      - .actual_access:  read_only
        .address_space:  global
        .offset:         24
        .size:           8
        .value_kind:     global_buffer
      - .offset:         32
        .size:           8
        .value_kind:     by_value
      - .actual_access:  read_only
        .address_space:  global
        .offset:         40
        .size:           8
        .value_kind:     global_buffer
      - .actual_access:  read_only
        .address_space:  global
        .offset:         48
        .size:           8
        .value_kind:     global_buffer
      - .actual_access:  read_only
        .address_space:  global
        .offset:         56
        .size:           8
        .value_kind:     global_buffer
      - .actual_access:  read_only
        .address_space:  global
        .offset:         64
        .size:           8
        .value_kind:     global_buffer
      - .offset:         72
        .size:           8
        .value_kind:     by_value
      - .address_space:  global
        .offset:         80
        .size:           8
        .value_kind:     global_buffer
      - .offset:         88
        .size:           4
        .value_kind:     by_value
      - .offset:         92
        .size:           1
        .value_kind:     by_value
      - .offset:         96
        .size:           4
        .value_kind:     hidden_block_count_x
      - .offset:         100
        .size:           4
        .value_kind:     hidden_block_count_y
      - .offset:         104
        .size:           4
        .value_kind:     hidden_block_count_z
      - .offset:         108
        .size:           2
        .value_kind:     hidden_group_size_x
      - .offset:         110
        .size:           2
        .value_kind:     hidden_group_size_y
      - .offset:         112
        .size:           2
        .value_kind:     hidden_group_size_z
      - .offset:         114
        .size:           2
        .value_kind:     hidden_remainder_x
      - .offset:         116
        .size:           2
        .value_kind:     hidden_remainder_y
      - .offset:         118
        .size:           2
        .value_kind:     hidden_remainder_z
      - .offset:         136
        .size:           8
        .value_kind:     hidden_global_offset_x
      - .offset:         144
        .size:           8
        .value_kind:     hidden_global_offset_y
      - .offset:         152
        .size:           8
        .value_kind:     hidden_global_offset_z
      - .offset:         160
        .size:           2
        .value_kind:     hidden_grid_dims
      - .offset:         216
        .size:           4
        .value_kind:     hidden_dynamic_lds_size
    .group_segment_fixed_size: 4096
    .kernarg_segment_align: 8
    .kernarg_segment_size: 352
    .language:       OpenCL C
    .language_version:
      - 2
      - 0
    .max_flat_workgroup_size: 256
    .name:           _ZN9rocsparseL27csrmvn_symm_adaptive_kernelIll18rocsparse_bfloat16S1_ffEEvbT_S2_PKS2_NS_24const_host_device_scalarIT4_EES4_PKT0_PKT1_PKT2_S7_PT3_21rocsparse_index_base_b
    .private_segment_fixed_size: 0
    .sgpr_count:     43
    .sgpr_spill_count: 0
    .symbol:         _ZN9rocsparseL27csrmvn_symm_adaptive_kernelIll18rocsparse_bfloat16S1_ffEEvbT_S2_PKS2_NS_24const_host_device_scalarIT4_EES4_PKT0_PKT1_PKT2_S7_PT3_21rocsparse_index_base_b.kd
    .uniform_work_group_size: 1
    .uses_dynamic_stack: false
    .vgpr_count:     24
    .vgpr_spill_count: 0
    .wavefront_size: 32
    .workgroup_processor_mode: 1
  - .args:
      - .offset:         0
        .size:           1
        .value_kind:     by_value
      - .offset:         8
        .size:           8
        .value_kind:     by_value
      - .actual_access:  read_only
        .address_space:  global
        .offset:         16
        .size:           8
        .value_kind:     global_buffer
      - .offset:         24
        .size:           8
        .value_kind:     by_value
      - .actual_access:  read_only
        .address_space:  global
        .offset:         32
        .size:           8
        .value_kind:     global_buffer
      - .actual_access:  read_only
        .address_space:  global
        .offset:         40
        .size:           8
        .value_kind:     global_buffer
      - .actual_access:  read_only
        .address_space:  global
        .offset:         48
        .size:           8
        .value_kind:     global_buffer
      - .actual_access:  read_only
        .address_space:  global
        .offset:         56
        .size:           8
        .value_kind:     global_buffer
      - .offset:         64
        .size:           8
        .value_kind:     by_value
      - .address_space:  global
        .offset:         72
        .size:           8
        .value_kind:     global_buffer
      - .offset:         80
        .size:           4
        .value_kind:     by_value
      - .offset:         84
        .size:           1
        .value_kind:     by_value
    .group_segment_fixed_size: 4096
    .kernarg_segment_align: 8
    .kernarg_segment_size: 88
    .language:       OpenCL C
    .language_version:
      - 2
      - 0
    .max_flat_workgroup_size: 256
    .name:           _ZL33csrmvn_symm_large_adaptive_kernelIll18rocsparse_bfloat16S0_ffEvbT_PKS1_N9rocsparse24const_host_device_scalarIT4_EES3_PKT0_PKT1_PKT2_S7_PT3_21rocsparse_index_base_b
    .private_segment_fixed_size: 0
    .sgpr_count:     38
    .sgpr_spill_count: 0
    .symbol:         _ZL33csrmvn_symm_large_adaptive_kernelIll18rocsparse_bfloat16S0_ffEvbT_PKS1_N9rocsparse24const_host_device_scalarIT4_EES3_PKT0_PKT1_PKT2_S7_PT3_21rocsparse_index_base_b.kd
    .uniform_work_group_size: 1
    .uses_dynamic_stack: false
    .vgpr_count:     14
    .vgpr_spill_count: 0
    .wavefront_size: 32
    .workgroup_processor_mode: 1
  - .args:
      - .offset:         0
        .size:           1
        .value_kind:     by_value
      - .offset:         4
        .size:           4
        .value_kind:     by_value
      - .actual_access:  read_only
        .address_space:  global
        .offset:         8
        .size:           8
        .value_kind:     global_buffer
      - .address_space:  global
        .offset:         16
        .size:           8
        .value_kind:     global_buffer
      - .actual_access:  read_only
        .address_space:  global
        .offset:         24
        .size:           8
        .value_kind:     global_buffer
      - .offset:         32
        .size:           8
        .value_kind:     by_value
      - .actual_access:  read_only
        .address_space:  global
        .offset:         40
        .size:           8
        .value_kind:     global_buffer
      - .actual_access:  read_only
        .address_space:  global
        .offset:         48
        .size:           8
        .value_kind:     global_buffer
      - .actual_access:  read_only
        .address_space:  global
        .offset:         56
        .size:           8
        .value_kind:     global_buffer
      - .actual_access:  read_only
        .address_space:  global
        .offset:         64
        .size:           8
        .value_kind:     global_buffer
      - .offset:         72
        .size:           8
        .value_kind:     by_value
      - .address_space:  global
        .offset:         80
        .size:           8
        .value_kind:     global_buffer
      - .offset:         88
        .size:           4
        .value_kind:     by_value
      - .offset:         92
        .size:           1
        .value_kind:     by_value
    .group_segment_fixed_size: 8192
    .kernarg_segment_align: 8
    .kernarg_segment_size: 96
    .language:       OpenCL C
    .language_version:
      - 2
      - 0
    .max_flat_workgroup_size: 256
    .name:           _ZN9rocsparseL22csrmvn_adaptive_kernelIiif21rocsparse_complex_numIfES2_S2_EEvbT_PKS3_PjPKT0_NS_24const_host_device_scalarIT4_EES5_S9_PKT1_PKT2_SC_PT3_21rocsparse_index_base_b
    .private_segment_fixed_size: 0
    .sgpr_count:     45
    .sgpr_spill_count: 0
    .symbol:         _ZN9rocsparseL22csrmvn_adaptive_kernelIiif21rocsparse_complex_numIfES2_S2_EEvbT_PKS3_PjPKT0_NS_24const_host_device_scalarIT4_EES5_S9_PKT1_PKT2_SC_PT3_21rocsparse_index_base_b.kd
    .uniform_work_group_size: 1
    .uses_dynamic_stack: false
    .vgpr_count:     28
    .vgpr_spill_count: 0
    .wavefront_size: 32
    .workgroup_processor_mode: 1
  - .args:
      - .offset:         0
        .size:           1
        .value_kind:     by_value
      - .offset:         4
        .size:           4
        .value_kind:     by_value
      - .offset:         8
        .size:           4
        .value_kind:     by_value
      - .actual_access:  read_only
        .address_space:  global
        .offset:         16
        .size:           8
        .value_kind:     global_buffer
      - .offset:         24
        .size:           8
        .value_kind:     by_value
      - .actual_access:  read_only
        .address_space:  global
        .offset:         32
        .size:           8
        .value_kind:     global_buffer
      - .actual_access:  read_only
        .address_space:  global
        .offset:         40
        .size:           8
        .value_kind:     global_buffer
      - .actual_access:  read_only
        .address_space:  global
        .offset:         48
        .size:           8
        .value_kind:     global_buffer
      - .actual_access:  read_only
        .address_space:  global
        .offset:         56
        .size:           8
        .value_kind:     global_buffer
      - .offset:         64
        .size:           8
        .value_kind:     by_value
      - .address_space:  global
        .offset:         72
        .size:           8
        .value_kind:     global_buffer
      - .offset:         80
        .size:           4
        .value_kind:     by_value
      - .offset:         84
        .size:           1
        .value_kind:     by_value
      - .offset:         88
        .size:           4
        .value_kind:     hidden_block_count_x
      - .offset:         92
        .size:           4
        .value_kind:     hidden_block_count_y
      - .offset:         96
        .size:           4
        .value_kind:     hidden_block_count_z
      - .offset:         100
        .size:           2
        .value_kind:     hidden_group_size_x
      - .offset:         102
        .size:           2
        .value_kind:     hidden_group_size_y
      - .offset:         104
        .size:           2
        .value_kind:     hidden_group_size_z
      - .offset:         106
        .size:           2
        .value_kind:     hidden_remainder_x
      - .offset:         108
        .size:           2
        .value_kind:     hidden_remainder_y
      - .offset:         110
        .size:           2
        .value_kind:     hidden_remainder_z
      - .offset:         128
        .size:           8
        .value_kind:     hidden_global_offset_x
      - .offset:         136
        .size:           8
        .value_kind:     hidden_global_offset_y
      - .offset:         144
        .size:           8
        .value_kind:     hidden_global_offset_z
      - .offset:         152
        .size:           2
        .value_kind:     hidden_grid_dims
      - .offset:         208
        .size:           4
        .value_kind:     hidden_dynamic_lds_size
    .group_segment_fixed_size: 8192
    .kernarg_segment_align: 8
    .kernarg_segment_size: 344
    .language:       OpenCL C
    .language_version:
      - 2
      - 0
    .max_flat_workgroup_size: 256
    .name:           _ZN9rocsparseL27csrmvn_symm_adaptive_kernelIiif21rocsparse_complex_numIfES2_S2_EEvbT_S3_PKS3_NS_24const_host_device_scalarIT4_EES5_PKT0_PKT1_PKT2_S8_PT3_21rocsparse_index_base_b
    .private_segment_fixed_size: 0
    .sgpr_count:     33
    .sgpr_spill_count: 0
    .symbol:         _ZN9rocsparseL27csrmvn_symm_adaptive_kernelIiif21rocsparse_complex_numIfES2_S2_EEvbT_S3_PKS3_NS_24const_host_device_scalarIT4_EES5_PKT0_PKT1_PKT2_S8_PT3_21rocsparse_index_base_b.kd
    .uniform_work_group_size: 1
    .uses_dynamic_stack: false
    .vgpr_count:     23
    .vgpr_spill_count: 0
    .wavefront_size: 32
    .workgroup_processor_mode: 1
  - .args:
      - .offset:         0
        .size:           1
        .value_kind:     by_value
      - .offset:         4
        .size:           4
        .value_kind:     by_value
      - .actual_access:  read_only
        .address_space:  global
        .offset:         8
        .size:           8
        .value_kind:     global_buffer
      - .offset:         16
        .size:           8
        .value_kind:     by_value
      - .actual_access:  read_only
        .address_space:  global
        .offset:         24
        .size:           8
        .value_kind:     global_buffer
      - .actual_access:  read_only
        .address_space:  global
        .offset:         32
        .size:           8
        .value_kind:     global_buffer
      - .actual_access:  read_only
        .address_space:  global
        .offset:         40
        .size:           8
        .value_kind:     global_buffer
      - .actual_access:  read_only
        .address_space:  global
        .offset:         48
        .size:           8
        .value_kind:     global_buffer
      - .offset:         56
        .size:           8
        .value_kind:     by_value
      - .address_space:  global
        .offset:         64
        .size:           8
        .value_kind:     global_buffer
      - .offset:         72
        .size:           4
        .value_kind:     by_value
      - .offset:         76
        .size:           1
        .value_kind:     by_value
    .group_segment_fixed_size: 8192
    .kernarg_segment_align: 8
    .kernarg_segment_size: 80
    .language:       OpenCL C
    .language_version:
      - 2
      - 0
    .max_flat_workgroup_size: 256
    .name:           _ZL33csrmvn_symm_large_adaptive_kernelIiif21rocsparse_complex_numIfES1_S1_EvbT_PKS2_N9rocsparse24const_host_device_scalarIT4_EES4_PKT0_PKT1_PKT2_S8_PT3_21rocsparse_index_base_b
    .private_segment_fixed_size: 0
    .sgpr_count:     30
    .sgpr_spill_count: 0
    .symbol:         _ZL33csrmvn_symm_large_adaptive_kernelIiif21rocsparse_complex_numIfES1_S1_EvbT_PKS2_N9rocsparse24const_host_device_scalarIT4_EES4_PKT0_PKT1_PKT2_S8_PT3_21rocsparse_index_base_b.kd
    .uniform_work_group_size: 1
    .uses_dynamic_stack: false
    .vgpr_count:     16
    .vgpr_spill_count: 0
    .wavefront_size: 32
    .workgroup_processor_mode: 1
  - .args:
      - .offset:         0
        .size:           1
        .value_kind:     by_value
      - .offset:         8
        .size:           8
        .value_kind:     by_value
      - .actual_access:  read_only
        .address_space:  global
        .offset:         16
        .size:           8
        .value_kind:     global_buffer
      - .address_space:  global
        .offset:         24
        .size:           8
        .value_kind:     global_buffer
      - .actual_access:  read_only
        .address_space:  global
        .offset:         32
        .size:           8
        .value_kind:     global_buffer
      - .offset:         40
        .size:           8
        .value_kind:     by_value
      - .actual_access:  read_only
        .address_space:  global
        .offset:         48
        .size:           8
        .value_kind:     global_buffer
      - .actual_access:  read_only
        .address_space:  global
        .offset:         56
        .size:           8
        .value_kind:     global_buffer
      - .actual_access:  read_only
        .address_space:  global
        .offset:         64
        .size:           8
        .value_kind:     global_buffer
      - .actual_access:  read_only
        .address_space:  global
        .offset:         72
        .size:           8
        .value_kind:     global_buffer
      - .offset:         80
        .size:           8
        .value_kind:     by_value
      - .address_space:  global
        .offset:         88
        .size:           8
        .value_kind:     global_buffer
      - .offset:         96
        .size:           4
        .value_kind:     by_value
      - .offset:         100
        .size:           1
        .value_kind:     by_value
    .group_segment_fixed_size: 8192
    .kernarg_segment_align: 8
    .kernarg_segment_size: 104
    .language:       OpenCL C
    .language_version:
      - 2
      - 0
    .max_flat_workgroup_size: 256
    .name:           _ZN9rocsparseL22csrmvn_adaptive_kernelIlif21rocsparse_complex_numIfES2_S2_EEvbT_PKS3_PjPKT0_NS_24const_host_device_scalarIT4_EES5_S9_PKT1_PKT2_SC_PT3_21rocsparse_index_base_b
    .private_segment_fixed_size: 0
    .sgpr_count:     52
    .sgpr_spill_count: 0
    .symbol:         _ZN9rocsparseL22csrmvn_adaptive_kernelIlif21rocsparse_complex_numIfES2_S2_EEvbT_PKS3_PjPKT0_NS_24const_host_device_scalarIT4_EES5_S9_PKT1_PKT2_SC_PT3_21rocsparse_index_base_b.kd
    .uniform_work_group_size: 1
    .uses_dynamic_stack: false
    .vgpr_count:     28
    .vgpr_spill_count: 0
    .wavefront_size: 32
    .workgroup_processor_mode: 1
  - .args:
      - .offset:         0
        .size:           1
        .value_kind:     by_value
      - .offset:         8
        .size:           8
        .value_kind:     by_value
      - .offset:         16
        .size:           8
        .value_kind:     by_value
      - .actual_access:  read_only
        .address_space:  global
        .offset:         24
        .size:           8
        .value_kind:     global_buffer
      - .offset:         32
        .size:           8
        .value_kind:     by_value
      - .actual_access:  read_only
        .address_space:  global
        .offset:         40
        .size:           8
        .value_kind:     global_buffer
      - .actual_access:  read_only
        .address_space:  global
        .offset:         48
        .size:           8
        .value_kind:     global_buffer
      - .actual_access:  read_only
        .address_space:  global
        .offset:         56
        .size:           8
        .value_kind:     global_buffer
      - .actual_access:  read_only
        .address_space:  global
        .offset:         64
        .size:           8
        .value_kind:     global_buffer
      - .offset:         72
        .size:           8
        .value_kind:     by_value
      - .address_space:  global
        .offset:         80
        .size:           8
        .value_kind:     global_buffer
      - .offset:         88
        .size:           4
        .value_kind:     by_value
      - .offset:         92
        .size:           1
        .value_kind:     by_value
      - .offset:         96
        .size:           4
        .value_kind:     hidden_block_count_x
      - .offset:         100
        .size:           4
        .value_kind:     hidden_block_count_y
      - .offset:         104
        .size:           4
        .value_kind:     hidden_block_count_z
      - .offset:         108
        .size:           2
        .value_kind:     hidden_group_size_x
      - .offset:         110
        .size:           2
        .value_kind:     hidden_group_size_y
      - .offset:         112
        .size:           2
        .value_kind:     hidden_group_size_z
      - .offset:         114
        .size:           2
        .value_kind:     hidden_remainder_x
      - .offset:         116
        .size:           2
        .value_kind:     hidden_remainder_y
      - .offset:         118
        .size:           2
        .value_kind:     hidden_remainder_z
      - .offset:         136
        .size:           8
        .value_kind:     hidden_global_offset_x
      - .offset:         144
        .size:           8
        .value_kind:     hidden_global_offset_y
      - .offset:         152
        .size:           8
        .value_kind:     hidden_global_offset_z
      - .offset:         160
        .size:           2
        .value_kind:     hidden_grid_dims
      - .offset:         216
        .size:           4
        .value_kind:     hidden_dynamic_lds_size
    .group_segment_fixed_size: 8192
    .kernarg_segment_align: 8
    .kernarg_segment_size: 352
    .language:       OpenCL C
    .language_version:
      - 2
      - 0
    .max_flat_workgroup_size: 256
    .name:           _ZN9rocsparseL27csrmvn_symm_adaptive_kernelIlif21rocsparse_complex_numIfES2_S2_EEvbT_S3_PKS3_NS_24const_host_device_scalarIT4_EES5_PKT0_PKT1_PKT2_S8_PT3_21rocsparse_index_base_b
    .private_segment_fixed_size: 0
    .sgpr_count:     43
    .sgpr_spill_count: 0
    .symbol:         _ZN9rocsparseL27csrmvn_symm_adaptive_kernelIlif21rocsparse_complex_numIfES2_S2_EEvbT_S3_PKS3_NS_24const_host_device_scalarIT4_EES5_PKT0_PKT1_PKT2_S8_PT3_21rocsparse_index_base_b.kd
    .uniform_work_group_size: 1
    .uses_dynamic_stack: false
    .vgpr_count:     27
    .vgpr_spill_count: 0
    .wavefront_size: 32
    .workgroup_processor_mode: 1
  - .args:
      - .offset:         0
        .size:           1
        .value_kind:     by_value
      - .offset:         8
        .size:           8
        .value_kind:     by_value
      - .actual_access:  read_only
        .address_space:  global
        .offset:         16
        .size:           8
        .value_kind:     global_buffer
      - .offset:         24
        .size:           8
        .value_kind:     by_value
      - .actual_access:  read_only
        .address_space:  global
        .offset:         32
        .size:           8
        .value_kind:     global_buffer
      - .actual_access:  read_only
        .address_space:  global
        .offset:         40
        .size:           8
        .value_kind:     global_buffer
      - .actual_access:  read_only
        .address_space:  global
        .offset:         48
        .size:           8
        .value_kind:     global_buffer
      - .actual_access:  read_only
        .address_space:  global
        .offset:         56
        .size:           8
        .value_kind:     global_buffer
      - .offset:         64
        .size:           8
        .value_kind:     by_value
      - .address_space:  global
        .offset:         72
        .size:           8
        .value_kind:     global_buffer
      - .offset:         80
        .size:           4
        .value_kind:     by_value
      - .offset:         84
        .size:           1
        .value_kind:     by_value
    .group_segment_fixed_size: 8192
    .kernarg_segment_align: 8
    .kernarg_segment_size: 88
    .language:       OpenCL C
    .language_version:
      - 2
      - 0
    .max_flat_workgroup_size: 256
    .name:           _ZL33csrmvn_symm_large_adaptive_kernelIlif21rocsparse_complex_numIfES1_S1_EvbT_PKS2_N9rocsparse24const_host_device_scalarIT4_EES4_PKT0_PKT1_PKT2_S8_PT3_21rocsparse_index_base_b
    .private_segment_fixed_size: 0
    .sgpr_count:     38
    .sgpr_spill_count: 0
    .symbol:         _ZL33csrmvn_symm_large_adaptive_kernelIlif21rocsparse_complex_numIfES1_S1_EvbT_PKS2_N9rocsparse24const_host_device_scalarIT4_EES4_PKT0_PKT1_PKT2_S8_PT3_21rocsparse_index_base_b.kd
    .uniform_work_group_size: 1
    .uses_dynamic_stack: false
    .vgpr_count:     17
    .vgpr_spill_count: 0
    .wavefront_size: 32
    .workgroup_processor_mode: 1
  - .args:
      - .offset:         0
        .size:           1
        .value_kind:     by_value
      - .offset:         8
        .size:           8
        .value_kind:     by_value
      - .actual_access:  read_only
        .address_space:  global
        .offset:         16
        .size:           8
        .value_kind:     global_buffer
      - .address_space:  global
        .offset:         24
        .size:           8
        .value_kind:     global_buffer
      - .actual_access:  read_only
        .address_space:  global
        .offset:         32
        .size:           8
        .value_kind:     global_buffer
      - .offset:         40
        .size:           8
        .value_kind:     by_value
      - .actual_access:  read_only
        .address_space:  global
        .offset:         48
        .size:           8
        .value_kind:     global_buffer
      - .actual_access:  read_only
        .address_space:  global
        .offset:         56
        .size:           8
        .value_kind:     global_buffer
      - .actual_access:  read_only
        .address_space:  global
        .offset:         64
        .size:           8
        .value_kind:     global_buffer
      - .actual_access:  read_only
        .address_space:  global
        .offset:         72
        .size:           8
        .value_kind:     global_buffer
      - .offset:         80
        .size:           8
        .value_kind:     by_value
      - .address_space:  global
        .offset:         88
        .size:           8
        .value_kind:     global_buffer
      - .offset:         96
        .size:           4
        .value_kind:     by_value
      - .offset:         100
        .size:           1
        .value_kind:     by_value
    .group_segment_fixed_size: 8192
    .kernarg_segment_align: 8
    .kernarg_segment_size: 104
    .language:       OpenCL C
    .language_version:
      - 2
      - 0
    .max_flat_workgroup_size: 256
    .name:           _ZN9rocsparseL22csrmvn_adaptive_kernelIllf21rocsparse_complex_numIfES2_S2_EEvbT_PKS3_PjPKT0_NS_24const_host_device_scalarIT4_EES5_S9_PKT1_PKT2_SC_PT3_21rocsparse_index_base_b
    .private_segment_fixed_size: 0
    .sgpr_count:     52
    .sgpr_spill_count: 0
    .symbol:         _ZN9rocsparseL22csrmvn_adaptive_kernelIllf21rocsparse_complex_numIfES2_S2_EEvbT_PKS3_PjPKT0_NS_24const_host_device_scalarIT4_EES5_S9_PKT1_PKT2_SC_PT3_21rocsparse_index_base_b.kd
    .uniform_work_group_size: 1
    .uses_dynamic_stack: false
    .vgpr_count:     26
    .vgpr_spill_count: 0
    .wavefront_size: 32
    .workgroup_processor_mode: 1
  - .args:
      - .offset:         0
        .size:           1
        .value_kind:     by_value
      - .offset:         8
        .size:           8
        .value_kind:     by_value
      - .offset:         16
        .size:           8
        .value_kind:     by_value
      - .actual_access:  read_only
        .address_space:  global
        .offset:         24
        .size:           8
        .value_kind:     global_buffer
      - .offset:         32
        .size:           8
        .value_kind:     by_value
      - .actual_access:  read_only
        .address_space:  global
        .offset:         40
        .size:           8
        .value_kind:     global_buffer
      - .actual_access:  read_only
        .address_space:  global
        .offset:         48
        .size:           8
        .value_kind:     global_buffer
      - .actual_access:  read_only
        .address_space:  global
        .offset:         56
        .size:           8
        .value_kind:     global_buffer
      - .actual_access:  read_only
        .address_space:  global
        .offset:         64
        .size:           8
        .value_kind:     global_buffer
      - .offset:         72
        .size:           8
        .value_kind:     by_value
      - .address_space:  global
        .offset:         80
        .size:           8
        .value_kind:     global_buffer
      - .offset:         88
        .size:           4
        .value_kind:     by_value
      - .offset:         92
        .size:           1
        .value_kind:     by_value
      - .offset:         96
        .size:           4
        .value_kind:     hidden_block_count_x
      - .offset:         100
        .size:           4
        .value_kind:     hidden_block_count_y
      - .offset:         104
        .size:           4
        .value_kind:     hidden_block_count_z
      - .offset:         108
        .size:           2
        .value_kind:     hidden_group_size_x
      - .offset:         110
        .size:           2
        .value_kind:     hidden_group_size_y
      - .offset:         112
        .size:           2
        .value_kind:     hidden_group_size_z
      - .offset:         114
        .size:           2
        .value_kind:     hidden_remainder_x
      - .offset:         116
        .size:           2
        .value_kind:     hidden_remainder_y
      - .offset:         118
        .size:           2
        .value_kind:     hidden_remainder_z
      - .offset:         136
        .size:           8
        .value_kind:     hidden_global_offset_x
      - .offset:         144
        .size:           8
        .value_kind:     hidden_global_offset_y
      - .offset:         152
        .size:           8
        .value_kind:     hidden_global_offset_z
      - .offset:         160
        .size:           2
        .value_kind:     hidden_grid_dims
      - .offset:         216
        .size:           4
        .value_kind:     hidden_dynamic_lds_size
    .group_segment_fixed_size: 8192
    .kernarg_segment_align: 8
    .kernarg_segment_size: 352
    .language:       OpenCL C
    .language_version:
      - 2
      - 0
    .max_flat_workgroup_size: 256
    .name:           _ZN9rocsparseL27csrmvn_symm_adaptive_kernelIllf21rocsparse_complex_numIfES2_S2_EEvbT_S3_PKS3_NS_24const_host_device_scalarIT4_EES5_PKT0_PKT1_PKT2_S8_PT3_21rocsparse_index_base_b
    .private_segment_fixed_size: 0
    .sgpr_count:     43
    .sgpr_spill_count: 0
    .symbol:         _ZN9rocsparseL27csrmvn_symm_adaptive_kernelIllf21rocsparse_complex_numIfES2_S2_EEvbT_S3_PKS3_NS_24const_host_device_scalarIT4_EES5_PKT0_PKT1_PKT2_S8_PT3_21rocsparse_index_base_b.kd
    .uniform_work_group_size: 1
    .uses_dynamic_stack: false
    .vgpr_count:     27
    .vgpr_spill_count: 0
    .wavefront_size: 32
    .workgroup_processor_mode: 1
  - .args:
      - .offset:         0
        .size:           1
        .value_kind:     by_value
      - .offset:         8
        .size:           8
        .value_kind:     by_value
      - .actual_access:  read_only
        .address_space:  global
        .offset:         16
        .size:           8
        .value_kind:     global_buffer
      - .offset:         24
        .size:           8
        .value_kind:     by_value
      - .actual_access:  read_only
        .address_space:  global
        .offset:         32
        .size:           8
        .value_kind:     global_buffer
      - .actual_access:  read_only
        .address_space:  global
        .offset:         40
        .size:           8
        .value_kind:     global_buffer
      - .actual_access:  read_only
        .address_space:  global
        .offset:         48
        .size:           8
        .value_kind:     global_buffer
      - .actual_access:  read_only
        .address_space:  global
        .offset:         56
        .size:           8
        .value_kind:     global_buffer
      - .offset:         64
        .size:           8
        .value_kind:     by_value
      - .address_space:  global
        .offset:         72
        .size:           8
        .value_kind:     global_buffer
      - .offset:         80
        .size:           4
        .value_kind:     by_value
      - .offset:         84
        .size:           1
        .value_kind:     by_value
    .group_segment_fixed_size: 8192
    .kernarg_segment_align: 8
    .kernarg_segment_size: 88
    .language:       OpenCL C
    .language_version:
      - 2
      - 0
    .max_flat_workgroup_size: 256
    .name:           _ZL33csrmvn_symm_large_adaptive_kernelIllf21rocsparse_complex_numIfES1_S1_EvbT_PKS2_N9rocsparse24const_host_device_scalarIT4_EES4_PKT0_PKT1_PKT2_S8_PT3_21rocsparse_index_base_b
    .private_segment_fixed_size: 0
    .sgpr_count:     38
    .sgpr_spill_count: 0
    .symbol:         _ZL33csrmvn_symm_large_adaptive_kernelIllf21rocsparse_complex_numIfES1_S1_EvbT_PKS2_N9rocsparse24const_host_device_scalarIT4_EES4_PKT0_PKT1_PKT2_S8_PT3_21rocsparse_index_base_b.kd
    .uniform_work_group_size: 1
    .uses_dynamic_stack: false
    .vgpr_count:     17
    .vgpr_spill_count: 0
    .wavefront_size: 32
    .workgroup_processor_mode: 1
  - .args:
      - .offset:         0
        .size:           1
        .value_kind:     by_value
      - .offset:         4
        .size:           4
        .value_kind:     by_value
      - .actual_access:  read_only
        .address_space:  global
        .offset:         8
        .size:           8
        .value_kind:     global_buffer
      - .address_space:  global
        .offset:         16
        .size:           8
        .value_kind:     global_buffer
      - .actual_access:  read_only
        .address_space:  global
        .offset:         24
        .size:           8
        .value_kind:     global_buffer
      - .offset:         32
        .size:           8
        .value_kind:     by_value
      - .actual_access:  read_only
        .address_space:  global
        .offset:         40
        .size:           8
        .value_kind:     global_buffer
      - .actual_access:  read_only
        .address_space:  global
        .offset:         48
        .size:           8
        .value_kind:     global_buffer
      - .actual_access:  read_only
        .address_space:  global
        .offset:         56
        .size:           8
        .value_kind:     global_buffer
      - .actual_access:  read_only
        .address_space:  global
        .offset:         64
        .size:           8
        .value_kind:     global_buffer
      - .offset:         72
        .size:           8
        .value_kind:     by_value
      - .address_space:  global
        .offset:         80
        .size:           8
        .value_kind:     global_buffer
      - .offset:         88
        .size:           4
        .value_kind:     by_value
      - .offset:         92
        .size:           1
        .value_kind:     by_value
    .group_segment_fixed_size: 8192
    .kernarg_segment_align: 8
    .kernarg_segment_size: 96
    .language:       OpenCL C
    .language_version:
      - 2
      - 0
    .max_flat_workgroup_size: 256
    .name:           _ZN9rocsparseL22csrmvn_adaptive_kernelIiifdddEEvbT_PKS1_PjPKT0_NS_24const_host_device_scalarIT4_EES3_S7_PKT1_PKT2_SA_PT3_21rocsparse_index_base_b
    .private_segment_fixed_size: 0
    .sgpr_count:     45
    .sgpr_spill_count: 0
    .symbol:         _ZN9rocsparseL22csrmvn_adaptive_kernelIiifdddEEvbT_PKS1_PjPKT0_NS_24const_host_device_scalarIT4_EES3_S7_PKT1_PKT2_SA_PT3_21rocsparse_index_base_b.kd
    .uniform_work_group_size: 1
    .uses_dynamic_stack: false
    .vgpr_count:     22
    .vgpr_spill_count: 0
    .wavefront_size: 32
    .workgroup_processor_mode: 1
  - .args:
      - .offset:         0
        .size:           1
        .value_kind:     by_value
      - .offset:         4
        .size:           4
        .value_kind:     by_value
      - .offset:         8
        .size:           4
        .value_kind:     by_value
      - .actual_access:  read_only
        .address_space:  global
        .offset:         16
        .size:           8
        .value_kind:     global_buffer
      - .offset:         24
        .size:           8
        .value_kind:     by_value
      - .actual_access:  read_only
        .address_space:  global
        .offset:         32
        .size:           8
        .value_kind:     global_buffer
      - .actual_access:  read_only
        .address_space:  global
        .offset:         40
        .size:           8
        .value_kind:     global_buffer
      - .actual_access:  read_only
        .address_space:  global
        .offset:         48
        .size:           8
        .value_kind:     global_buffer
      - .actual_access:  read_only
        .address_space:  global
        .offset:         56
        .size:           8
        .value_kind:     global_buffer
      - .offset:         64
        .size:           8
        .value_kind:     by_value
      - .address_space:  global
        .offset:         72
        .size:           8
        .value_kind:     global_buffer
      - .offset:         80
        .size:           4
        .value_kind:     by_value
      - .offset:         84
        .size:           1
        .value_kind:     by_value
      - .offset:         88
        .size:           4
        .value_kind:     hidden_block_count_x
      - .offset:         92
        .size:           4
        .value_kind:     hidden_block_count_y
      - .offset:         96
        .size:           4
        .value_kind:     hidden_block_count_z
      - .offset:         100
        .size:           2
        .value_kind:     hidden_group_size_x
      - .offset:         102
        .size:           2
        .value_kind:     hidden_group_size_y
      - .offset:         104
        .size:           2
        .value_kind:     hidden_group_size_z
      - .offset:         106
        .size:           2
        .value_kind:     hidden_remainder_x
      - .offset:         108
        .size:           2
        .value_kind:     hidden_remainder_y
      - .offset:         110
        .size:           2
        .value_kind:     hidden_remainder_z
      - .offset:         128
        .size:           8
        .value_kind:     hidden_global_offset_x
      - .offset:         136
        .size:           8
        .value_kind:     hidden_global_offset_y
      - .offset:         144
        .size:           8
        .value_kind:     hidden_global_offset_z
      - .offset:         152
        .size:           2
        .value_kind:     hidden_grid_dims
      - .offset:         208
        .size:           4
        .value_kind:     hidden_dynamic_lds_size
    .group_segment_fixed_size: 8192
    .kernarg_segment_align: 8
    .kernarg_segment_size: 344
    .language:       OpenCL C
    .language_version:
      - 2
      - 0
    .max_flat_workgroup_size: 256
    .name:           _ZN9rocsparseL27csrmvn_symm_adaptive_kernelIiifdddEEvbT_S1_PKS1_NS_24const_host_device_scalarIT4_EES3_PKT0_PKT1_PKT2_S6_PT3_21rocsparse_index_base_b
    .private_segment_fixed_size: 0
    .sgpr_count:     33
    .sgpr_spill_count: 0
    .symbol:         _ZN9rocsparseL27csrmvn_symm_adaptive_kernelIiifdddEEvbT_S1_PKS1_NS_24const_host_device_scalarIT4_EES3_PKT0_PKT1_PKT2_S6_PT3_21rocsparse_index_base_b.kd
    .uniform_work_group_size: 1
    .uses_dynamic_stack: false
    .vgpr_count:     22
    .vgpr_spill_count: 0
    .wavefront_size: 32
    .workgroup_processor_mode: 1
  - .args:
      - .offset:         0
        .size:           1
        .value_kind:     by_value
      - .offset:         4
        .size:           4
        .value_kind:     by_value
      - .actual_access:  read_only
        .address_space:  global
        .offset:         8
        .size:           8
        .value_kind:     global_buffer
      - .offset:         16
        .size:           8
        .value_kind:     by_value
      - .actual_access:  read_only
        .address_space:  global
        .offset:         24
        .size:           8
        .value_kind:     global_buffer
      - .actual_access:  read_only
        .address_space:  global
        .offset:         32
        .size:           8
        .value_kind:     global_buffer
      - .actual_access:  read_only
        .address_space:  global
        .offset:         40
        .size:           8
        .value_kind:     global_buffer
      - .actual_access:  read_only
        .address_space:  global
        .offset:         48
        .size:           8
        .value_kind:     global_buffer
      - .offset:         56
        .size:           8
        .value_kind:     by_value
      - .address_space:  global
        .offset:         64
        .size:           8
        .value_kind:     global_buffer
      - .offset:         72
        .size:           4
        .value_kind:     by_value
      - .offset:         76
        .size:           1
        .value_kind:     by_value
    .group_segment_fixed_size: 8192
    .kernarg_segment_align: 8
    .kernarg_segment_size: 80
    .language:       OpenCL C
    .language_version:
      - 2
      - 0
    .max_flat_workgroup_size: 256
    .name:           _ZL33csrmvn_symm_large_adaptive_kernelIiifdddEvbT_PKS0_N9rocsparse24const_host_device_scalarIT4_EES2_PKT0_PKT1_PKT2_S6_PT3_21rocsparse_index_base_b
    .private_segment_fixed_size: 0
    .sgpr_count:     30
    .sgpr_spill_count: 0
    .symbol:         _ZL33csrmvn_symm_large_adaptive_kernelIiifdddEvbT_PKS0_N9rocsparse24const_host_device_scalarIT4_EES2_PKT0_PKT1_PKT2_S6_PT3_21rocsparse_index_base_b.kd
    .uniform_work_group_size: 1
    .uses_dynamic_stack: false
    .vgpr_count:     17
    .vgpr_spill_count: 0
    .wavefront_size: 32
    .workgroup_processor_mode: 1
  - .args:
      - .offset:         0
        .size:           1
        .value_kind:     by_value
      - .offset:         8
        .size:           8
        .value_kind:     by_value
      - .actual_access:  read_only
        .address_space:  global
        .offset:         16
        .size:           8
        .value_kind:     global_buffer
      - .address_space:  global
        .offset:         24
        .size:           8
        .value_kind:     global_buffer
      - .actual_access:  read_only
        .address_space:  global
        .offset:         32
        .size:           8
        .value_kind:     global_buffer
      - .offset:         40
        .size:           8
        .value_kind:     by_value
      - .actual_access:  read_only
        .address_space:  global
        .offset:         48
        .size:           8
        .value_kind:     global_buffer
      - .actual_access:  read_only
        .address_space:  global
        .offset:         56
        .size:           8
        .value_kind:     global_buffer
      - .actual_access:  read_only
        .address_space:  global
        .offset:         64
        .size:           8
        .value_kind:     global_buffer
      - .actual_access:  read_only
        .address_space:  global
        .offset:         72
        .size:           8
        .value_kind:     global_buffer
      - .offset:         80
        .size:           8
        .value_kind:     by_value
      - .address_space:  global
        .offset:         88
        .size:           8
        .value_kind:     global_buffer
      - .offset:         96
        .size:           4
        .value_kind:     by_value
      - .offset:         100
        .size:           1
        .value_kind:     by_value
    .group_segment_fixed_size: 8192
    .kernarg_segment_align: 8
    .kernarg_segment_size: 104
    .language:       OpenCL C
    .language_version:
      - 2
      - 0
    .max_flat_workgroup_size: 256
    .name:           _ZN9rocsparseL22csrmvn_adaptive_kernelIlifdddEEvbT_PKS1_PjPKT0_NS_24const_host_device_scalarIT4_EES3_S7_PKT1_PKT2_SA_PT3_21rocsparse_index_base_b
    .private_segment_fixed_size: 0
    .sgpr_count:     52
    .sgpr_spill_count: 0
    .symbol:         _ZN9rocsparseL22csrmvn_adaptive_kernelIlifdddEEvbT_PKS1_PjPKT0_NS_24const_host_device_scalarIT4_EES3_S7_PKT1_PKT2_SA_PT3_21rocsparse_index_base_b.kd
    .uniform_work_group_size: 1
    .uses_dynamic_stack: false
    .vgpr_count:     22
    .vgpr_spill_count: 0
    .wavefront_size: 32
    .workgroup_processor_mode: 1
  - .args:
      - .offset:         0
        .size:           1
        .value_kind:     by_value
      - .offset:         8
        .size:           8
        .value_kind:     by_value
      - .offset:         16
        .size:           8
        .value_kind:     by_value
      - .actual_access:  read_only
        .address_space:  global
        .offset:         24
        .size:           8
        .value_kind:     global_buffer
      - .offset:         32
        .size:           8
        .value_kind:     by_value
      - .actual_access:  read_only
        .address_space:  global
        .offset:         40
        .size:           8
        .value_kind:     global_buffer
      - .actual_access:  read_only
        .address_space:  global
        .offset:         48
        .size:           8
        .value_kind:     global_buffer
      - .actual_access:  read_only
        .address_space:  global
        .offset:         56
        .size:           8
        .value_kind:     global_buffer
      - .actual_access:  read_only
        .address_space:  global
        .offset:         64
        .size:           8
        .value_kind:     global_buffer
      - .offset:         72
        .size:           8
        .value_kind:     by_value
      - .address_space:  global
        .offset:         80
        .size:           8
        .value_kind:     global_buffer
      - .offset:         88
        .size:           4
        .value_kind:     by_value
      - .offset:         92
        .size:           1
        .value_kind:     by_value
      - .offset:         96
        .size:           4
        .value_kind:     hidden_block_count_x
      - .offset:         100
        .size:           4
        .value_kind:     hidden_block_count_y
      - .offset:         104
        .size:           4
        .value_kind:     hidden_block_count_z
      - .offset:         108
        .size:           2
        .value_kind:     hidden_group_size_x
      - .offset:         110
        .size:           2
        .value_kind:     hidden_group_size_y
      - .offset:         112
        .size:           2
        .value_kind:     hidden_group_size_z
      - .offset:         114
        .size:           2
        .value_kind:     hidden_remainder_x
      - .offset:         116
        .size:           2
        .value_kind:     hidden_remainder_y
      - .offset:         118
        .size:           2
        .value_kind:     hidden_remainder_z
      - .offset:         136
        .size:           8
        .value_kind:     hidden_global_offset_x
      - .offset:         144
        .size:           8
        .value_kind:     hidden_global_offset_y
      - .offset:         152
        .size:           8
        .value_kind:     hidden_global_offset_z
      - .offset:         160
        .size:           2
        .value_kind:     hidden_grid_dims
      - .offset:         216
        .size:           4
        .value_kind:     hidden_dynamic_lds_size
    .group_segment_fixed_size: 8192
    .kernarg_segment_align: 8
    .kernarg_segment_size: 352
    .language:       OpenCL C
    .language_version:
      - 2
      - 0
    .max_flat_workgroup_size: 256
    .name:           _ZN9rocsparseL27csrmvn_symm_adaptive_kernelIlifdddEEvbT_S1_PKS1_NS_24const_host_device_scalarIT4_EES3_PKT0_PKT1_PKT2_S6_PT3_21rocsparse_index_base_b
    .private_segment_fixed_size: 0
    .sgpr_count:     43
    .sgpr_spill_count: 0
    .symbol:         _ZN9rocsparseL27csrmvn_symm_adaptive_kernelIlifdddEEvbT_S1_PKS1_NS_24const_host_device_scalarIT4_EES3_PKT0_PKT1_PKT2_S6_PT3_21rocsparse_index_base_b.kd
    .uniform_work_group_size: 1
    .uses_dynamic_stack: false
    .vgpr_count:     27
    .vgpr_spill_count: 0
    .wavefront_size: 32
    .workgroup_processor_mode: 1
  - .args:
      - .offset:         0
        .size:           1
        .value_kind:     by_value
      - .offset:         8
        .size:           8
        .value_kind:     by_value
      - .actual_access:  read_only
        .address_space:  global
        .offset:         16
        .size:           8
        .value_kind:     global_buffer
      - .offset:         24
        .size:           8
        .value_kind:     by_value
      - .actual_access:  read_only
        .address_space:  global
        .offset:         32
        .size:           8
        .value_kind:     global_buffer
      - .actual_access:  read_only
        .address_space:  global
        .offset:         40
        .size:           8
        .value_kind:     global_buffer
      - .actual_access:  read_only
        .address_space:  global
        .offset:         48
        .size:           8
        .value_kind:     global_buffer
      - .actual_access:  read_only
        .address_space:  global
        .offset:         56
        .size:           8
        .value_kind:     global_buffer
      - .offset:         64
        .size:           8
        .value_kind:     by_value
      - .address_space:  global
        .offset:         72
        .size:           8
        .value_kind:     global_buffer
      - .offset:         80
        .size:           4
        .value_kind:     by_value
      - .offset:         84
        .size:           1
        .value_kind:     by_value
    .group_segment_fixed_size: 8192
    .kernarg_segment_align: 8
    .kernarg_segment_size: 88
    .language:       OpenCL C
    .language_version:
      - 2
      - 0
    .max_flat_workgroup_size: 256
    .name:           _ZL33csrmvn_symm_large_adaptive_kernelIlifdddEvbT_PKS0_N9rocsparse24const_host_device_scalarIT4_EES2_PKT0_PKT1_PKT2_S6_PT3_21rocsparse_index_base_b
    .private_segment_fixed_size: 0
    .sgpr_count:     38
    .sgpr_spill_count: 0
    .symbol:         _ZL33csrmvn_symm_large_adaptive_kernelIlifdddEvbT_PKS0_N9rocsparse24const_host_device_scalarIT4_EES2_PKT0_PKT1_PKT2_S6_PT3_21rocsparse_index_base_b.kd
    .uniform_work_group_size: 1
    .uses_dynamic_stack: false
    .vgpr_count:     18
    .vgpr_spill_count: 0
    .wavefront_size: 32
    .workgroup_processor_mode: 1
  - .args:
      - .offset:         0
        .size:           1
        .value_kind:     by_value
      - .offset:         8
        .size:           8
        .value_kind:     by_value
      - .actual_access:  read_only
        .address_space:  global
        .offset:         16
        .size:           8
        .value_kind:     global_buffer
      - .address_space:  global
        .offset:         24
        .size:           8
        .value_kind:     global_buffer
      - .actual_access:  read_only
        .address_space:  global
        .offset:         32
        .size:           8
        .value_kind:     global_buffer
      - .offset:         40
        .size:           8
        .value_kind:     by_value
      - .actual_access:  read_only
        .address_space:  global
        .offset:         48
        .size:           8
        .value_kind:     global_buffer
      - .actual_access:  read_only
        .address_space:  global
        .offset:         56
        .size:           8
        .value_kind:     global_buffer
      - .actual_access:  read_only
        .address_space:  global
        .offset:         64
        .size:           8
        .value_kind:     global_buffer
      - .actual_access:  read_only
        .address_space:  global
        .offset:         72
        .size:           8
        .value_kind:     global_buffer
      - .offset:         80
        .size:           8
        .value_kind:     by_value
      - .address_space:  global
        .offset:         88
        .size:           8
        .value_kind:     global_buffer
      - .offset:         96
        .size:           4
        .value_kind:     by_value
      - .offset:         100
        .size:           1
        .value_kind:     by_value
    .group_segment_fixed_size: 8192
    .kernarg_segment_align: 8
    .kernarg_segment_size: 104
    .language:       OpenCL C
    .language_version:
      - 2
      - 0
    .max_flat_workgroup_size: 256
    .name:           _ZN9rocsparseL22csrmvn_adaptive_kernelIllfdddEEvbT_PKS1_PjPKT0_NS_24const_host_device_scalarIT4_EES3_S7_PKT1_PKT2_SA_PT3_21rocsparse_index_base_b
    .private_segment_fixed_size: 0
    .sgpr_count:     52
    .sgpr_spill_count: 0
    .symbol:         _ZN9rocsparseL22csrmvn_adaptive_kernelIllfdddEEvbT_PKS1_PjPKT0_NS_24const_host_device_scalarIT4_EES3_S7_PKT1_PKT2_SA_PT3_21rocsparse_index_base_b.kd
    .uniform_work_group_size: 1
    .uses_dynamic_stack: false
    .vgpr_count:     22
    .vgpr_spill_count: 0
    .wavefront_size: 32
    .workgroup_processor_mode: 1
  - .args:
      - .offset:         0
        .size:           1
        .value_kind:     by_value
      - .offset:         8
        .size:           8
        .value_kind:     by_value
      - .offset:         16
        .size:           8
        .value_kind:     by_value
      - .actual_access:  read_only
        .address_space:  global
        .offset:         24
        .size:           8
        .value_kind:     global_buffer
      - .offset:         32
        .size:           8
        .value_kind:     by_value
      - .actual_access:  read_only
        .address_space:  global
        .offset:         40
        .size:           8
        .value_kind:     global_buffer
      - .actual_access:  read_only
        .address_space:  global
        .offset:         48
        .size:           8
        .value_kind:     global_buffer
      - .actual_access:  read_only
        .address_space:  global
        .offset:         56
        .size:           8
        .value_kind:     global_buffer
      - .actual_access:  read_only
        .address_space:  global
        .offset:         64
        .size:           8
        .value_kind:     global_buffer
      - .offset:         72
        .size:           8
        .value_kind:     by_value
      - .address_space:  global
        .offset:         80
        .size:           8
        .value_kind:     global_buffer
      - .offset:         88
        .size:           4
        .value_kind:     by_value
      - .offset:         92
        .size:           1
        .value_kind:     by_value
      - .offset:         96
        .size:           4
        .value_kind:     hidden_block_count_x
      - .offset:         100
        .size:           4
        .value_kind:     hidden_block_count_y
      - .offset:         104
        .size:           4
        .value_kind:     hidden_block_count_z
      - .offset:         108
        .size:           2
        .value_kind:     hidden_group_size_x
      - .offset:         110
        .size:           2
        .value_kind:     hidden_group_size_y
      - .offset:         112
        .size:           2
        .value_kind:     hidden_group_size_z
      - .offset:         114
        .size:           2
        .value_kind:     hidden_remainder_x
      - .offset:         116
        .size:           2
        .value_kind:     hidden_remainder_y
      - .offset:         118
        .size:           2
        .value_kind:     hidden_remainder_z
      - .offset:         136
        .size:           8
        .value_kind:     hidden_global_offset_x
      - .offset:         144
        .size:           8
        .value_kind:     hidden_global_offset_y
      - .offset:         152
        .size:           8
        .value_kind:     hidden_global_offset_z
      - .offset:         160
        .size:           2
        .value_kind:     hidden_grid_dims
      - .offset:         216
        .size:           4
        .value_kind:     hidden_dynamic_lds_size
    .group_segment_fixed_size: 8192
    .kernarg_segment_align: 8
    .kernarg_segment_size: 352
    .language:       OpenCL C
    .language_version:
      - 2
      - 0
    .max_flat_workgroup_size: 256
    .name:           _ZN9rocsparseL27csrmvn_symm_adaptive_kernelIllfdddEEvbT_S1_PKS1_NS_24const_host_device_scalarIT4_EES3_PKT0_PKT1_PKT2_S6_PT3_21rocsparse_index_base_b
    .private_segment_fixed_size: 0
    .sgpr_count:     43
    .sgpr_spill_count: 0
    .symbol:         _ZN9rocsparseL27csrmvn_symm_adaptive_kernelIllfdddEEvbT_S1_PKS1_NS_24const_host_device_scalarIT4_EES3_PKT0_PKT1_PKT2_S6_PT3_21rocsparse_index_base_b.kd
    .uniform_work_group_size: 1
    .uses_dynamic_stack: false
    .vgpr_count:     27
    .vgpr_spill_count: 0
    .wavefront_size: 32
    .workgroup_processor_mode: 1
  - .args:
      - .offset:         0
        .size:           1
        .value_kind:     by_value
      - .offset:         8
        .size:           8
        .value_kind:     by_value
      - .actual_access:  read_only
        .address_space:  global
        .offset:         16
        .size:           8
        .value_kind:     global_buffer
      - .offset:         24
        .size:           8
        .value_kind:     by_value
      - .actual_access:  read_only
        .address_space:  global
        .offset:         32
        .size:           8
        .value_kind:     global_buffer
      - .actual_access:  read_only
        .address_space:  global
        .offset:         40
        .size:           8
        .value_kind:     global_buffer
      - .actual_access:  read_only
        .address_space:  global
        .offset:         48
        .size:           8
        .value_kind:     global_buffer
      - .actual_access:  read_only
        .address_space:  global
        .offset:         56
        .size:           8
        .value_kind:     global_buffer
      - .offset:         64
        .size:           8
        .value_kind:     by_value
      - .address_space:  global
        .offset:         72
        .size:           8
        .value_kind:     global_buffer
      - .offset:         80
        .size:           4
        .value_kind:     by_value
      - .offset:         84
        .size:           1
        .value_kind:     by_value
    .group_segment_fixed_size: 8192
    .kernarg_segment_align: 8
    .kernarg_segment_size: 88
    .language:       OpenCL C
    .language_version:
      - 2
      - 0
    .max_flat_workgroup_size: 256
    .name:           _ZL33csrmvn_symm_large_adaptive_kernelIllfdddEvbT_PKS0_N9rocsparse24const_host_device_scalarIT4_EES2_PKT0_PKT1_PKT2_S6_PT3_21rocsparse_index_base_b
    .private_segment_fixed_size: 0
    .sgpr_count:     38
    .sgpr_spill_count: 0
    .symbol:         _ZL33csrmvn_symm_large_adaptive_kernelIllfdddEvbT_PKS0_N9rocsparse24const_host_device_scalarIT4_EES2_PKT0_PKT1_PKT2_S6_PT3_21rocsparse_index_base_b.kd
    .uniform_work_group_size: 1
    .uses_dynamic_stack: false
    .vgpr_count:     18
    .vgpr_spill_count: 0
    .wavefront_size: 32
    .workgroup_processor_mode: 1
  - .args:
      - .offset:         0
        .size:           1
        .value_kind:     by_value
      - .offset:         4
        .size:           4
        .value_kind:     by_value
      - .actual_access:  read_only
        .address_space:  global
        .offset:         8
        .size:           8
        .value_kind:     global_buffer
      - .address_space:  global
        .offset:         16
        .size:           8
        .value_kind:     global_buffer
      - .actual_access:  read_only
        .address_space:  global
        .offset:         24
        .size:           8
        .value_kind:     global_buffer
      - .offset:         32
        .size:           16
        .value_kind:     by_value
      - .actual_access:  read_only
        .address_space:  global
        .offset:         48
        .size:           8
        .value_kind:     global_buffer
      - .actual_access:  read_only
        .address_space:  global
        .offset:         56
        .size:           8
        .value_kind:     global_buffer
      - .actual_access:  read_only
        .address_space:  global
        .offset:         64
        .size:           8
        .value_kind:     global_buffer
      - .actual_access:  read_only
        .address_space:  global
        .offset:         72
        .size:           8
        .value_kind:     global_buffer
      - .offset:         80
        .size:           16
        .value_kind:     by_value
      - .address_space:  global
        .offset:         96
        .size:           8
        .value_kind:     global_buffer
      - .offset:         104
        .size:           4
        .value_kind:     by_value
      - .offset:         108
        .size:           1
        .value_kind:     by_value
    .group_segment_fixed_size: 16384
    .kernarg_segment_align: 8
    .kernarg_segment_size: 112
    .language:       OpenCL C
    .language_version:
      - 2
      - 0
    .max_flat_workgroup_size: 256
    .name:           _ZN9rocsparseL22csrmvn_adaptive_kernelIiid21rocsparse_complex_numIdES2_S2_EEvbT_PKS3_PjPKT0_NS_24const_host_device_scalarIT4_EES5_S9_PKT1_PKT2_SC_PT3_21rocsparse_index_base_b
    .private_segment_fixed_size: 24
    .sgpr_count:     45
    .sgpr_spill_count: 0
    .symbol:         _ZN9rocsparseL22csrmvn_adaptive_kernelIiid21rocsparse_complex_numIdES2_S2_EEvbT_PKS3_PjPKT0_NS_24const_host_device_scalarIT4_EES5_S9_PKT1_PKT2_SC_PT3_21rocsparse_index_base_b.kd
    .uniform_work_group_size: 1
    .uses_dynamic_stack: false
    .vgpr_count:     48
    .vgpr_spill_count: 0
    .wavefront_size: 32
    .workgroup_processor_mode: 1
  - .args:
      - .offset:         0
        .size:           1
        .value_kind:     by_value
      - .offset:         4
        .size:           4
        .value_kind:     by_value
      - .offset:         8
        .size:           4
        .value_kind:     by_value
      - .actual_access:  read_only
        .address_space:  global
        .offset:         16
        .size:           8
        .value_kind:     global_buffer
      - .offset:         24
        .size:           16
        .value_kind:     by_value
      - .actual_access:  read_only
        .address_space:  global
        .offset:         40
        .size:           8
        .value_kind:     global_buffer
      - .actual_access:  read_only
        .address_space:  global
        .offset:         48
        .size:           8
        .value_kind:     global_buffer
      - .actual_access:  read_only
        .address_space:  global
        .offset:         56
        .size:           8
        .value_kind:     global_buffer
      - .actual_access:  read_only
        .address_space:  global
        .offset:         64
        .size:           8
        .value_kind:     global_buffer
      - .offset:         72
        .size:           16
        .value_kind:     by_value
      - .address_space:  global
        .offset:         88
        .size:           8
        .value_kind:     global_buffer
      - .offset:         96
        .size:           4
        .value_kind:     by_value
      - .offset:         100
        .size:           1
        .value_kind:     by_value
      - .offset:         104
        .size:           4
        .value_kind:     hidden_block_count_x
      - .offset:         108
        .size:           4
        .value_kind:     hidden_block_count_y
      - .offset:         112
        .size:           4
        .value_kind:     hidden_block_count_z
      - .offset:         116
        .size:           2
        .value_kind:     hidden_group_size_x
      - .offset:         118
        .size:           2
        .value_kind:     hidden_group_size_y
      - .offset:         120
        .size:           2
        .value_kind:     hidden_group_size_z
      - .offset:         122
        .size:           2
        .value_kind:     hidden_remainder_x
      - .offset:         124
        .size:           2
        .value_kind:     hidden_remainder_y
      - .offset:         126
        .size:           2
        .value_kind:     hidden_remainder_z
      - .offset:         144
        .size:           8
        .value_kind:     hidden_global_offset_x
      - .offset:         152
        .size:           8
        .value_kind:     hidden_global_offset_y
      - .offset:         160
        .size:           8
        .value_kind:     hidden_global_offset_z
      - .offset:         168
        .size:           2
        .value_kind:     hidden_grid_dims
      - .offset:         224
        .size:           4
        .value_kind:     hidden_dynamic_lds_size
    .group_segment_fixed_size: 16384
    .kernarg_segment_align: 8
    .kernarg_segment_size: 360
    .language:       OpenCL C
    .language_version:
      - 2
      - 0
    .max_flat_workgroup_size: 256
    .name:           _ZN9rocsparseL27csrmvn_symm_adaptive_kernelIiid21rocsparse_complex_numIdES2_S2_EEvbT_S3_PKS3_NS_24const_host_device_scalarIT4_EES5_PKT0_PKT1_PKT2_S8_PT3_21rocsparse_index_base_b
    .private_segment_fixed_size: 24
    .sgpr_count:     34
    .sgpr_spill_count: 0
    .symbol:         _ZN9rocsparseL27csrmvn_symm_adaptive_kernelIiid21rocsparse_complex_numIdES2_S2_EEvbT_S3_PKS3_NS_24const_host_device_scalarIT4_EES5_PKT0_PKT1_PKT2_S8_PT3_21rocsparse_index_base_b.kd
    .uniform_work_group_size: 1
    .uses_dynamic_stack: false
    .vgpr_count:     29
    .vgpr_spill_count: 0
    .wavefront_size: 32
    .workgroup_processor_mode: 1
  - .args:
      - .offset:         0
        .size:           1
        .value_kind:     by_value
      - .offset:         4
        .size:           4
        .value_kind:     by_value
      - .actual_access:  read_only
        .address_space:  global
        .offset:         8
        .size:           8
        .value_kind:     global_buffer
      - .offset:         16
        .size:           16
        .value_kind:     by_value
      - .actual_access:  read_only
        .address_space:  global
        .offset:         32
        .size:           8
        .value_kind:     global_buffer
      - .actual_access:  read_only
        .address_space:  global
        .offset:         40
        .size:           8
        .value_kind:     global_buffer
      - .actual_access:  read_only
        .address_space:  global
        .offset:         48
        .size:           8
        .value_kind:     global_buffer
      - .actual_access:  read_only
        .address_space:  global
        .offset:         56
        .size:           8
        .value_kind:     global_buffer
      - .offset:         64
        .size:           16
        .value_kind:     by_value
      - .address_space:  global
        .offset:         80
        .size:           8
        .value_kind:     global_buffer
      - .offset:         88
        .size:           4
        .value_kind:     by_value
      - .offset:         92
        .size:           1
        .value_kind:     by_value
    .group_segment_fixed_size: 16384
    .kernarg_segment_align: 8
    .kernarg_segment_size: 96
    .language:       OpenCL C
    .language_version:
      - 2
      - 0
    .max_flat_workgroup_size: 256
    .name:           _ZL33csrmvn_symm_large_adaptive_kernelIiid21rocsparse_complex_numIdES1_S1_EvbT_PKS2_N9rocsparse24const_host_device_scalarIT4_EES4_PKT0_PKT1_PKT2_S8_PT3_21rocsparse_index_base_b
    .private_segment_fixed_size: 24
    .sgpr_count:     32
    .sgpr_spill_count: 0
    .symbol:         _ZL33csrmvn_symm_large_adaptive_kernelIiid21rocsparse_complex_numIdES1_S1_EvbT_PKS2_N9rocsparse24const_host_device_scalarIT4_EES4_PKT0_PKT1_PKT2_S8_PT3_21rocsparse_index_base_b.kd
    .uniform_work_group_size: 1
    .uses_dynamic_stack: false
    .vgpr_count:     26
    .vgpr_spill_count: 0
    .wavefront_size: 32
    .workgroup_processor_mode: 1
  - .args:
      - .offset:         0
        .size:           1
        .value_kind:     by_value
      - .offset:         8
        .size:           8
        .value_kind:     by_value
      - .actual_access:  read_only
        .address_space:  global
        .offset:         16
        .size:           8
        .value_kind:     global_buffer
      - .address_space:  global
        .offset:         24
        .size:           8
        .value_kind:     global_buffer
      - .actual_access:  read_only
        .address_space:  global
        .offset:         32
        .size:           8
        .value_kind:     global_buffer
      - .offset:         40
        .size:           16
        .value_kind:     by_value
      - .actual_access:  read_only
        .address_space:  global
        .offset:         56
        .size:           8
        .value_kind:     global_buffer
      - .actual_access:  read_only
        .address_space:  global
        .offset:         64
        .size:           8
        .value_kind:     global_buffer
      - .actual_access:  read_only
        .address_space:  global
        .offset:         72
        .size:           8
        .value_kind:     global_buffer
      - .actual_access:  read_only
        .address_space:  global
        .offset:         80
        .size:           8
        .value_kind:     global_buffer
      - .offset:         88
        .size:           16
        .value_kind:     by_value
      - .address_space:  global
        .offset:         104
        .size:           8
        .value_kind:     global_buffer
      - .offset:         112
        .size:           4
        .value_kind:     by_value
      - .offset:         116
        .size:           1
        .value_kind:     by_value
    .group_segment_fixed_size: 16384
    .kernarg_segment_align: 8
    .kernarg_segment_size: 120
    .language:       OpenCL C
    .language_version:
      - 2
      - 0
    .max_flat_workgroup_size: 256
    .name:           _ZN9rocsparseL22csrmvn_adaptive_kernelIlid21rocsparse_complex_numIdES2_S2_EEvbT_PKS3_PjPKT0_NS_24const_host_device_scalarIT4_EES5_S9_PKT1_PKT2_SC_PT3_21rocsparse_index_base_b
    .private_segment_fixed_size: 24
    .sgpr_count:     48
    .sgpr_spill_count: 0
    .symbol:         _ZN9rocsparseL22csrmvn_adaptive_kernelIlid21rocsparse_complex_numIdES2_S2_EEvbT_PKS3_PjPKT0_NS_24const_host_device_scalarIT4_EES5_S9_PKT1_PKT2_SC_PT3_21rocsparse_index_base_b.kd
    .uniform_work_group_size: 1
    .uses_dynamic_stack: false
    .vgpr_count:     48
    .vgpr_spill_count: 0
    .wavefront_size: 32
    .workgroup_processor_mode: 1
  - .args:
      - .offset:         0
        .size:           1
        .value_kind:     by_value
      - .offset:         8
        .size:           8
        .value_kind:     by_value
      - .offset:         16
        .size:           8
        .value_kind:     by_value
      - .actual_access:  read_only
        .address_space:  global
        .offset:         24
        .size:           8
        .value_kind:     global_buffer
      - .offset:         32
        .size:           16
        .value_kind:     by_value
      - .actual_access:  read_only
        .address_space:  global
        .offset:         48
        .size:           8
        .value_kind:     global_buffer
      - .actual_access:  read_only
        .address_space:  global
        .offset:         56
        .size:           8
        .value_kind:     global_buffer
      - .actual_access:  read_only
        .address_space:  global
        .offset:         64
        .size:           8
        .value_kind:     global_buffer
      - .actual_access:  read_only
        .address_space:  global
        .offset:         72
        .size:           8
        .value_kind:     global_buffer
      - .offset:         80
        .size:           16
        .value_kind:     by_value
      - .address_space:  global
        .offset:         96
        .size:           8
        .value_kind:     global_buffer
      - .offset:         104
        .size:           4
        .value_kind:     by_value
      - .offset:         108
        .size:           1
        .value_kind:     by_value
      - .offset:         112
        .size:           4
        .value_kind:     hidden_block_count_x
      - .offset:         116
        .size:           4
        .value_kind:     hidden_block_count_y
      - .offset:         120
        .size:           4
        .value_kind:     hidden_block_count_z
      - .offset:         124
        .size:           2
        .value_kind:     hidden_group_size_x
      - .offset:         126
        .size:           2
        .value_kind:     hidden_group_size_y
      - .offset:         128
        .size:           2
        .value_kind:     hidden_group_size_z
      - .offset:         130
        .size:           2
        .value_kind:     hidden_remainder_x
      - .offset:         132
        .size:           2
        .value_kind:     hidden_remainder_y
      - .offset:         134
        .size:           2
        .value_kind:     hidden_remainder_z
      - .offset:         152
        .size:           8
        .value_kind:     hidden_global_offset_x
      - .offset:         160
        .size:           8
        .value_kind:     hidden_global_offset_y
      - .offset:         168
        .size:           8
        .value_kind:     hidden_global_offset_z
      - .offset:         176
        .size:           2
        .value_kind:     hidden_grid_dims
      - .offset:         232
        .size:           4
        .value_kind:     hidden_dynamic_lds_size
    .group_segment_fixed_size: 16384
    .kernarg_segment_align: 8
    .kernarg_segment_size: 368
    .language:       OpenCL C
    .language_version:
      - 2
      - 0
    .max_flat_workgroup_size: 256
    .name:           _ZN9rocsparseL27csrmvn_symm_adaptive_kernelIlid21rocsparse_complex_numIdES2_S2_EEvbT_S3_PKS3_NS_24const_host_device_scalarIT4_EES5_PKT0_PKT1_PKT2_S8_PT3_21rocsparse_index_base_b
    .private_segment_fixed_size: 24
    .sgpr_count:     43
    .sgpr_spill_count: 0
    .symbol:         _ZN9rocsparseL27csrmvn_symm_adaptive_kernelIlid21rocsparse_complex_numIdES2_S2_EEvbT_S3_PKS3_NS_24const_host_device_scalarIT4_EES5_PKT0_PKT1_PKT2_S8_PT3_21rocsparse_index_base_b.kd
    .uniform_work_group_size: 1
    .uses_dynamic_stack: false
    .vgpr_count:     34
    .vgpr_spill_count: 0
    .wavefront_size: 32
    .workgroup_processor_mode: 1
  - .args:
      - .offset:         0
        .size:           1
        .value_kind:     by_value
      - .offset:         8
        .size:           8
        .value_kind:     by_value
      - .actual_access:  read_only
        .address_space:  global
        .offset:         16
        .size:           8
        .value_kind:     global_buffer
      - .offset:         24
        .size:           16
        .value_kind:     by_value
      - .actual_access:  read_only
        .address_space:  global
        .offset:         40
        .size:           8
        .value_kind:     global_buffer
      - .actual_access:  read_only
        .address_space:  global
        .offset:         48
        .size:           8
        .value_kind:     global_buffer
      - .actual_access:  read_only
        .address_space:  global
        .offset:         56
        .size:           8
        .value_kind:     global_buffer
      - .actual_access:  read_only
        .address_space:  global
        .offset:         64
        .size:           8
        .value_kind:     global_buffer
      - .offset:         72
        .size:           16
        .value_kind:     by_value
      - .address_space:  global
        .offset:         88
        .size:           8
        .value_kind:     global_buffer
      - .offset:         96
        .size:           4
        .value_kind:     by_value
      - .offset:         100
        .size:           1
        .value_kind:     by_value
    .group_segment_fixed_size: 16384
    .kernarg_segment_align: 8
    .kernarg_segment_size: 104
    .language:       OpenCL C
    .language_version:
      - 2
      - 0
    .max_flat_workgroup_size: 256
    .name:           _ZL33csrmvn_symm_large_adaptive_kernelIlid21rocsparse_complex_numIdES1_S1_EvbT_PKS2_N9rocsparse24const_host_device_scalarIT4_EES4_PKT0_PKT1_PKT2_S8_PT3_21rocsparse_index_base_b
    .private_segment_fixed_size: 24
    .sgpr_count:     38
    .sgpr_spill_count: 0
    .symbol:         _ZL33csrmvn_symm_large_adaptive_kernelIlid21rocsparse_complex_numIdES1_S1_EvbT_PKS2_N9rocsparse24const_host_device_scalarIT4_EES4_PKT0_PKT1_PKT2_S8_PT3_21rocsparse_index_base_b.kd
    .uniform_work_group_size: 1
    .uses_dynamic_stack: false
    .vgpr_count:     26
    .vgpr_spill_count: 0
    .wavefront_size: 32
    .workgroup_processor_mode: 1
  - .args:
      - .offset:         0
        .size:           1
        .value_kind:     by_value
      - .offset:         8
        .size:           8
        .value_kind:     by_value
      - .actual_access:  read_only
        .address_space:  global
        .offset:         16
        .size:           8
        .value_kind:     global_buffer
      - .address_space:  global
        .offset:         24
        .size:           8
        .value_kind:     global_buffer
      - .actual_access:  read_only
        .address_space:  global
        .offset:         32
        .size:           8
        .value_kind:     global_buffer
      - .offset:         40
        .size:           16
        .value_kind:     by_value
      - .actual_access:  read_only
        .address_space:  global
        .offset:         56
        .size:           8
        .value_kind:     global_buffer
      - .actual_access:  read_only
        .address_space:  global
        .offset:         64
        .size:           8
        .value_kind:     global_buffer
      - .actual_access:  read_only
        .address_space:  global
        .offset:         72
        .size:           8
        .value_kind:     global_buffer
      - .actual_access:  read_only
        .address_space:  global
        .offset:         80
        .size:           8
        .value_kind:     global_buffer
      - .offset:         88
        .size:           16
        .value_kind:     by_value
      - .address_space:  global
        .offset:         104
        .size:           8
        .value_kind:     global_buffer
      - .offset:         112
        .size:           4
        .value_kind:     by_value
      - .offset:         116
        .size:           1
        .value_kind:     by_value
    .group_segment_fixed_size: 16384
    .kernarg_segment_align: 8
    .kernarg_segment_size: 120
    .language:       OpenCL C
    .language_version:
      - 2
      - 0
    .max_flat_workgroup_size: 256
    .name:           _ZN9rocsparseL22csrmvn_adaptive_kernelIlld21rocsparse_complex_numIdES2_S2_EEvbT_PKS3_PjPKT0_NS_24const_host_device_scalarIT4_EES5_S9_PKT1_PKT2_SC_PT3_21rocsparse_index_base_b
    .private_segment_fixed_size: 24
    .sgpr_count:     48
    .sgpr_spill_count: 0
    .symbol:         _ZN9rocsparseL22csrmvn_adaptive_kernelIlld21rocsparse_complex_numIdES2_S2_EEvbT_PKS3_PjPKT0_NS_24const_host_device_scalarIT4_EES5_S9_PKT1_PKT2_SC_PT3_21rocsparse_index_base_b.kd
    .uniform_work_group_size: 1
    .uses_dynamic_stack: false
    .vgpr_count:     48
    .vgpr_spill_count: 0
    .wavefront_size: 32
    .workgroup_processor_mode: 1
  - .args:
      - .offset:         0
        .size:           1
        .value_kind:     by_value
      - .offset:         8
        .size:           8
        .value_kind:     by_value
      - .offset:         16
        .size:           8
        .value_kind:     by_value
      - .actual_access:  read_only
        .address_space:  global
        .offset:         24
        .size:           8
        .value_kind:     global_buffer
      - .offset:         32
        .size:           16
        .value_kind:     by_value
      - .actual_access:  read_only
        .address_space:  global
        .offset:         48
        .size:           8
        .value_kind:     global_buffer
      - .actual_access:  read_only
        .address_space:  global
        .offset:         56
        .size:           8
        .value_kind:     global_buffer
      - .actual_access:  read_only
        .address_space:  global
        .offset:         64
        .size:           8
        .value_kind:     global_buffer
      - .actual_access:  read_only
        .address_space:  global
        .offset:         72
        .size:           8
        .value_kind:     global_buffer
      - .offset:         80
        .size:           16
        .value_kind:     by_value
      - .address_space:  global
        .offset:         96
        .size:           8
        .value_kind:     global_buffer
      - .offset:         104
        .size:           4
        .value_kind:     by_value
      - .offset:         108
        .size:           1
        .value_kind:     by_value
      - .offset:         112
        .size:           4
        .value_kind:     hidden_block_count_x
      - .offset:         116
        .size:           4
        .value_kind:     hidden_block_count_y
      - .offset:         120
        .size:           4
        .value_kind:     hidden_block_count_z
      - .offset:         124
        .size:           2
        .value_kind:     hidden_group_size_x
      - .offset:         126
        .size:           2
        .value_kind:     hidden_group_size_y
      - .offset:         128
        .size:           2
        .value_kind:     hidden_group_size_z
      - .offset:         130
        .size:           2
        .value_kind:     hidden_remainder_x
      - .offset:         132
        .size:           2
        .value_kind:     hidden_remainder_y
      - .offset:         134
        .size:           2
        .value_kind:     hidden_remainder_z
      - .offset:         152
        .size:           8
        .value_kind:     hidden_global_offset_x
      - .offset:         160
        .size:           8
        .value_kind:     hidden_global_offset_y
      - .offset:         168
        .size:           8
        .value_kind:     hidden_global_offset_z
      - .offset:         176
        .size:           2
        .value_kind:     hidden_grid_dims
      - .offset:         232
        .size:           4
        .value_kind:     hidden_dynamic_lds_size
    .group_segment_fixed_size: 16384
    .kernarg_segment_align: 8
    .kernarg_segment_size: 368
    .language:       OpenCL C
    .language_version:
      - 2
      - 0
    .max_flat_workgroup_size: 256
    .name:           _ZN9rocsparseL27csrmvn_symm_adaptive_kernelIlld21rocsparse_complex_numIdES2_S2_EEvbT_S3_PKS3_NS_24const_host_device_scalarIT4_EES5_PKT0_PKT1_PKT2_S8_PT3_21rocsparse_index_base_b
    .private_segment_fixed_size: 24
    .sgpr_count:     43
    .sgpr_spill_count: 0
    .symbol:         _ZN9rocsparseL27csrmvn_symm_adaptive_kernelIlld21rocsparse_complex_numIdES2_S2_EEvbT_S3_PKS3_NS_24const_host_device_scalarIT4_EES5_PKT0_PKT1_PKT2_S8_PT3_21rocsparse_index_base_b.kd
    .uniform_work_group_size: 1
    .uses_dynamic_stack: false
    .vgpr_count:     34
    .vgpr_spill_count: 0
    .wavefront_size: 32
    .workgroup_processor_mode: 1
  - .args:
      - .offset:         0
        .size:           1
        .value_kind:     by_value
      - .offset:         8
        .size:           8
        .value_kind:     by_value
      - .actual_access:  read_only
        .address_space:  global
        .offset:         16
        .size:           8
        .value_kind:     global_buffer
      - .offset:         24
        .size:           16
        .value_kind:     by_value
      - .actual_access:  read_only
        .address_space:  global
        .offset:         40
        .size:           8
        .value_kind:     global_buffer
      - .actual_access:  read_only
        .address_space:  global
        .offset:         48
        .size:           8
        .value_kind:     global_buffer
      - .actual_access:  read_only
        .address_space:  global
        .offset:         56
        .size:           8
        .value_kind:     global_buffer
      - .actual_access:  read_only
        .address_space:  global
        .offset:         64
        .size:           8
        .value_kind:     global_buffer
      - .offset:         72
        .size:           16
        .value_kind:     by_value
      - .address_space:  global
        .offset:         88
        .size:           8
        .value_kind:     global_buffer
      - .offset:         96
        .size:           4
        .value_kind:     by_value
      - .offset:         100
        .size:           1
        .value_kind:     by_value
    .group_segment_fixed_size: 16384
    .kernarg_segment_align: 8
    .kernarg_segment_size: 104
    .language:       OpenCL C
    .language_version:
      - 2
      - 0
    .max_flat_workgroup_size: 256
    .name:           _ZL33csrmvn_symm_large_adaptive_kernelIlld21rocsparse_complex_numIdES1_S1_EvbT_PKS2_N9rocsparse24const_host_device_scalarIT4_EES4_PKT0_PKT1_PKT2_S8_PT3_21rocsparse_index_base_b
    .private_segment_fixed_size: 24
    .sgpr_count:     38
    .sgpr_spill_count: 0
    .symbol:         _ZL33csrmvn_symm_large_adaptive_kernelIlld21rocsparse_complex_numIdES1_S1_EvbT_PKS2_N9rocsparse24const_host_device_scalarIT4_EES4_PKT0_PKT1_PKT2_S8_PT3_21rocsparse_index_base_b.kd
    .uniform_work_group_size: 1
    .uses_dynamic_stack: false
    .vgpr_count:     26
    .vgpr_spill_count: 0
    .wavefront_size: 32
    .workgroup_processor_mode: 1
  - .args:
      - .offset:         0
        .size:           1
        .value_kind:     by_value
      - .offset:         4
        .size:           4
        .value_kind:     by_value
      - .actual_access:  read_only
        .address_space:  global
        .offset:         8
        .size:           8
        .value_kind:     global_buffer
      - .address_space:  global
        .offset:         16
        .size:           8
        .value_kind:     global_buffer
      - .actual_access:  read_only
        .address_space:  global
        .offset:         24
        .size:           8
        .value_kind:     global_buffer
      - .offset:         32
        .size:           16
        .value_kind:     by_value
      - .actual_access:  read_only
        .address_space:  global
        .offset:         48
        .size:           8
        .value_kind:     global_buffer
      - .actual_access:  read_only
        .address_space:  global
        .offset:         56
        .size:           8
        .value_kind:     global_buffer
      - .actual_access:  read_only
        .address_space:  global
        .offset:         64
        .size:           8
        .value_kind:     global_buffer
      - .actual_access:  read_only
        .address_space:  global
        .offset:         72
        .size:           8
        .value_kind:     global_buffer
      - .offset:         80
        .size:           16
        .value_kind:     by_value
      - .address_space:  global
        .offset:         96
        .size:           8
        .value_kind:     global_buffer
      - .offset:         104
        .size:           4
        .value_kind:     by_value
      - .offset:         108
        .size:           1
        .value_kind:     by_value
    .group_segment_fixed_size: 16384
    .kernarg_segment_align: 8
    .kernarg_segment_size: 112
    .language:       OpenCL C
    .language_version:
      - 2
      - 0
    .max_flat_workgroup_size: 256
    .name:           _ZN9rocsparseL22csrmvn_adaptive_kernelIii21rocsparse_complex_numIfES1_IdES3_S3_EEvbT_PKS4_PjPKT0_NS_24const_host_device_scalarIT4_EES6_SA_PKT1_PKT2_SD_PT3_21rocsparse_index_base_b
    .private_segment_fixed_size: 24
    .sgpr_count:     49
    .sgpr_spill_count: 0
    .symbol:         _ZN9rocsparseL22csrmvn_adaptive_kernelIii21rocsparse_complex_numIfES1_IdES3_S3_EEvbT_PKS4_PjPKT0_NS_24const_host_device_scalarIT4_EES6_SA_PKT1_PKT2_SD_PT3_21rocsparse_index_base_b.kd
    .uniform_work_group_size: 1
    .uses_dynamic_stack: false
    .vgpr_count:     50
    .vgpr_spill_count: 0
    .wavefront_size: 32
    .workgroup_processor_mode: 1
  - .args:
      - .offset:         0
        .size:           1
        .value_kind:     by_value
      - .offset:         4
        .size:           4
        .value_kind:     by_value
      - .offset:         8
        .size:           4
        .value_kind:     by_value
      - .actual_access:  read_only
        .address_space:  global
        .offset:         16
        .size:           8
        .value_kind:     global_buffer
      - .offset:         24
        .size:           16
        .value_kind:     by_value
      - .actual_access:  read_only
        .address_space:  global
        .offset:         40
        .size:           8
        .value_kind:     global_buffer
      - .actual_access:  read_only
        .address_space:  global
        .offset:         48
        .size:           8
        .value_kind:     global_buffer
      - .actual_access:  read_only
        .address_space:  global
        .offset:         56
        .size:           8
        .value_kind:     global_buffer
      - .actual_access:  read_only
        .address_space:  global
        .offset:         64
        .size:           8
        .value_kind:     global_buffer
      - .offset:         72
        .size:           16
        .value_kind:     by_value
      - .address_space:  global
        .offset:         88
        .size:           8
        .value_kind:     global_buffer
      - .offset:         96
        .size:           4
        .value_kind:     by_value
      - .offset:         100
        .size:           1
        .value_kind:     by_value
      - .offset:         104
        .size:           4
        .value_kind:     hidden_block_count_x
      - .offset:         108
        .size:           4
        .value_kind:     hidden_block_count_y
      - .offset:         112
        .size:           4
        .value_kind:     hidden_block_count_z
      - .offset:         116
        .size:           2
        .value_kind:     hidden_group_size_x
      - .offset:         118
        .size:           2
        .value_kind:     hidden_group_size_y
      - .offset:         120
        .size:           2
        .value_kind:     hidden_group_size_z
      - .offset:         122
        .size:           2
        .value_kind:     hidden_remainder_x
      - .offset:         124
        .size:           2
        .value_kind:     hidden_remainder_y
      - .offset:         126
        .size:           2
        .value_kind:     hidden_remainder_z
      - .offset:         144
        .size:           8
        .value_kind:     hidden_global_offset_x
      - .offset:         152
        .size:           8
        .value_kind:     hidden_global_offset_y
      - .offset:         160
        .size:           8
        .value_kind:     hidden_global_offset_z
      - .offset:         168
        .size:           2
        .value_kind:     hidden_grid_dims
      - .offset:         224
        .size:           4
        .value_kind:     hidden_dynamic_lds_size
    .group_segment_fixed_size: 16384
    .kernarg_segment_align: 8
    .kernarg_segment_size: 360
    .language:       OpenCL C
    .language_version:
      - 2
      - 0
    .max_flat_workgroup_size: 256
    .name:           _ZN9rocsparseL27csrmvn_symm_adaptive_kernelIii21rocsparse_complex_numIfES1_IdES3_S3_EEvbT_S4_PKS4_NS_24const_host_device_scalarIT4_EES6_PKT0_PKT1_PKT2_S9_PT3_21rocsparse_index_base_b
    .private_segment_fixed_size: 24
    .sgpr_count:     40
    .sgpr_spill_count: 0
    .symbol:         _ZN9rocsparseL27csrmvn_symm_adaptive_kernelIii21rocsparse_complex_numIfES1_IdES3_S3_EEvbT_S4_PKS4_NS_24const_host_device_scalarIT4_EES6_PKT0_PKT1_PKT2_S9_PT3_21rocsparse_index_base_b.kd
    .uniform_work_group_size: 1
    .uses_dynamic_stack: false
    .vgpr_count:     36
    .vgpr_spill_count: 0
    .wavefront_size: 32
    .workgroup_processor_mode: 1
  - .args:
      - .offset:         0
        .size:           1
        .value_kind:     by_value
      - .offset:         4
        .size:           4
        .value_kind:     by_value
      - .actual_access:  read_only
        .address_space:  global
        .offset:         8
        .size:           8
        .value_kind:     global_buffer
      - .offset:         16
        .size:           16
        .value_kind:     by_value
      - .actual_access:  read_only
        .address_space:  global
        .offset:         32
        .size:           8
        .value_kind:     global_buffer
      - .actual_access:  read_only
        .address_space:  global
        .offset:         40
        .size:           8
        .value_kind:     global_buffer
      - .actual_access:  read_only
        .address_space:  global
        .offset:         48
        .size:           8
        .value_kind:     global_buffer
      - .actual_access:  read_only
        .address_space:  global
        .offset:         56
        .size:           8
        .value_kind:     global_buffer
      - .offset:         64
        .size:           16
        .value_kind:     by_value
      - .address_space:  global
        .offset:         80
        .size:           8
        .value_kind:     global_buffer
      - .offset:         88
        .size:           4
        .value_kind:     by_value
      - .offset:         92
        .size:           1
        .value_kind:     by_value
    .group_segment_fixed_size: 16384
    .kernarg_segment_align: 8
    .kernarg_segment_size: 96
    .language:       OpenCL C
    .language_version:
      - 2
      - 0
    .max_flat_workgroup_size: 256
    .name:           _ZL33csrmvn_symm_large_adaptive_kernelIii21rocsparse_complex_numIfES0_IdES2_S2_EvbT_PKS3_N9rocsparse24const_host_device_scalarIT4_EES5_PKT0_PKT1_PKT2_S9_PT3_21rocsparse_index_base_b
    .private_segment_fixed_size: 24
    .sgpr_count:     34
    .sgpr_spill_count: 0
    .symbol:         _ZL33csrmvn_symm_large_adaptive_kernelIii21rocsparse_complex_numIfES0_IdES2_S2_EvbT_PKS3_N9rocsparse24const_host_device_scalarIT4_EES5_PKT0_PKT1_PKT2_S9_PT3_21rocsparse_index_base_b.kd
    .uniform_work_group_size: 1
    .uses_dynamic_stack: false
    .vgpr_count:     25
    .vgpr_spill_count: 0
    .wavefront_size: 32
    .workgroup_processor_mode: 1
  - .args:
      - .offset:         0
        .size:           1
        .value_kind:     by_value
      - .offset:         8
        .size:           8
        .value_kind:     by_value
      - .actual_access:  read_only
        .address_space:  global
        .offset:         16
        .size:           8
        .value_kind:     global_buffer
      - .address_space:  global
        .offset:         24
        .size:           8
        .value_kind:     global_buffer
      - .actual_access:  read_only
        .address_space:  global
        .offset:         32
        .size:           8
        .value_kind:     global_buffer
      - .offset:         40
        .size:           16
        .value_kind:     by_value
      - .actual_access:  read_only
        .address_space:  global
        .offset:         56
        .size:           8
        .value_kind:     global_buffer
      - .actual_access:  read_only
        .address_space:  global
        .offset:         64
        .size:           8
        .value_kind:     global_buffer
      - .actual_access:  read_only
        .address_space:  global
        .offset:         72
        .size:           8
        .value_kind:     global_buffer
      - .actual_access:  read_only
        .address_space:  global
        .offset:         80
        .size:           8
        .value_kind:     global_buffer
      - .offset:         88
        .size:           16
        .value_kind:     by_value
      - .address_space:  global
        .offset:         104
        .size:           8
        .value_kind:     global_buffer
      - .offset:         112
        .size:           4
        .value_kind:     by_value
      - .offset:         116
        .size:           1
        .value_kind:     by_value
    .group_segment_fixed_size: 16384
    .kernarg_segment_align: 8
    .kernarg_segment_size: 120
    .language:       OpenCL C
    .language_version:
      - 2
      - 0
    .max_flat_workgroup_size: 256
    .name:           _ZN9rocsparseL22csrmvn_adaptive_kernelIli21rocsparse_complex_numIfES1_IdES3_S3_EEvbT_PKS4_PjPKT0_NS_24const_host_device_scalarIT4_EES6_SA_PKT1_PKT2_SD_PT3_21rocsparse_index_base_b
    .private_segment_fixed_size: 24
    .sgpr_count:     52
    .sgpr_spill_count: 0
    .symbol:         _ZN9rocsparseL22csrmvn_adaptive_kernelIli21rocsparse_complex_numIfES1_IdES3_S3_EEvbT_PKS4_PjPKT0_NS_24const_host_device_scalarIT4_EES6_SA_PKT1_PKT2_SD_PT3_21rocsparse_index_base_b.kd
    .uniform_work_group_size: 1
    .uses_dynamic_stack: false
    .vgpr_count:     50
    .vgpr_spill_count: 0
    .wavefront_size: 32
    .workgroup_processor_mode: 1
  - .args:
      - .offset:         0
        .size:           1
        .value_kind:     by_value
      - .offset:         8
        .size:           8
        .value_kind:     by_value
      - .offset:         16
        .size:           8
        .value_kind:     by_value
      - .actual_access:  read_only
        .address_space:  global
        .offset:         24
        .size:           8
        .value_kind:     global_buffer
      - .offset:         32
        .size:           16
        .value_kind:     by_value
      - .actual_access:  read_only
        .address_space:  global
        .offset:         48
        .size:           8
        .value_kind:     global_buffer
      - .actual_access:  read_only
        .address_space:  global
        .offset:         56
        .size:           8
        .value_kind:     global_buffer
      - .actual_access:  read_only
        .address_space:  global
        .offset:         64
        .size:           8
        .value_kind:     global_buffer
      - .actual_access:  read_only
        .address_space:  global
        .offset:         72
        .size:           8
        .value_kind:     global_buffer
      - .offset:         80
        .size:           16
        .value_kind:     by_value
      - .address_space:  global
        .offset:         96
        .size:           8
        .value_kind:     global_buffer
      - .offset:         104
        .size:           4
        .value_kind:     by_value
      - .offset:         108
        .size:           1
        .value_kind:     by_value
      - .offset:         112
        .size:           4
        .value_kind:     hidden_block_count_x
      - .offset:         116
        .size:           4
        .value_kind:     hidden_block_count_y
      - .offset:         120
        .size:           4
        .value_kind:     hidden_block_count_z
      - .offset:         124
        .size:           2
        .value_kind:     hidden_group_size_x
      - .offset:         126
        .size:           2
        .value_kind:     hidden_group_size_y
      - .offset:         128
        .size:           2
        .value_kind:     hidden_group_size_z
      - .offset:         130
        .size:           2
        .value_kind:     hidden_remainder_x
      - .offset:         132
        .size:           2
        .value_kind:     hidden_remainder_y
      - .offset:         134
        .size:           2
        .value_kind:     hidden_remainder_z
      - .offset:         152
        .size:           8
        .value_kind:     hidden_global_offset_x
      - .offset:         160
        .size:           8
        .value_kind:     hidden_global_offset_y
      - .offset:         168
        .size:           8
        .value_kind:     hidden_global_offset_z
      - .offset:         176
        .size:           2
        .value_kind:     hidden_grid_dims
      - .offset:         232
        .size:           4
        .value_kind:     hidden_dynamic_lds_size
    .group_segment_fixed_size: 16384
    .kernarg_segment_align: 8
    .kernarg_segment_size: 368
    .language:       OpenCL C
    .language_version:
      - 2
      - 0
    .max_flat_workgroup_size: 256
    .name:           _ZN9rocsparseL27csrmvn_symm_adaptive_kernelIli21rocsparse_complex_numIfES1_IdES3_S3_EEvbT_S4_PKS4_NS_24const_host_device_scalarIT4_EES6_PKT0_PKT1_PKT2_S9_PT3_21rocsparse_index_base_b
    .private_segment_fixed_size: 24
    .sgpr_count:     45
    .sgpr_spill_count: 0
    .symbol:         _ZN9rocsparseL27csrmvn_symm_adaptive_kernelIli21rocsparse_complex_numIfES1_IdES3_S3_EEvbT_S4_PKS4_NS_24const_host_device_scalarIT4_EES6_PKT0_PKT1_PKT2_S9_PT3_21rocsparse_index_base_b.kd
    .uniform_work_group_size: 1
    .uses_dynamic_stack: false
    .vgpr_count:     45
    .vgpr_spill_count: 0
    .wavefront_size: 32
    .workgroup_processor_mode: 1
  - .args:
      - .offset:         0
        .size:           1
        .value_kind:     by_value
      - .offset:         8
        .size:           8
        .value_kind:     by_value
      - .actual_access:  read_only
        .address_space:  global
        .offset:         16
        .size:           8
        .value_kind:     global_buffer
      - .offset:         24
        .size:           16
        .value_kind:     by_value
      - .actual_access:  read_only
        .address_space:  global
        .offset:         40
        .size:           8
        .value_kind:     global_buffer
      - .actual_access:  read_only
        .address_space:  global
        .offset:         48
        .size:           8
        .value_kind:     global_buffer
      - .actual_access:  read_only
        .address_space:  global
        .offset:         56
        .size:           8
        .value_kind:     global_buffer
      - .actual_access:  read_only
        .address_space:  global
        .offset:         64
        .size:           8
        .value_kind:     global_buffer
      - .offset:         72
        .size:           16
        .value_kind:     by_value
      - .address_space:  global
        .offset:         88
        .size:           8
        .value_kind:     global_buffer
      - .offset:         96
        .size:           4
        .value_kind:     by_value
      - .offset:         100
        .size:           1
        .value_kind:     by_value
    .group_segment_fixed_size: 16384
    .kernarg_segment_align: 8
    .kernarg_segment_size: 104
    .language:       OpenCL C
    .language_version:
      - 2
      - 0
    .max_flat_workgroup_size: 256
    .name:           _ZL33csrmvn_symm_large_adaptive_kernelIli21rocsparse_complex_numIfES0_IdES2_S2_EvbT_PKS3_N9rocsparse24const_host_device_scalarIT4_EES5_PKT0_PKT1_PKT2_S9_PT3_21rocsparse_index_base_b
    .private_segment_fixed_size: 24
    .sgpr_count:     41
    .sgpr_spill_count: 0
    .symbol:         _ZL33csrmvn_symm_large_adaptive_kernelIli21rocsparse_complex_numIfES0_IdES2_S2_EvbT_PKS3_N9rocsparse24const_host_device_scalarIT4_EES5_PKT0_PKT1_PKT2_S9_PT3_21rocsparse_index_base_b.kd
    .uniform_work_group_size: 1
    .uses_dynamic_stack: false
    .vgpr_count:     26
    .vgpr_spill_count: 0
    .wavefront_size: 32
    .workgroup_processor_mode: 1
  - .args:
      - .offset:         0
        .size:           1
        .value_kind:     by_value
      - .offset:         8
        .size:           8
        .value_kind:     by_value
      - .actual_access:  read_only
        .address_space:  global
        .offset:         16
        .size:           8
        .value_kind:     global_buffer
      - .address_space:  global
        .offset:         24
        .size:           8
        .value_kind:     global_buffer
      - .actual_access:  read_only
        .address_space:  global
        .offset:         32
        .size:           8
        .value_kind:     global_buffer
      - .offset:         40
        .size:           16
        .value_kind:     by_value
      - .actual_access:  read_only
        .address_space:  global
        .offset:         56
        .size:           8
        .value_kind:     global_buffer
      - .actual_access:  read_only
        .address_space:  global
        .offset:         64
        .size:           8
        .value_kind:     global_buffer
      - .actual_access:  read_only
        .address_space:  global
        .offset:         72
        .size:           8
        .value_kind:     global_buffer
      - .actual_access:  read_only
        .address_space:  global
        .offset:         80
        .size:           8
        .value_kind:     global_buffer
      - .offset:         88
        .size:           16
        .value_kind:     by_value
      - .address_space:  global
        .offset:         104
        .size:           8
        .value_kind:     global_buffer
      - .offset:         112
        .size:           4
        .value_kind:     by_value
      - .offset:         116
        .size:           1
        .value_kind:     by_value
    .group_segment_fixed_size: 16384
    .kernarg_segment_align: 8
    .kernarg_segment_size: 120
    .language:       OpenCL C
    .language_version:
      - 2
      - 0
    .max_flat_workgroup_size: 256
    .name:           _ZN9rocsparseL22csrmvn_adaptive_kernelIll21rocsparse_complex_numIfES1_IdES3_S3_EEvbT_PKS4_PjPKT0_NS_24const_host_device_scalarIT4_EES6_SA_PKT1_PKT2_SD_PT3_21rocsparse_index_base_b
    .private_segment_fixed_size: 24
    .sgpr_count:     52
    .sgpr_spill_count: 0
    .symbol:         _ZN9rocsparseL22csrmvn_adaptive_kernelIll21rocsparse_complex_numIfES1_IdES3_S3_EEvbT_PKS4_PjPKT0_NS_24const_host_device_scalarIT4_EES6_SA_PKT1_PKT2_SD_PT3_21rocsparse_index_base_b.kd
    .uniform_work_group_size: 1
    .uses_dynamic_stack: false
    .vgpr_count:     50
    .vgpr_spill_count: 0
    .wavefront_size: 32
    .workgroup_processor_mode: 1
  - .args:
      - .offset:         0
        .size:           1
        .value_kind:     by_value
      - .offset:         8
        .size:           8
        .value_kind:     by_value
      - .offset:         16
        .size:           8
        .value_kind:     by_value
      - .actual_access:  read_only
        .address_space:  global
        .offset:         24
        .size:           8
        .value_kind:     global_buffer
      - .offset:         32
        .size:           16
        .value_kind:     by_value
      - .actual_access:  read_only
        .address_space:  global
        .offset:         48
        .size:           8
        .value_kind:     global_buffer
      - .actual_access:  read_only
        .address_space:  global
        .offset:         56
        .size:           8
        .value_kind:     global_buffer
      - .actual_access:  read_only
        .address_space:  global
        .offset:         64
        .size:           8
        .value_kind:     global_buffer
      - .actual_access:  read_only
        .address_space:  global
        .offset:         72
        .size:           8
        .value_kind:     global_buffer
      - .offset:         80
        .size:           16
        .value_kind:     by_value
      - .address_space:  global
        .offset:         96
        .size:           8
        .value_kind:     global_buffer
      - .offset:         104
        .size:           4
        .value_kind:     by_value
      - .offset:         108
        .size:           1
        .value_kind:     by_value
      - .offset:         112
        .size:           4
        .value_kind:     hidden_block_count_x
      - .offset:         116
        .size:           4
        .value_kind:     hidden_block_count_y
      - .offset:         120
        .size:           4
        .value_kind:     hidden_block_count_z
      - .offset:         124
        .size:           2
        .value_kind:     hidden_group_size_x
      - .offset:         126
        .size:           2
        .value_kind:     hidden_group_size_y
      - .offset:         128
        .size:           2
        .value_kind:     hidden_group_size_z
      - .offset:         130
        .size:           2
        .value_kind:     hidden_remainder_x
      - .offset:         132
        .size:           2
        .value_kind:     hidden_remainder_y
      - .offset:         134
        .size:           2
        .value_kind:     hidden_remainder_z
      - .offset:         152
        .size:           8
        .value_kind:     hidden_global_offset_x
      - .offset:         160
        .size:           8
        .value_kind:     hidden_global_offset_y
      - .offset:         168
        .size:           8
        .value_kind:     hidden_global_offset_z
      - .offset:         176
        .size:           2
        .value_kind:     hidden_grid_dims
      - .offset:         232
        .size:           4
        .value_kind:     hidden_dynamic_lds_size
    .group_segment_fixed_size: 16384
    .kernarg_segment_align: 8
    .kernarg_segment_size: 368
    .language:       OpenCL C
    .language_version:
      - 2
      - 0
    .max_flat_workgroup_size: 256
    .name:           _ZN9rocsparseL27csrmvn_symm_adaptive_kernelIll21rocsparse_complex_numIfES1_IdES3_S3_EEvbT_S4_PKS4_NS_24const_host_device_scalarIT4_EES6_PKT0_PKT1_PKT2_S9_PT3_21rocsparse_index_base_b
    .private_segment_fixed_size: 24
    .sgpr_count:     45
    .sgpr_spill_count: 0
    .symbol:         _ZN9rocsparseL27csrmvn_symm_adaptive_kernelIll21rocsparse_complex_numIfES1_IdES3_S3_EEvbT_S4_PKS4_NS_24const_host_device_scalarIT4_EES6_PKT0_PKT1_PKT2_S9_PT3_21rocsparse_index_base_b.kd
    .uniform_work_group_size: 1
    .uses_dynamic_stack: false
    .vgpr_count:     43
    .vgpr_spill_count: 0
    .wavefront_size: 32
    .workgroup_processor_mode: 1
  - .args:
      - .offset:         0
        .size:           1
        .value_kind:     by_value
      - .offset:         8
        .size:           8
        .value_kind:     by_value
      - .actual_access:  read_only
        .address_space:  global
        .offset:         16
        .size:           8
        .value_kind:     global_buffer
      - .offset:         24
        .size:           16
        .value_kind:     by_value
      - .actual_access:  read_only
        .address_space:  global
        .offset:         40
        .size:           8
        .value_kind:     global_buffer
      - .actual_access:  read_only
        .address_space:  global
        .offset:         48
        .size:           8
        .value_kind:     global_buffer
      - .actual_access:  read_only
        .address_space:  global
        .offset:         56
        .size:           8
        .value_kind:     global_buffer
      - .actual_access:  read_only
        .address_space:  global
        .offset:         64
        .size:           8
        .value_kind:     global_buffer
      - .offset:         72
        .size:           16
        .value_kind:     by_value
      - .address_space:  global
        .offset:         88
        .size:           8
        .value_kind:     global_buffer
      - .offset:         96
        .size:           4
        .value_kind:     by_value
      - .offset:         100
        .size:           1
        .value_kind:     by_value
    .group_segment_fixed_size: 16384
    .kernarg_segment_align: 8
    .kernarg_segment_size: 104
    .language:       OpenCL C
    .language_version:
      - 2
      - 0
    .max_flat_workgroup_size: 256
    .name:           _ZL33csrmvn_symm_large_adaptive_kernelIll21rocsparse_complex_numIfES0_IdES2_S2_EvbT_PKS3_N9rocsparse24const_host_device_scalarIT4_EES5_PKT0_PKT1_PKT2_S9_PT3_21rocsparse_index_base_b
    .private_segment_fixed_size: 24
    .sgpr_count:     41
    .sgpr_spill_count: 0
    .symbol:         _ZL33csrmvn_symm_large_adaptive_kernelIll21rocsparse_complex_numIfES0_IdES2_S2_EvbT_PKS3_N9rocsparse24const_host_device_scalarIT4_EES5_PKT0_PKT1_PKT2_S9_PT3_21rocsparse_index_base_b.kd
    .uniform_work_group_size: 1
    .uses_dynamic_stack: false
    .vgpr_count:     26
    .vgpr_spill_count: 0
    .wavefront_size: 32
    .workgroup_processor_mode: 1
amdhsa.target:   amdgcn-amd-amdhsa--gfx1100
amdhsa.version:
  - 1
  - 2
...

	.end_amdgpu_metadata
